;; amdgpu-corpus repo=pytorch/pytorch kind=compiled arch=gfx1100 opt=O3
	.text
	.amdgcn_target "amdgcn-amd-amdhsa--gfx1100"
	.amdhsa_code_object_version 6
	.p2align	2                               ; -- Begin function _ZN2at6native25elementwise_kernel_helperILb0EZZZNS0_12_GLOBAL__N_137scaled_modified_bessel_k1_kernel_cudaERNS_18TensorIteratorBaseEENKUlvE_clEvENKUlvE_clEvEUldE_NS0_6memory8policies11unroll_baseILi256ESt5arrayIPcLm2EE23TrivialOffsetCalculatorILi1EjESF_NS8_15LoadWithoutCastENS8_16StoreWithoutCastELi4ELi1EEEEEvT0_T1_
	.type	_ZN2at6native25elementwise_kernel_helperILb0EZZZNS0_12_GLOBAL__N_137scaled_modified_bessel_k1_kernel_cudaERNS_18TensorIteratorBaseEENKUlvE_clEvENKUlvE_clEvEUldE_NS0_6memory8policies11unroll_baseILi256ESt5arrayIPcLm2EE23TrivialOffsetCalculatorILi1EjESF_NS8_15LoadWithoutCastENS8_16StoreWithoutCastELi4ELi1EEEEEvT0_T1_,@function
_ZN2at6native25elementwise_kernel_helperILb0EZZZNS0_12_GLOBAL__N_137scaled_modified_bessel_k1_kernel_cudaERNS_18TensorIteratorBaseEENKUlvE_clEvENKUlvE_clEvEUldE_NS0_6memory8policies11unroll_baseILi256ESt5arrayIPcLm2EE23TrivialOffsetCalculatorILi1EjESF_NS8_15LoadWithoutCastENS8_16StoreWithoutCastELi4ELi1EEEEEvT0_T1_: ; @_ZN2at6native25elementwise_kernel_helperILb0EZZZNS0_12_GLOBAL__N_137scaled_modified_bessel_k1_kernel_cudaERNS_18TensorIteratorBaseEENKUlvE_clEvENKUlvE_clEvEUldE_NS0_6memory8policies11unroll_baseILi256ESt5arrayIPcLm2EE23TrivialOffsetCalculatorILi1EjESF_NS8_15LoadWithoutCastENS8_16StoreWithoutCastELi4ELi1EEEEEvT0_T1_
; %bb.0:
	s_waitcnt vmcnt(0) expcnt(0) lgkmcnt(0)
	v_and_b32_e32 v22, 0x3ff, v31
	v_mov_b32_e32 v18, 0
	v_mov_b32_e32 v19, 0
	s_lshl_b32 s4, s12, 10
	s_delay_alu instid0(VALU_DEP_3) | instskip(SKIP_4) | instid1(VALU_DEP_4)
	v_add_nc_u32_e32 v23, 0x100, v22
	v_cmp_lt_i32_e64 s0, v22, v4
	v_or_b32_e32 v13, s4, v22
	v_dual_mov_b32 v21, v19 :: v_dual_mov_b32 v20, v18
	v_mov_b32_e32 v5, v22
	s_and_saveexec_b32 s1, s0
	s_cbranch_execz .LBB0_2
; %bb.1:
	v_mov_b32_e32 v14, 0
	s_delay_alu instid0(VALU_DEP_1) | instskip(NEXT) | instid1(VALU_DEP_1)
	v_lshlrev_b64 v[5:6], 3, v[13:14]
	v_add_co_u32 v5, vcc_lo, v2, v5
	s_delay_alu instid0(VALU_DEP_2)
	v_add_co_ci_u32_e32 v6, vcc_lo, v3, v6, vcc_lo
	flat_load_b64 v[20:21], v[5:6]
	v_add_nc_u32_e32 v5, 0x100, v22
.LBB0_2:
	s_or_b32 exec_lo, exec_lo, s1
	s_delay_alu instid0(SALU_CYCLE_1) | instskip(NEXT) | instid1(VALU_DEP_1)
	s_mov_b32 s1, exec_lo
	v_cmpx_lt_i32_e64 v5, v4
	s_cbranch_execz .LBB0_4
; %bb.3:
	v_dual_mov_b32 v7, 0 :: v_dual_add_nc_u32 v6, s4, v5
	v_add_nc_u32_e32 v5, 0x100, v5
	s_delay_alu instid0(VALU_DEP_2) | instskip(NEXT) | instid1(VALU_DEP_1)
	v_lshlrev_b64 v[6:7], 3, v[6:7]
	v_add_co_u32 v6, vcc_lo, v2, v6
	s_delay_alu instid0(VALU_DEP_2)
	v_add_co_ci_u32_e32 v7, vcc_lo, v3, v7, vcc_lo
	flat_load_b64 v[18:19], v[6:7]
.LBB0_4:
	s_or_b32 exec_lo, exec_lo, s1
	v_mov_b32_e32 v14, 0
	v_mov_b32_e32 v15, 0
	s_mov_b32 s1, exec_lo
	s_delay_alu instid0(VALU_DEP_1)
	v_dual_mov_b32 v17, v15 :: v_dual_mov_b32 v16, v14
	v_cmpx_lt_i32_e64 v5, v4
	s_cbranch_execnz .LBB0_8
; %bb.5:
	s_or_b32 exec_lo, exec_lo, s1
	s_delay_alu instid0(SALU_CYCLE_1)
	s_mov_b32 s1, exec_lo
	v_cmpx_lt_i32_e64 v5, v4
	s_cbranch_execnz .LBB0_9
.LBB0_6:
	s_or_b32 exec_lo, exec_lo, s1
                                        ; implicit-def: $vgpr5_vgpr6_vgpr7_vgpr8_vgpr9_vgpr10_vgpr11_vgpr12
	s_and_saveexec_b32 s5, s0
	s_cbranch_execnz .LBB0_10
.LBB0_7:
	s_or_b32 exec_lo, exec_lo, s5
	s_delay_alu instid0(SALU_CYCLE_1)
	s_mov_b32 s5, exec_lo
	v_cmpx_lt_i32_e64 v23, v4
	s_cbranch_execnz .LBB0_23
	s_branch .LBB0_36
.LBB0_8:
	v_dual_mov_b32 v7, 0 :: v_dual_add_nc_u32 v6, s4, v5
	v_add_nc_u32_e32 v5, 0x100, v5
	s_delay_alu instid0(VALU_DEP_2) | instskip(NEXT) | instid1(VALU_DEP_1)
	v_lshlrev_b64 v[6:7], 3, v[6:7]
	v_add_co_u32 v6, vcc_lo, v2, v6
	s_delay_alu instid0(VALU_DEP_2) | instskip(SKIP_2) | instid1(SALU_CYCLE_1)
	v_add_co_ci_u32_e32 v7, vcc_lo, v3, v7, vcc_lo
	flat_load_b64 v[16:17], v[6:7]
	s_or_b32 exec_lo, exec_lo, s1
	s_mov_b32 s1, exec_lo
	v_cmpx_lt_i32_e64 v5, v4
	s_cbranch_execz .LBB0_6
.LBB0_9:
	v_dual_mov_b32 v6, 0 :: v_dual_add_nc_u32 v5, s4, v5
	s_delay_alu instid0(VALU_DEP_1) | instskip(NEXT) | instid1(VALU_DEP_1)
	v_lshlrev_b64 v[5:6], 3, v[5:6]
	v_add_co_u32 v2, vcc_lo, v2, v5
	s_delay_alu instid0(VALU_DEP_2)
	v_add_co_ci_u32_e32 v3, vcc_lo, v3, v6, vcc_lo
	flat_load_b64 v[14:15], v[2:3]
	s_or_b32 exec_lo, exec_lo, s1
                                        ; implicit-def: $vgpr5_vgpr6_vgpr7_vgpr8_vgpr9_vgpr10_vgpr11_vgpr12
	s_and_saveexec_b32 s5, s0
	s_cbranch_execz .LBB0_7
.LBB0_10:
	v_mov_b32_e32 v5, 0
	v_mov_b32_e32 v6, 0x7ff00000
	s_mov_b32 s6, exec_lo
	s_waitcnt vmcnt(0) lgkmcnt(0)
	v_cmpx_neq_f64_e32 0, v[20:21]
	s_cbranch_execz .LBB0_22
; %bb.11:
	v_mov_b32_e32 v5, 0
	v_mov_b32_e32 v6, 0x7ff80000
	s_mov_b32 s7, exec_lo
	v_cmpx_ngt_f64_e32 0, v[20:21]
	s_cbranch_execz .LBB0_21
; %bb.12:
                                        ; implicit-def: $vgpr5_vgpr6
	s_mov_b32 s1, exec_lo
	v_cmpx_ge_f64_e32 2.0, v[20:21]
	s_xor_b32 s8, exec_lo, s1
	s_cbranch_execz .LBB0_18
; %bb.13:
	v_mul_f64 v[2:3], v[20:21], 0.5
	s_mov_b32 s1, exec_lo
                                        ; implicit-def: $vgpr7_vgpr8
                                        ; implicit-def: $vgpr5_vgpr6
	v_cmpx_ge_f64_e32 0x40200000, v[20:21]
	s_xor_b32 s1, exec_lo, s1
	s_cbranch_execz .LBB0_15
; %bb.14:
	s_delay_alu instid0(VALU_DEP_2)
	v_add_f64 v[5:6], v[2:3], -2.0
	s_mov_b32 s2, 0xc38a0576
	s_mov_b32 s3, 0xbc7857d0
	;; [unrolled: 1-line block ×4, first 2 shown]
	v_cmp_nlt_f64_e32 vcc_lo, 0x40900000, v[20:21]
	s_delay_alu instid0(VALU_DEP_2) | instskip(SKIP_3) | instid1(VALU_DEP_1)
	v_fma_f64 v[7:8], v[5:6], s[10:11], s[2:3]
	s_mov_b32 s11, 0xbc499f2a
	s_mov_b32 s2, 0xe593bfac
	s_mov_b32 s3, 0x3ca663e3
	v_fma_f64 v[9:10], v[5:6], v[7:8], s[10:11]
	s_mov_b32 s10, 0x6a5dcb37
	s_mov_b32 s11, 0x3e5ade15
	s_delay_alu instid0(VALU_DEP_1) | instskip(SKIP_2) | instid1(VALU_DEP_1)
	v_add_f64 v[9:10], v[9:10], s[2:3]
	s_mov_b32 s2, 0x7e0d1573
	s_mov_b32 s3, 0xbcd3eaaa
	v_fma_f64 v[7:8], v[5:6], v[9:10], -v[7:8]
	s_delay_alu instid0(VALU_DEP_1) | instskip(SKIP_2) | instid1(VALU_DEP_1)
	v_add_f64 v[7:8], v[7:8], s[2:3]
	s_mov_b32 s2, 0x615290c
	s_mov_b32 s3, 0x3d011d7f
	v_fma_f64 v[9:10], v[5:6], v[7:8], -v[9:10]
	;; [unrolled: 5-line block ×19, first 2 shown]
	s_delay_alu instid0(VALU_DEP_1) | instskip(SKIP_2) | instid1(SALU_CYCLE_1)
	v_add_f64 v[7:8], v[7:8], s[2:3]
	s_mov_b32 s2, 0x652b82fe
	s_mov_b32 s3, 0x3ff71547
	v_mul_f64 v[11:12], v[20:21], s[2:3]
	s_mov_b32 s2, 0x49d3a1b4
	s_mov_b32 s3, 0x3f710653
	s_delay_alu instid0(VALU_DEP_2) | instskip(NEXT) | instid1(VALU_DEP_2)
	v_fma_f64 v[9:10], v[5:6], v[7:8], -v[9:10]
	v_rndne_f64_e32 v[11:12], v[11:12]
	s_delay_alu instid0(VALU_DEP_2)
	v_add_f64 v[9:10], v[9:10], s[2:3]
	s_mov_b32 s2, 0xfefa39ef
	s_mov_b32 s3, 0xbfe62e42
	s_delay_alu instid0(VALU_DEP_2) | instid1(SALU_CYCLE_1)
	v_fma_f64 v[24:25], v[11:12], s[2:3], v[20:21]
	s_mov_b32 s2, 0x7913a26a
	s_mov_b32 s3, 0xbf85a29f
	s_delay_alu instid0(VALU_DEP_2) | instskip(NEXT) | instid1(VALU_DEP_1)
	v_fma_f64 v[7:8], v[5:6], v[9:10], -v[7:8]
	v_add_f64 v[7:8], v[7:8], s[2:3]
	s_mov_b32 s2, 0x3b39803f
	s_mov_b32 s3, 0xbc7abc9e
	s_delay_alu instid0(VALU_DEP_3) | instid1(SALU_CYCLE_1)
	v_fma_f64 v[24:25], v[11:12], s[2:3], v[24:25]
	s_mov_b32 s2, 0xfca7ab0c
	s_mov_b32 s3, 0x3e928af3
	s_delay_alu instid0(VALU_DEP_2) | instskip(NEXT) | instid1(VALU_DEP_2)
	v_fma_f64 v[9:10], v[5:6], v[7:8], -v[9:10]
	v_fma_f64 v[26:27], v[24:25], s[10:11], s[2:3]
	s_mov_b32 s2, 0xe7bb2349
	s_mov_b32 s3, 0x3f9951e3
	s_delay_alu instid0(VALU_DEP_2) | instid1(SALU_CYCLE_1)
	v_add_f64 v[9:10], v[9:10], s[2:3]
	s_mov_b32 s2, 0x623fde64
	s_mov_b32 s3, 0x3ec71dee
	s_delay_alu instid0(VALU_DEP_2) | instid1(SALU_CYCLE_1)
	v_fma_f64 v[26:27], v[24:25], v[26:27], s[2:3]
	s_mov_b32 s2, 0x7c89e6b0
	s_mov_b32 s3, 0x3efa0199
	s_delay_alu instid0(VALU_DEP_2) | instskip(NEXT) | instid1(VALU_DEP_2)
	v_fma_f64 v[7:8], v[5:6], v[9:10], -v[7:8]
	v_fma_f64 v[26:27], v[24:25], v[26:27], s[2:3]
	s_mov_b32 s2, 0x537c9ebc
	s_mov_b32 s3, 0xbfab1bbc
	s_delay_alu instid0(VALU_DEP_2) | instid1(SALU_CYCLE_1)
	v_add_f64 v[7:8], v[7:8], s[2:3]
	s_mov_b32 s2, 0x14761f6e
	s_mov_b32 s3, 0x3f2a01a0
	s_delay_alu instid0(VALU_DEP_2) | instid1(SALU_CYCLE_1)
	;; [unrolled: 13-line block ×4, first 2 shown]
	v_fma_f64 v[26:27], v[24:25], v[26:27], s[2:3]
	s_mov_b32 s2, 11
	s_mov_b32 s3, 0x3fe00000
	s_delay_alu instid0(VALU_DEP_2) | instskip(NEXT) | instid1(VALU_DEP_2)
	v_fma_f64 v[5:6], v[5:6], v[7:8], -v[9:10]
	v_fma_f64 v[7:8], v[24:25], v[26:27], s[2:3]
	s_mov_b32 s2, 0x724a7ffa
	s_mov_b32 s3, 0x3fd02a63
	s_delay_alu instid0(VALU_DEP_2) | instid1(SALU_CYCLE_1)
	v_add_f64 v[5:6], v[5:6], s[2:3]
	s_delay_alu instid0(VALU_DEP_2) | instskip(NEXT) | instid1(VALU_DEP_2)
	v_fma_f64 v[7:8], v[24:25], v[7:8], 1.0
	v_add_f64 v[5:6], v[5:6], -v[9:10]
	v_cvt_i32_f64_e32 v9, v[11:12]
	s_delay_alu instid0(VALU_DEP_3) | instskip(NEXT) | instid1(VALU_DEP_3)
	v_fma_f64 v[7:8], v[24:25], v[7:8], 1.0
	v_mul_f64 v[5:6], v[5:6], 0.5
	s_delay_alu instid0(VALU_DEP_2) | instskip(NEXT) | instid1(VALU_DEP_2)
	v_ldexp_f64 v[7:8], v[7:8], v9
	v_mul_f64 v[9:10], v[20:21], v[5:6]
	s_delay_alu instid0(VALU_DEP_2) | instskip(NEXT) | instid1(VALU_DEP_3)
	v_cndmask_b32_e32 v6, 0x7ff00000, v8, vcc_lo
	v_cndmask_b32_e32 v5, 0, v7, vcc_lo
	s_delay_alu instid0(VALU_DEP_1)
	v_mul_f64 v[7:8], v[5:6], v[9:10]
.LBB0_15:
	s_and_not1_saveexec_b32 s2, s1
	s_cbranch_execz .LBB0_17
; %bb.16:
	v_div_scale_f64 v[5:6], null, v[20:21], v[20:21], 0x40400000
	v_div_scale_f64 v[11:12], vcc_lo, 0x40400000, v[20:21], 0x40400000
	s_mov_b32 s10, 0xea87b950
	s_mov_b32 s11, 0x3c545b8a
	;; [unrolled: 1-line block ×4, first 2 shown]
	v_cmp_nlt_f64_e64 s1, 0x40900000, v[20:21]
	s_delay_alu instid0(VALU_DEP_3) | instskip(SKIP_2) | instid1(VALU_DEP_1)
	v_rcp_f64_e32 v[7:8], v[5:6]
	s_waitcnt_depctr 0xfff
	v_fma_f64 v[9:10], -v[5:6], v[7:8], 1.0
	v_fma_f64 v[7:8], v[7:8], v[9:10], v[7:8]
	s_delay_alu instid0(VALU_DEP_1) | instskip(NEXT) | instid1(VALU_DEP_1)
	v_fma_f64 v[9:10], -v[5:6], v[7:8], 1.0
	v_fma_f64 v[7:8], v[7:8], v[9:10], v[7:8]
	s_delay_alu instid0(VALU_DEP_1) | instskip(NEXT) | instid1(VALU_DEP_1)
	v_mul_f64 v[9:10], v[11:12], v[7:8]
	v_fma_f64 v[5:6], -v[5:6], v[9:10], v[11:12]
	s_delay_alu instid0(VALU_DEP_1) | instskip(SKIP_1) | instid1(VALU_DEP_2)
	v_div_fmas_f64 v[5:6], v[5:6], v[7:8], v[9:10]
	v_cmp_gt_f64_e32 vcc_lo, 0x10000000, v[20:21]
	v_div_fixup_f64 v[5:6], v[5:6], v[20:21], 0x40400000
	v_cndmask_b32_e64 v28, 0, 1, vcc_lo
	s_delay_alu instid0(VALU_DEP_1) | instskip(NEXT) | instid1(VALU_DEP_1)
	v_lshlrev_b32_e32 v28, 8, v28
	v_ldexp_f64 v[28:29], v[20:21], v28
	s_delay_alu instid0(VALU_DEP_4) | instskip(NEXT) | instid1(VALU_DEP_2)
	v_add_f64 v[5:6], v[5:6], -2.0
	v_rsq_f64_e32 v[30:31], v[28:29]
	s_delay_alu instid0(VALU_DEP_1)
	v_fma_f64 v[7:8], v[5:6], s[12:13], s[10:11]
	s_mov_b32 s13, 0xbc61556d
	s_mov_b32 s10, 0xb2532277
	;; [unrolled: 1-line block ×3, first 2 shown]
	s_waitcnt_depctr 0xfff
	v_mul_f64 v[32:33], v[28:29], v[30:31]
	v_mul_f64 v[30:31], v[30:31], 0.5
	v_fma_f64 v[9:10], v[5:6], v[7:8], s[12:13]
	s_mov_b32 s12, 0x6a5dcb37
	s_mov_b32 s13, 0x3e5ade15
	s_delay_alu instid0(VALU_DEP_2) | instskip(NEXT) | instid1(VALU_DEP_2)
	v_fma_f64 v[34:35], -v[30:31], v[32:33], 0.5
	v_add_f64 v[9:10], v[9:10], s[10:11]
	s_mov_b32 s10, 0x9c773320
	s_mov_b32 s11, 0xbc82806c
	s_delay_alu instid0(VALU_DEP_2) | instskip(SKIP_1) | instid1(VALU_DEP_3)
	v_fma_f64 v[32:33], v[32:33], v[34:35], v[32:33]
	v_fma_f64 v[30:31], v[30:31], v[34:35], v[30:31]
	v_fma_f64 v[7:8], v[5:6], v[9:10], -v[7:8]
	s_delay_alu instid0(VALU_DEP_3) | instskip(NEXT) | instid1(VALU_DEP_2)
	v_fma_f64 v[34:35], -v[32:33], v[32:33], v[28:29]
	v_add_f64 v[7:8], v[7:8], s[10:11]
	s_mov_b32 s10, 0xfceb588a
	s_mov_b32 s11, 0x3cb55915
	s_delay_alu instid0(VALU_DEP_1) | instskip(NEXT) | instid1(VALU_DEP_1)
	v_fma_f64 v[9:10], v[5:6], v[7:8], -v[9:10]
	v_add_f64 v[9:10], v[9:10], s[10:11]
	s_mov_b32 s10, 0x5f04a2d1
	s_mov_b32 s11, 0x3cb7d68e
	s_delay_alu instid0(VALU_DEP_1) | instskip(NEXT) | instid1(VALU_DEP_1)
	v_fma_f64 v[7:8], v[5:6], v[9:10], -v[7:8]
	v_add_f64 v[7:8], v[7:8], s[10:11]
	s_mov_b32 s10, 0x8bc4d22a
	s_mov_b32 s11, 0xbce0efcd
	s_delay_alu instid0(VALU_DEP_1) | instskip(NEXT) | instid1(VALU_DEP_1)
	v_fma_f64 v[9:10], v[5:6], v[7:8], -v[9:10]
	v_add_f64 v[9:10], v[9:10], s[10:11]
	s_mov_b32 s10, 0x138afbc7
	s_mov_b32 s11, 0xbcf12db5
	s_delay_alu instid0(VALU_DEP_1) | instskip(NEXT) | instid1(VALU_DEP_1)
	v_fma_f64 v[7:8], v[5:6], v[9:10], -v[7:8]
	v_add_f64 v[7:8], v[7:8], s[10:11]
	s_mov_b32 s10, 0x762d31e8
	s_mov_b32 s11, 0x3d0776e1
	s_delay_alu instid0(VALU_DEP_1) | instskip(NEXT) | instid1(VALU_DEP_1)
	v_fma_f64 v[9:10], v[5:6], v[7:8], -v[9:10]
	v_add_f64 v[9:10], v[9:10], s[10:11]
	s_mov_b32 s10, 0x26b3281e
	s_mov_b32 s11, 0x3d280d3c
	s_delay_alu instid0(VALU_DEP_1) | instskip(NEXT) | instid1(VALU_DEP_1)
	v_fma_f64 v[7:8], v[5:6], v[9:10], -v[7:8]
	v_add_f64 v[7:8], v[7:8], s[10:11]
	s_mov_b32 s10, 0x2e6d22a0
	s_mov_b32 s11, 0xbd17a948
	s_delay_alu instid0(VALU_DEP_1) | instskip(NEXT) | instid1(VALU_DEP_1)
	v_fma_f64 v[9:10], v[5:6], v[7:8], -v[9:10]
	v_add_f64 v[9:10], v[9:10], s[10:11]
	s_mov_b32 s10, 0x8e73e255
	s_mov_b32 s11, 0xbd5cbc45
	s_delay_alu instid0(VALU_DEP_1) | instskip(NEXT) | instid1(VALU_DEP_1)
	v_fma_f64 v[7:8], v[5:6], v[9:10], -v[7:8]
	v_add_f64 v[7:8], v[7:8], s[10:11]
	s_mov_b32 s10, 0x76ab493
	s_mov_b32 s11, 0xbd6953e1
	s_delay_alu instid0(VALU_DEP_1) | instskip(NEXT) | instid1(VALU_DEP_1)
	v_fma_f64 v[9:10], v[5:6], v[7:8], -v[9:10]
	v_add_f64 v[9:10], v[9:10], s[10:11]
	s_mov_b32 s10, 0xf6439fa3
	s_mov_b32 s11, 0x3d81e7d3
	s_delay_alu instid0(VALU_DEP_1) | instskip(NEXT) | instid1(VALU_DEP_1)
	v_fma_f64 v[7:8], v[5:6], v[9:10], -v[7:8]
	v_add_f64 v[7:8], v[7:8], s[10:11]
	s_mov_b32 s10, 0x653c457b
	s_mov_b32 s11, 0x3daf101f
	s_delay_alu instid0(VALU_DEP_1) | instskip(NEXT) | instid1(VALU_DEP_1)
	v_fma_f64 v[9:10], v[5:6], v[7:8], -v[9:10]
	v_add_f64 v[9:10], v[9:10], s[10:11]
	s_mov_b32 s10, 0xf1587865
	s_mov_b32 s11, 0x3dc1e1a1
	s_delay_alu instid0(VALU_DEP_1) | instskip(NEXT) | instid1(VALU_DEP_1)
	v_fma_f64 v[7:8], v[5:6], v[9:10], -v[7:8]
	v_add_f64 v[7:8], v[7:8], s[10:11]
	s_mov_b32 s10, 0xd4504c0c
	s_mov_b32 s11, 0xbdb4dcf9
	s_delay_alu instid0(VALU_DEP_1) | instskip(NEXT) | instid1(VALU_DEP_1)
	v_fma_f64 v[9:10], v[5:6], v[7:8], -v[9:10]
	v_add_f64 v[9:10], v[9:10], s[10:11]
	s_mov_b32 s10, 0x5423dd80
	s_mov_b32 s11, 0xbe0334ca
	s_delay_alu instid0(VALU_DEP_1) | instskip(NEXT) | instid1(VALU_DEP_1)
	v_fma_f64 v[7:8], v[5:6], v[9:10], -v[7:8]
	v_add_f64 v[7:8], v[7:8], s[10:11]
	s_mov_b32 s10, 0x652b82fe
	s_mov_b32 s11, 0x3ff71547
	s_delay_alu instid0(SALU_CYCLE_1) | instskip(SKIP_2) | instid1(VALU_DEP_2)
	v_mul_f64 v[11:12], v[20:21], s[10:11]
	s_mov_b32 s10, 0x9ad53528
	s_mov_b32 s11, 0xbe30790b
	v_fma_f64 v[9:10], v[5:6], v[7:8], -v[9:10]
	s_delay_alu instid0(VALU_DEP_2) | instskip(NEXT) | instid1(VALU_DEP_2)
	v_rndne_f64_e32 v[11:12], v[11:12]
	v_add_f64 v[9:10], v[9:10], s[10:11]
	s_mov_b32 s10, 0xfefa39ef
	s_mov_b32 s11, 0xbfe62e42
	s_delay_alu instid0(VALU_DEP_2) | instid1(SALU_CYCLE_1)
	v_fma_f64 v[24:25], v[11:12], s[10:11], v[20:21]
	s_mov_b32 s10, 0x3b39803f
	s_mov_b32 s11, 0xbc7abc9e
	s_delay_alu instid0(VALU_DEP_2) | instskip(NEXT) | instid1(VALU_DEP_2)
	v_fma_f64 v[7:8], v[5:6], v[9:10], -v[7:8]
	v_fma_f64 v[24:25], v[11:12], s[10:11], v[24:25]
	s_mov_b32 s10, 0x94bb46c1
	s_mov_b32 s11, 0xbe5c4153
	s_delay_alu instid0(VALU_DEP_2) | instid1(SALU_CYCLE_1)
	v_add_f64 v[7:8], v[7:8], s[10:11]
	s_mov_b32 s10, 0xfca7ab0c
	s_mov_b32 s11, 0x3e928af3
	s_delay_alu instid0(VALU_DEP_2) | instid1(SALU_CYCLE_1)
	v_fma_f64 v[26:27], v[24:25], s[12:13], s[10:11]
	s_mov_b32 s10, 0x623fde64
	s_mov_b32 s11, 0x3ec71dee
	s_delay_alu instid0(VALU_DEP_2) | instskip(NEXT) | instid1(VALU_DEP_2)
	v_fma_f64 v[9:10], v[5:6], v[7:8], -v[9:10]
	v_fma_f64 v[26:27], v[24:25], v[26:27], s[10:11]
	s_mov_b32 s10, 0x2e9e5443
	s_mov_b32 s11, 0xbe90dbfd
	s_delay_alu instid0(VALU_DEP_2) | instid1(SALU_CYCLE_1)
	;; [unrolled: 13-line block ×5, first 2 shown]
	v_add_f64 v[7:8], v[7:8], s[10:11]
	s_mov_b32 s10, 11
	s_mov_b32 s11, 0x3fe00000
	s_delay_alu instid0(VALU_DEP_2) | instid1(SALU_CYCLE_1)
	v_fma_f64 v[26:27], v[24:25], v[26:27], s[10:11]
	s_mov_b32 s10, 0xb55b1514
	s_mov_b32 s11, 0x3fe8ea18
	s_delay_alu instid0(VALU_DEP_2) | instskip(SKIP_2) | instid1(VALU_DEP_4)
	v_fma_f64 v[5:6], v[5:6], v[7:8], -v[9:10]
	v_fma_f64 v[7:8], v[34:35], v[30:31], v[32:33]
	v_cvt_i32_f64_e32 v32, v[11:12]
	v_fma_f64 v[26:27], v[24:25], v[26:27], 1.0
	s_delay_alu instid0(VALU_DEP_4) | instskip(NEXT) | instid1(VALU_DEP_4)
	v_add_f64 v[5:6], v[5:6], s[10:11]
	v_fma_f64 v[11:12], -v[7:8], v[7:8], v[28:29]
	s_delay_alu instid0(VALU_DEP_3) | instskip(NEXT) | instid1(VALU_DEP_3)
	v_fma_f64 v[24:25], v[24:25], v[26:27], 1.0
	v_add_f64 v[5:6], v[5:6], -v[9:10]
	s_delay_alu instid0(VALU_DEP_3) | instskip(NEXT) | instid1(VALU_DEP_3)
	v_fma_f64 v[7:8], v[11:12], v[30:31], v[7:8]
	v_ldexp_f64 v[9:10], v[24:25], v32
	s_delay_alu instid0(VALU_DEP_3) | instskip(SKIP_2) | instid1(VALU_DEP_4)
	v_mul_f64 v[11:12], v[5:6], 0.5
	v_cndmask_b32_e64 v5, 0, 0xffffff80, vcc_lo
	v_cmp_class_f64_e64 vcc_lo, v[28:29], 0x260
	v_cndmask_b32_e64 v6, 0x7ff00000, v10, s1
	s_delay_alu instid0(VALU_DEP_3) | instskip(SKIP_1) | instid1(VALU_DEP_1)
	v_ldexp_f64 v[7:8], v[7:8], v5
	v_cndmask_b32_e64 v5, 0, v9, s1
	v_mul_f64 v[9:10], v[5:6], v[11:12]
	s_delay_alu instid0(VALU_DEP_3) | instskip(NEXT) | instid1(VALU_DEP_1)
	v_dual_cndmask_b32 v8, v8, v29 :: v_dual_cndmask_b32 v7, v7, v28
	v_div_scale_f64 v[11:12], null, v[7:8], v[7:8], v[9:10]
	s_delay_alu instid0(VALU_DEP_1) | instskip(SKIP_2) | instid1(VALU_DEP_1)
	v_rcp_f64_e32 v[24:25], v[11:12]
	s_waitcnt_depctr 0xfff
	v_fma_f64 v[26:27], -v[11:12], v[24:25], 1.0
	v_fma_f64 v[24:25], v[24:25], v[26:27], v[24:25]
	s_delay_alu instid0(VALU_DEP_1) | instskip(NEXT) | instid1(VALU_DEP_1)
	v_fma_f64 v[26:27], -v[11:12], v[24:25], 1.0
	v_fma_f64 v[24:25], v[24:25], v[26:27], v[24:25]
	v_div_scale_f64 v[26:27], vcc_lo, v[9:10], v[7:8], v[9:10]
	s_delay_alu instid0(VALU_DEP_1) | instskip(NEXT) | instid1(VALU_DEP_1)
	v_mul_f64 v[28:29], v[26:27], v[24:25]
	v_fma_f64 v[11:12], -v[11:12], v[28:29], v[26:27]
	s_delay_alu instid0(VALU_DEP_1) | instskip(NEXT) | instid1(VALU_DEP_1)
	v_div_fmas_f64 v[11:12], v[11:12], v[24:25], v[28:29]
	v_div_fixup_f64 v[7:8], v[11:12], v[7:8], v[9:10]
.LBB0_17:
	s_or_b32 exec_lo, exec_lo, s2
	s_delay_alu instid0(VALU_DEP_2)
	v_frexp_mant_f64_e32 v[9:10], v[2:3]
	s_mov_b32 s3, 0x3fe55555
	s_mov_b32 s2, 0x55555555
	v_mov_b32_e32 v11, 0
	v_fma_f64 v[34:35], v[20:21], v[20:21], -2.0
	s_mov_b32 s10, 0x7a0399e0
	s_mov_b32 s11, 0xbce5dd51
	;; [unrolled: 1-line block ×4, first 2 shown]
	v_frexp_exp_i32_f64_e32 v38, v[2:3]
	v_cmp_eq_f64_e64 s1, 0x7ff00000, v[2:3]
	v_cmp_gt_f64_e32 vcc_lo, s[2:3], v[9:10]
	s_mov_b32 s2, 0x55555780
	s_delay_alu instid0(VALU_DEP_4) | instskip(SKIP_4) | instid1(VALU_DEP_1)
	v_fma_f64 v[36:37], v[34:35], s[12:13], s[10:11]
	s_mov_b32 s13, 0x3c603228
	s_mov_b32 s10, 0xddd0e045
	;; [unrolled: 1-line block ×3, first 2 shown]
	v_cndmask_b32_e64 v12, 0x3ff00000, 2.0, vcc_lo
	v_mul_f64 v[9:10], v[9:10], v[11:12]
	s_delay_alu instid0(VALU_DEP_1) | instskip(SKIP_1) | instid1(VALU_DEP_2)
	v_add_f64 v[11:12], v[9:10], 1.0
	v_add_f64 v[28:29], v[9:10], -1.0
	v_rcp_f64_e32 v[24:25], v[11:12]
	v_add_f64 v[30:31], v[11:12], -1.0
	s_delay_alu instid0(VALU_DEP_1) | instskip(SKIP_2) | instid1(VALU_DEP_1)
	v_add_f64 v[9:10], v[9:10], -v[30:31]
	s_waitcnt_depctr 0xfff
	v_fma_f64 v[26:27], -v[11:12], v[24:25], 1.0
	v_fma_f64 v[24:25], v[26:27], v[24:25], v[24:25]
	s_delay_alu instid0(VALU_DEP_1) | instskip(NEXT) | instid1(VALU_DEP_1)
	v_fma_f64 v[26:27], -v[11:12], v[24:25], 1.0
	v_fma_f64 v[24:25], v[26:27], v[24:25], v[24:25]
	s_delay_alu instid0(VALU_DEP_1) | instskip(NEXT) | instid1(VALU_DEP_1)
	v_mul_f64 v[26:27], v[28:29], v[24:25]
	v_mul_f64 v[32:33], v[11:12], v[26:27]
	s_delay_alu instid0(VALU_DEP_1) | instskip(NEXT) | instid1(VALU_DEP_1)
	v_fma_f64 v[11:12], v[26:27], v[11:12], -v[32:33]
	v_fma_f64 v[9:10], v[26:27], v[9:10], v[11:12]
	s_delay_alu instid0(VALU_DEP_1) | instskip(NEXT) | instid1(VALU_DEP_1)
	v_add_f64 v[11:12], v[32:33], v[9:10]
	v_add_f64 v[30:31], v[28:29], -v[11:12]
	v_add_f64 v[32:33], v[11:12], -v[32:33]
	s_delay_alu instid0(VALU_DEP_2) | instskip(NEXT) | instid1(VALU_DEP_2)
	v_add_f64 v[28:29], v[28:29], -v[30:31]
	v_add_f64 v[9:10], v[32:33], -v[9:10]
	s_delay_alu instid0(VALU_DEP_2) | instskip(SKIP_3) | instid1(VALU_DEP_2)
	v_add_f64 v[11:12], v[28:29], -v[11:12]
	v_fma_f64 v[28:29], v[34:35], v[36:37], s[12:13]
	s_mov_b32 s12, 0xbf559e2b
	s_mov_b32 s13, 0x3fc3ab76
	v_add_f64 v[9:10], v[9:10], v[11:12]
	s_delay_alu instid0(VALU_DEP_2) | instskip(SKIP_2) | instid1(VALU_DEP_2)
	v_add_f64 v[11:12], v[28:29], s[10:11]
	s_mov_b32 s10, 0xb84626ca
	s_mov_b32 s11, 0xbde3663b
	v_add_f64 v[9:10], v[30:31], v[9:10]
	s_delay_alu instid0(VALU_DEP_2) | instskip(NEXT) | instid1(VALU_DEP_2)
	v_fma_f64 v[28:29], v[34:35], v[11:12], -v[36:37]
	v_mul_f64 v[9:10], v[24:25], v[9:10]
	s_delay_alu instid0(VALU_DEP_2) | instskip(SKIP_2) | instid1(VALU_DEP_2)
	v_add_f64 v[24:25], v[28:29], s[10:11]
	s_mov_b32 s10, 0x145c31d0
	s_mov_b32 s11, 0xbe57c41d
	v_add_f64 v[28:29], v[26:27], v[9:10]
	s_delay_alu instid0(VALU_DEP_2) | instskip(NEXT) | instid1(VALU_DEP_2)
	v_fma_f64 v[11:12], v[34:35], v[24:25], -v[11:12]
	v_mul_f64 v[30:31], v[28:29], v[28:29]
	s_delay_alu instid0(VALU_DEP_2) | instskip(SKIP_3) | instid1(VALU_DEP_3)
	v_add_f64 v[11:12], v[11:12], s[10:11]
	s_mov_b32 s10, 0x6b47b09a
	s_mov_b32 s11, 0x3fc38538
	v_add_f64 v[26:27], v[28:29], -v[26:27]
	v_fma_f64 v[32:33], v[30:31], s[12:13], s[10:11]
	s_delay_alu instid0(VALU_DEP_3) | instskip(SKIP_3) | instid1(VALU_DEP_4)
	v_fma_f64 v[24:25], v[34:35], v[11:12], -v[24:25]
	s_mov_b32 s10, 0xd7f4df2e
	s_mov_b32 s11, 0x3fc7474d
	v_mul_f64 v[36:37], v[28:29], v[30:31]
	v_add_f64 v[9:10], v[9:10], -v[26:27]
	s_delay_alu instid0(VALU_DEP_4)
	v_fma_f64 v[32:33], v[30:31], v[32:33], s[10:11]
	s_mov_b32 s10, 0x2c832e3a
	s_mov_b32 s11, 0xbec469b3
	s_delay_alu instid0(VALU_DEP_4) | instid1(SALU_CYCLE_1)
	v_add_f64 v[24:25], v[24:25], s[10:11]
	s_mov_b32 s10, 0x16291751
	s_mov_b32 s11, 0x3fcc71c0
	s_delay_alu instid0(VALU_DEP_3) | instskip(NEXT) | instid1(VALU_DEP_3)
	v_ldexp_f64 v[9:10], v[9:10], 1
	v_fma_f64 v[32:33], v[30:31], v[32:33], s[10:11]
	s_mov_b32 s10, 0x9b27acf1
	s_mov_b32 s11, 0x3fd24924
	s_delay_alu instid0(VALU_DEP_3) | instskip(NEXT) | instid1(VALU_DEP_2)
	v_fma_f64 v[11:12], v[34:35], v[24:25], -v[11:12]
	v_fma_f64 v[32:33], v[30:31], v[32:33], s[10:11]
	s_mov_b32 s10, 0xe5a3bd02
	s_mov_b32 s11, 0xbf26ade2
	s_delay_alu instid0(VALU_DEP_2) | instid1(SALU_CYCLE_1)
	v_add_f64 v[11:12], v[11:12], s[10:11]
	s_mov_b32 s10, 0x998ef7b6
	s_mov_b32 s11, 0x3fd99999
	s_delay_alu instid0(VALU_DEP_2) | instid1(SALU_CYCLE_1)
	v_fma_f64 v[32:33], v[30:31], v[32:33], s[10:11]
	s_delay_alu instid0(VALU_DEP_2) | instskip(NEXT) | instid1(VALU_DEP_2)
	v_fma_f64 v[24:25], v[34:35], v[11:12], -v[24:25]
	v_fma_f64 v[30:31], v[30:31], v[32:33], s[2:3]
	s_mov_b32 s2, 0x9d7d4192
	s_mov_b32 s3, 0xbf7c9293
	v_ldexp_f64 v[32:33], v[28:29], 1
	s_delay_alu instid0(VALU_DEP_3) | instskip(SKIP_2) | instid1(VALU_DEP_3)
	v_add_f64 v[24:25], v[24:25], s[2:3]
	s_mov_b32 s2, 0x43c1db74
	s_mov_b32 s3, 0xbfbf6372
	v_mul_f64 v[30:31], v[36:37], v[30:31]
	v_subrev_co_ci_u32_e32 v36, vcc_lo, 0, v38, vcc_lo
	s_delay_alu instid0(VALU_DEP_3) | instskip(NEXT) | instid1(VALU_DEP_2)
	v_fma_f64 v[11:12], v[34:35], v[24:25], -v[11:12]
	v_cvt_f64_i32_e32 v[36:37], v36
	s_delay_alu instid0(VALU_DEP_4) | instskip(NEXT) | instid1(VALU_DEP_3)
	v_add_f64 v[28:29], v[32:33], v[30:31]
	v_add_f64 v[11:12], v[11:12], s[2:3]
	s_mov_b32 s2, 0xfefa39ef
	s_mov_b32 s3, 0x3fe62e42
	s_delay_alu instid0(VALU_DEP_3) | instid1(SALU_CYCLE_1)
	v_mul_f64 v[38:39], v[36:37], s[2:3]
	s_delay_alu instid0(VALU_DEP_3) | instskip(NEXT) | instid1(VALU_DEP_3)
	v_add_f64 v[26:27], v[28:29], -v[32:33]
	v_fma_f64 v[24:25], v[34:35], v[11:12], -v[24:25]
	s_delay_alu instid0(VALU_DEP_3) | instskip(SKIP_2) | instid1(VALU_DEP_3)
	v_fma_f64 v[32:33], v[36:37], s[2:3], -v[38:39]
	s_mov_b32 s2, 0x757b0dd4
	s_mov_b32 s3, 0xbfd69a1b
	v_add_f64 v[26:27], v[30:31], -v[26:27]
	s_delay_alu instid0(VALU_DEP_3)
	v_add_f64 v[24:25], v[24:25], s[2:3]
	s_mov_b32 s2, 0x3b39803f
	s_mov_b32 s3, 0x3c7abc9e
	s_delay_alu instid0(VALU_DEP_3) | instid1(SALU_CYCLE_1)
	v_fma_f64 v[30:31], v[36:37], s[2:3], v[32:33]
	s_mov_b32 s2, 0x361008ca
	s_mov_b32 s3, 0x3ff867a1
	s_delay_alu instid0(VALU_DEP_3) | instskip(NEXT) | instid1(VALU_DEP_3)
	v_add_f64 v[9:10], v[9:10], v[26:27]
	v_fma_f64 v[24:25], v[34:35], v[24:25], -v[11:12]
	s_delay_alu instid0(VALU_DEP_3) | instskip(NEXT) | instid1(VALU_DEP_3)
	v_add_f64 v[26:27], v[38:39], v[30:31]
	v_add_f64 v[32:33], v[28:29], v[9:10]
	s_delay_alu instid0(VALU_DEP_3) | instskip(NEXT) | instid1(VALU_DEP_3)
	v_add_f64 v[24:25], v[24:25], s[2:3]
	v_add_f64 v[36:37], v[26:27], -v[38:39]
	s_delay_alu instid0(VALU_DEP_3) | instskip(SKIP_1) | instid1(VALU_DEP_4)
	v_add_f64 v[34:35], v[26:27], v[32:33]
	v_add_f64 v[28:29], v[32:33], -v[28:29]
	v_add_f64 v[11:12], v[24:25], -v[11:12]
	s_delay_alu instid0(VALU_DEP_4) | instskip(NEXT) | instid1(VALU_DEP_4)
	v_add_f64 v[30:31], v[30:31], -v[36:37]
	v_add_f64 v[24:25], v[34:35], -v[26:27]
	s_delay_alu instid0(VALU_DEP_4) | instskip(NEXT) | instid1(VALU_DEP_4)
	v_add_f64 v[9:10], v[9:10], -v[28:29]
	v_mul_f64 v[11:12], v[11:12], 0.5
	s_delay_alu instid0(VALU_DEP_3) | instskip(SKIP_1) | instid1(VALU_DEP_4)
	v_add_f64 v[38:39], v[34:35], -v[24:25]
	v_add_f64 v[24:25], v[32:33], -v[24:25]
	v_add_f64 v[32:33], v[30:31], v[9:10]
	s_delay_alu instid0(VALU_DEP_4) | instskip(NEXT) | instid1(VALU_DEP_4)
	v_div_scale_f64 v[48:49], null, v[20:21], v[20:21], v[11:12]
	v_add_f64 v[26:27], v[26:27], -v[38:39]
	s_delay_alu instid0(VALU_DEP_3) | instskip(NEXT) | instid1(VALU_DEP_3)
	v_add_f64 v[36:37], v[32:33], -v[30:31]
	v_rcp_f64_e32 v[28:29], v[48:49]
	s_delay_alu instid0(VALU_DEP_2) | instskip(NEXT) | instid1(VALU_DEP_2)
	v_add_f64 v[24:25], v[24:25], v[26:27]
	v_add_f64 v[9:10], v[9:10], -v[36:37]
	s_waitcnt_depctr 0xfff
	v_fma_f64 v[26:27], -v[48:49], v[28:29], 1.0
	v_add_f64 v[24:25], v[32:33], v[24:25]
	s_delay_alu instid0(VALU_DEP_2) | instskip(SKIP_1) | instid1(VALU_DEP_3)
	v_fma_f64 v[26:27], v[28:29], v[26:27], v[28:29]
	v_add_f64 v[28:29], v[32:33], -v[36:37]
	v_add_f64 v[32:33], v[34:35], v[24:25]
	s_delay_alu instid0(VALU_DEP_3) | instskip(NEXT) | instid1(VALU_DEP_3)
	v_fma_f64 v[38:39], -v[48:49], v[26:27], 1.0
	v_add_f64 v[28:29], v[30:31], -v[28:29]
	s_delay_alu instid0(VALU_DEP_3) | instskip(SKIP_1) | instid1(VALU_DEP_4)
	v_add_f64 v[30:31], v[32:33], -v[34:35]
	v_div_scale_f64 v[34:35], vcc_lo, v[11:12], v[20:21], v[11:12]
	v_fma_f64 v[26:27], v[26:27], v[38:39], v[26:27]
	s_delay_alu instid0(VALU_DEP_4) | instskip(NEXT) | instid1(VALU_DEP_4)
	v_add_f64 v[9:10], v[9:10], v[28:29]
	v_add_f64 v[24:25], v[24:25], -v[30:31]
	s_delay_alu instid0(VALU_DEP_3) | instskip(NEXT) | instid1(VALU_DEP_2)
	v_mul_f64 v[28:29], v[34:35], v[26:27]
	v_add_f64 v[9:10], v[9:10], v[24:25]
	s_delay_alu instid0(VALU_DEP_2) | instskip(NEXT) | instid1(VALU_DEP_2)
	v_fma_f64 v[24:25], -v[48:49], v[28:29], v[34:35]
	v_add_f64 v[9:10], v[32:33], v[9:10]
	s_delay_alu instid0(VALU_DEP_2) | instskip(SKIP_1) | instid1(VALU_DEP_3)
	v_div_fmas_f64 v[24:25], v[24:25], v[26:27], v[28:29]
	v_cmp_neq_f64_e32 vcc_lo, 0, v[2:3]
	v_cndmask_b32_e64 v9, v9, v2, s1
	s_delay_alu instid0(VALU_DEP_4) | instskip(NEXT) | instid1(VALU_DEP_4)
	v_cndmask_b32_e64 v10, v10, v3, s1
	v_div_fixup_f64 v[2:3], v[24:25], v[20:21], v[11:12]
	s_delay_alu instid0(VALU_DEP_2) | instskip(NEXT) | instid1(VALU_DEP_4)
	v_cndmask_b32_e32 v10, 0xfff00000, v10, vcc_lo
	v_cndmask_b32_e32 v9, 0, v9, vcc_lo
                                        ; implicit-def: $vgpr20_vgpr21
	s_delay_alu instid0(VALU_DEP_1) | instskip(NEXT) | instid1(VALU_DEP_1)
	v_fma_f64 v[2:3], v[9:10], v[7:8], v[2:3]
	v_mul_f64 v[5:6], v[5:6], v[2:3]
.LBB0_18:
	s_and_not1_saveexec_b32 s1, s8
	s_cbranch_execz .LBB0_20
; %bb.19:
	v_div_scale_f64 v[2:3], null, v[20:21], v[20:21], 0x40200000
	v_div_scale_f64 v[9:10], vcc_lo, 0x40200000, v[20:21], 0x40200000
	s_mov_b32 s2, 0x838f5ed3
	s_mov_b32 s3, 0x3c74af1a
	;; [unrolled: 1-line block ×4, first 2 shown]
	s_delay_alu instid0(VALU_DEP_2) | instskip(SKIP_2) | instid1(VALU_DEP_1)
	v_rcp_f64_e32 v[5:6], v[2:3]
	s_waitcnt_depctr 0xfff
	v_fma_f64 v[7:8], -v[2:3], v[5:6], 1.0
	v_fma_f64 v[5:6], v[5:6], v[7:8], v[5:6]
	s_delay_alu instid0(VALU_DEP_1) | instskip(NEXT) | instid1(VALU_DEP_1)
	v_fma_f64 v[7:8], -v[2:3], v[5:6], 1.0
	v_fma_f64 v[5:6], v[5:6], v[7:8], v[5:6]
	s_delay_alu instid0(VALU_DEP_1) | instskip(NEXT) | instid1(VALU_DEP_1)
	v_mul_f64 v[7:8], v[9:10], v[5:6]
	v_fma_f64 v[2:3], -v[2:3], v[7:8], v[9:10]
	s_delay_alu instid0(VALU_DEP_1) | instskip(SKIP_1) | instid1(VALU_DEP_2)
	v_div_fmas_f64 v[2:3], v[2:3], v[5:6], v[7:8]
	v_cmp_gt_f64_e32 vcc_lo, 0x10000000, v[20:21]
	v_div_fixup_f64 v[2:3], v[2:3], v[20:21], 0x40200000
	v_cndmask_b32_e64 v9, 0, 1, vcc_lo
	s_delay_alu instid0(VALU_DEP_1) | instskip(NEXT) | instid1(VALU_DEP_1)
	v_lshlrev_b32_e32 v9, 8, v9
	v_ldexp_f64 v[9:10], v[20:21], v9
	s_delay_alu instid0(VALU_DEP_4) | instskip(NEXT) | instid1(VALU_DEP_2)
	v_add_f64 v[2:3], v[2:3], -2.0
	v_rsq_f64_e32 v[11:12], v[9:10]
	s_delay_alu instid0(VALU_DEP_1)
	v_fma_f64 v[5:6], v[2:3], s[8:9], s[2:3]
	s_mov_b32 s9, 0x3c5a8c5d
	s_mov_b32 s2, 0x17771d52
	;; [unrolled: 1-line block ×3, first 2 shown]
	s_waitcnt_depctr 0xfff
	v_mul_f64 v[20:21], v[9:10], v[11:12]
	v_mul_f64 v[11:12], v[11:12], 0.5
	v_fma_f64 v[7:8], v[2:3], v[5:6], s[8:9]
	s_delay_alu instid0(VALU_DEP_2) | instskip(NEXT) | instid1(VALU_DEP_2)
	v_fma_f64 v[24:25], -v[11:12], v[20:21], 0.5
	v_add_f64 v[7:8], v[7:8], s[2:3]
	s_mov_b32 s2, 0x44ee2c0b
	s_mov_b32 s3, 0x3caa7d5e
	s_delay_alu instid0(VALU_DEP_2) | instskip(SKIP_1) | instid1(VALU_DEP_3)
	v_fma_f64 v[20:21], v[20:21], v[24:25], v[20:21]
	v_fma_f64 v[11:12], v[11:12], v[24:25], v[11:12]
	v_fma_f64 v[5:6], v[2:3], v[7:8], -v[5:6]
	s_delay_alu instid0(VALU_DEP_3) | instskip(NEXT) | instid1(VALU_DEP_2)
	v_fma_f64 v[24:25], -v[20:21], v[20:21], v[9:10]
	v_add_f64 v[5:6], v[5:6], s[2:3]
	s_mov_b32 s2, 0xd8758ef2
	s_mov_b32 s3, 0xbcc5d2a3
	s_delay_alu instid0(VALU_DEP_2) | instskip(NEXT) | instid1(VALU_DEP_2)
	v_fma_f64 v[20:21], v[24:25], v[11:12], v[20:21]
	v_fma_f64 v[7:8], v[2:3], v[5:6], -v[7:8]
	s_delay_alu instid0(VALU_DEP_1) | instskip(SKIP_2) | instid1(VALU_DEP_1)
	v_add_f64 v[7:8], v[7:8], s[2:3]
	s_mov_b32 s2, 0xefee81bd
	s_mov_b32 s3, 0x3ce25ced
	v_fma_f64 v[5:6], v[2:3], v[7:8], -v[5:6]
	s_delay_alu instid0(VALU_DEP_1) | instskip(SKIP_2) | instid1(VALU_DEP_1)
	v_add_f64 v[5:6], v[5:6], s[2:3]
	s_mov_b32 s2, 0x364185ab
	s_mov_b32 s3, 0xbcff9d52
	;; [unrolled: 5-line block ×20, first 2 shown]
	v_fma_f64 v[2:3], v[2:3], v[5:6], -v[7:8]
	v_fma_f64 v[5:6], -v[20:21], v[20:21], v[9:10]
	s_delay_alu instid0(VALU_DEP_2) | instskip(NEXT) | instid1(VALU_DEP_2)
	v_add_f64 v[2:3], v[2:3], s[2:3]
	v_fma_f64 v[5:6], v[5:6], v[11:12], v[20:21]
	s_delay_alu instid0(VALU_DEP_2) | instskip(SKIP_2) | instid1(VALU_DEP_2)
	v_add_f64 v[2:3], v[2:3], -v[7:8]
	v_cndmask_b32_e64 v7, 0, 0xffffff80, vcc_lo
	v_cmp_class_f64_e64 vcc_lo, v[9:10], 0x260
	v_ldexp_f64 v[5:6], v[5:6], v7
	s_delay_alu instid0(VALU_DEP_4) | instskip(NEXT) | instid1(VALU_DEP_2)
	v_mul_f64 v[2:3], v[2:3], 0.5
	v_dual_cndmask_b32 v6, v6, v10 :: v_dual_cndmask_b32 v5, v5, v9
	s_delay_alu instid0(VALU_DEP_1) | instskip(NEXT) | instid1(VALU_DEP_1)
	v_div_scale_f64 v[7:8], null, v[5:6], v[5:6], v[2:3]
	v_rcp_f64_e32 v[9:10], v[7:8]
	s_waitcnt_depctr 0xfff
	v_fma_f64 v[11:12], -v[7:8], v[9:10], 1.0
	s_delay_alu instid0(VALU_DEP_1) | instskip(NEXT) | instid1(VALU_DEP_1)
	v_fma_f64 v[9:10], v[9:10], v[11:12], v[9:10]
	v_fma_f64 v[11:12], -v[7:8], v[9:10], 1.0
	s_delay_alu instid0(VALU_DEP_1) | instskip(SKIP_1) | instid1(VALU_DEP_1)
	v_fma_f64 v[9:10], v[9:10], v[11:12], v[9:10]
	v_div_scale_f64 v[11:12], vcc_lo, v[2:3], v[5:6], v[2:3]
	v_mul_f64 v[20:21], v[11:12], v[9:10]
	s_delay_alu instid0(VALU_DEP_1) | instskip(NEXT) | instid1(VALU_DEP_1)
	v_fma_f64 v[7:8], -v[7:8], v[20:21], v[11:12]
	v_div_fmas_f64 v[7:8], v[7:8], v[9:10], v[20:21]
	s_delay_alu instid0(VALU_DEP_1)
	v_div_fixup_f64 v[5:6], v[7:8], v[5:6], v[2:3]
.LBB0_20:
	s_or_b32 exec_lo, exec_lo, s1
.LBB0_21:
	s_delay_alu instid0(SALU_CYCLE_1)
	s_or_b32 exec_lo, exec_lo, s7
.LBB0_22:
	s_delay_alu instid0(SALU_CYCLE_1) | instskip(NEXT) | instid1(SALU_CYCLE_1)
	s_or_b32 exec_lo, exec_lo, s6
	s_or_b32 exec_lo, exec_lo, s5
	s_delay_alu instid0(SALU_CYCLE_1)
	s_mov_b32 s5, exec_lo
	v_cmpx_lt_i32_e64 v23, v4
	s_cbranch_execz .LBB0_36
.LBB0_23:
	v_mov_b32_e32 v7, 0
	v_mov_b32_e32 v8, 0x7ff00000
	s_mov_b32 s6, exec_lo
	s_waitcnt vmcnt(0) lgkmcnt(0)
	v_cmpx_neq_f64_e32 0, v[18:19]
	s_cbranch_execz .LBB0_35
; %bb.24:
	v_mov_b32_e32 v7, 0
	v_mov_b32_e32 v8, 0x7ff80000
	s_mov_b32 s7, exec_lo
	v_cmpx_ngt_f64_e32 0, v[18:19]
	s_cbranch_execz .LBB0_34
; %bb.25:
	s_mov_b32 s1, exec_lo
	v_cmpx_ge_f64_e32 2.0, v[18:19]
	s_xor_b32 s8, exec_lo, s1
	s_cbranch_execz .LBB0_31
; %bb.26:
	v_mul_f64 v[2:3], v[18:19], 0.5
	s_mov_b32 s1, exec_lo
                                        ; implicit-def: $vgpr20_vgpr21
                                        ; implicit-def: $vgpr7_vgpr8
	v_cmpx_ge_f64_e32 0x40200000, v[18:19]
	s_xor_b32 s1, exec_lo, s1
	s_cbranch_execz .LBB0_28
; %bb.27:
	s_delay_alu instid0(VALU_DEP_2)
	v_add_f64 v[7:8], v[2:3], -2.0
	s_mov_b32 s2, 0xc38a0576
	s_mov_b32 s3, 0xbc7857d0
	;; [unrolled: 1-line block ×4, first 2 shown]
	v_cmp_nlt_f64_e32 vcc_lo, 0x40900000, v[18:19]
	s_delay_alu instid0(VALU_DEP_2) | instskip(SKIP_3) | instid1(VALU_DEP_1)
	v_fma_f64 v[20:21], v[7:8], s[10:11], s[2:3]
	s_mov_b32 s11, 0xbc499f2a
	s_mov_b32 s2, 0xe593bfac
	;; [unrolled: 1-line block ×3, first 2 shown]
	v_fma_f64 v[24:25], v[7:8], v[20:21], s[10:11]
	s_mov_b32 s10, 0x6a5dcb37
	s_mov_b32 s11, 0x3e5ade15
	s_delay_alu instid0(VALU_DEP_1) | instskip(SKIP_2) | instid1(VALU_DEP_1)
	v_add_f64 v[24:25], v[24:25], s[2:3]
	s_mov_b32 s2, 0x7e0d1573
	s_mov_b32 s3, 0xbcd3eaaa
	v_fma_f64 v[20:21], v[7:8], v[24:25], -v[20:21]
	s_delay_alu instid0(VALU_DEP_1) | instskip(SKIP_2) | instid1(VALU_DEP_1)
	v_add_f64 v[20:21], v[20:21], s[2:3]
	s_mov_b32 s2, 0x615290c
	s_mov_b32 s3, 0x3d011d7f
	v_fma_f64 v[24:25], v[7:8], v[20:21], -v[24:25]
	;; [unrolled: 5-line block ×19, first 2 shown]
	s_delay_alu instid0(VALU_DEP_1) | instskip(SKIP_2) | instid1(SALU_CYCLE_1)
	v_add_f64 v[20:21], v[20:21], s[2:3]
	s_mov_b32 s2, 0x652b82fe
	s_mov_b32 s3, 0x3ff71547
	v_mul_f64 v[26:27], v[18:19], s[2:3]
	s_mov_b32 s2, 0x49d3a1b4
	s_mov_b32 s3, 0x3f710653
	s_delay_alu instid0(VALU_DEP_2) | instskip(NEXT) | instid1(VALU_DEP_2)
	v_fma_f64 v[24:25], v[7:8], v[20:21], -v[24:25]
	v_rndne_f64_e32 v[26:27], v[26:27]
	s_delay_alu instid0(VALU_DEP_2)
	v_add_f64 v[24:25], v[24:25], s[2:3]
	s_mov_b32 s2, 0xfefa39ef
	s_mov_b32 s3, 0xbfe62e42
	s_delay_alu instid0(VALU_DEP_2) | instid1(SALU_CYCLE_1)
	v_fma_f64 v[28:29], v[26:27], s[2:3], v[18:19]
	s_mov_b32 s2, 0x7913a26a
	s_mov_b32 s3, 0xbf85a29f
	s_delay_alu instid0(VALU_DEP_2) | instskip(NEXT) | instid1(VALU_DEP_1)
	v_fma_f64 v[20:21], v[7:8], v[24:25], -v[20:21]
	v_add_f64 v[20:21], v[20:21], s[2:3]
	s_mov_b32 s2, 0x3b39803f
	s_mov_b32 s3, 0xbc7abc9e
	s_delay_alu instid0(VALU_DEP_3) | instid1(SALU_CYCLE_1)
	v_fma_f64 v[28:29], v[26:27], s[2:3], v[28:29]
	s_mov_b32 s2, 0xfca7ab0c
	s_mov_b32 s3, 0x3e928af3
	s_delay_alu instid0(VALU_DEP_2) | instskip(NEXT) | instid1(VALU_DEP_2)
	v_fma_f64 v[24:25], v[7:8], v[20:21], -v[24:25]
	v_fma_f64 v[30:31], v[28:29], s[10:11], s[2:3]
	s_mov_b32 s2, 0xe7bb2349
	s_mov_b32 s3, 0x3f9951e3
	s_delay_alu instid0(VALU_DEP_2) | instid1(SALU_CYCLE_1)
	v_add_f64 v[24:25], v[24:25], s[2:3]
	s_mov_b32 s2, 0x623fde64
	s_mov_b32 s3, 0x3ec71dee
	s_delay_alu instid0(VALU_DEP_2) | instid1(SALU_CYCLE_1)
	v_fma_f64 v[30:31], v[28:29], v[30:31], s[2:3]
	s_mov_b32 s2, 0x7c89e6b0
	s_mov_b32 s3, 0x3efa0199
	s_delay_alu instid0(VALU_DEP_2) | instskip(NEXT) | instid1(VALU_DEP_2)
	v_fma_f64 v[20:21], v[7:8], v[24:25], -v[20:21]
	v_fma_f64 v[30:31], v[28:29], v[30:31], s[2:3]
	s_mov_b32 s2, 0x537c9ebc
	s_mov_b32 s3, 0xbfab1bbc
	s_delay_alu instid0(VALU_DEP_2) | instid1(SALU_CYCLE_1)
	v_add_f64 v[20:21], v[20:21], s[2:3]
	s_mov_b32 s2, 0x14761f6e
	s_mov_b32 s3, 0x3f2a01a0
	s_delay_alu instid0(VALU_DEP_2) | instid1(SALU_CYCLE_1)
	;; [unrolled: 13-line block ×4, first 2 shown]
	v_fma_f64 v[30:31], v[28:29], v[30:31], s[2:3]
	s_mov_b32 s2, 11
	s_mov_b32 s3, 0x3fe00000
	s_delay_alu instid0(VALU_DEP_2) | instskip(NEXT) | instid1(VALU_DEP_2)
	v_fma_f64 v[7:8], v[7:8], v[20:21], -v[24:25]
	v_fma_f64 v[20:21], v[28:29], v[30:31], s[2:3]
	s_mov_b32 s2, 0x724a7ffa
	s_mov_b32 s3, 0x3fd02a63
	s_delay_alu instid0(VALU_DEP_2) | instid1(SALU_CYCLE_1)
	v_add_f64 v[7:8], v[7:8], s[2:3]
	s_delay_alu instid0(VALU_DEP_2) | instskip(NEXT) | instid1(VALU_DEP_2)
	v_fma_f64 v[20:21], v[28:29], v[20:21], 1.0
	v_add_f64 v[7:8], v[7:8], -v[24:25]
	v_cvt_i32_f64_e32 v24, v[26:27]
	s_delay_alu instid0(VALU_DEP_3) | instskip(NEXT) | instid1(VALU_DEP_3)
	v_fma_f64 v[20:21], v[28:29], v[20:21], 1.0
	v_mul_f64 v[7:8], v[7:8], 0.5
	s_delay_alu instid0(VALU_DEP_2) | instskip(NEXT) | instid1(VALU_DEP_2)
	v_ldexp_f64 v[20:21], v[20:21], v24
	v_mul_f64 v[24:25], v[18:19], v[7:8]
	s_delay_alu instid0(VALU_DEP_2) | instskip(NEXT) | instid1(VALU_DEP_3)
	v_cndmask_b32_e32 v8, 0x7ff00000, v21, vcc_lo
	v_cndmask_b32_e32 v7, 0, v20, vcc_lo
	s_delay_alu instid0(VALU_DEP_1)
	v_mul_f64 v[20:21], v[7:8], v[24:25]
.LBB0_28:
	s_and_not1_saveexec_b32 s2, s1
	s_cbranch_execz .LBB0_30
; %bb.29:
	v_div_scale_f64 v[7:8], null, v[18:19], v[18:19], 0x40400000
	v_div_scale_f64 v[26:27], vcc_lo, 0x40400000, v[18:19], 0x40400000
	s_mov_b32 s10, 0xea87b950
	s_mov_b32 s11, 0x3c545b8a
	;; [unrolled: 1-line block ×4, first 2 shown]
	v_cmp_nlt_f64_e64 s1, 0x40900000, v[18:19]
	s_delay_alu instid0(VALU_DEP_3) | instskip(SKIP_2) | instid1(VALU_DEP_1)
	v_rcp_f64_e32 v[20:21], v[7:8]
	s_waitcnt_depctr 0xfff
	v_fma_f64 v[24:25], -v[7:8], v[20:21], 1.0
	v_fma_f64 v[20:21], v[20:21], v[24:25], v[20:21]
	s_delay_alu instid0(VALU_DEP_1) | instskip(NEXT) | instid1(VALU_DEP_1)
	v_fma_f64 v[24:25], -v[7:8], v[20:21], 1.0
	v_fma_f64 v[20:21], v[20:21], v[24:25], v[20:21]
	s_delay_alu instid0(VALU_DEP_1) | instskip(NEXT) | instid1(VALU_DEP_1)
	v_mul_f64 v[24:25], v[26:27], v[20:21]
	v_fma_f64 v[7:8], -v[7:8], v[24:25], v[26:27]
	s_delay_alu instid0(VALU_DEP_1) | instskip(SKIP_1) | instid1(VALU_DEP_2)
	v_div_fmas_f64 v[7:8], v[7:8], v[20:21], v[24:25]
	v_cmp_gt_f64_e32 vcc_lo, 0x10000000, v[18:19]
	v_div_fixup_f64 v[7:8], v[7:8], v[18:19], 0x40400000
	v_cndmask_b32_e64 v32, 0, 1, vcc_lo
	s_delay_alu instid0(VALU_DEP_1) | instskip(NEXT) | instid1(VALU_DEP_1)
	v_lshlrev_b32_e32 v32, 8, v32
	v_ldexp_f64 v[32:33], v[18:19], v32
	s_delay_alu instid0(VALU_DEP_4) | instskip(NEXT) | instid1(VALU_DEP_2)
	v_add_f64 v[7:8], v[7:8], -2.0
	v_rsq_f64_e32 v[34:35], v[32:33]
	s_delay_alu instid0(VALU_DEP_1)
	v_fma_f64 v[20:21], v[7:8], s[12:13], s[10:11]
	s_mov_b32 s13, 0xbc61556d
	s_mov_b32 s10, 0xb2532277
	;; [unrolled: 1-line block ×3, first 2 shown]
	s_waitcnt_depctr 0xfff
	v_mul_f64 v[36:37], v[32:33], v[34:35]
	v_mul_f64 v[34:35], v[34:35], 0.5
	v_fma_f64 v[24:25], v[7:8], v[20:21], s[12:13]
	s_mov_b32 s12, 0x6a5dcb37
	s_mov_b32 s13, 0x3e5ade15
	s_delay_alu instid0(VALU_DEP_2) | instskip(NEXT) | instid1(VALU_DEP_2)
	v_fma_f64 v[38:39], -v[34:35], v[36:37], 0.5
	v_add_f64 v[24:25], v[24:25], s[10:11]
	s_mov_b32 s10, 0x9c773320
	s_mov_b32 s11, 0xbc82806c
	s_delay_alu instid0(VALU_DEP_2) | instskip(SKIP_1) | instid1(VALU_DEP_3)
	v_fma_f64 v[36:37], v[36:37], v[38:39], v[36:37]
	v_fma_f64 v[34:35], v[34:35], v[38:39], v[34:35]
	v_fma_f64 v[20:21], v[7:8], v[24:25], -v[20:21]
	s_delay_alu instid0(VALU_DEP_3) | instskip(NEXT) | instid1(VALU_DEP_2)
	v_fma_f64 v[38:39], -v[36:37], v[36:37], v[32:33]
	v_add_f64 v[20:21], v[20:21], s[10:11]
	s_mov_b32 s10, 0xfceb588a
	s_mov_b32 s11, 0x3cb55915
	s_delay_alu instid0(VALU_DEP_1) | instskip(NEXT) | instid1(VALU_DEP_1)
	v_fma_f64 v[24:25], v[7:8], v[20:21], -v[24:25]
	v_add_f64 v[24:25], v[24:25], s[10:11]
	s_mov_b32 s10, 0x5f04a2d1
	s_mov_b32 s11, 0x3cb7d68e
	s_delay_alu instid0(VALU_DEP_1) | instskip(NEXT) | instid1(VALU_DEP_1)
	v_fma_f64 v[20:21], v[7:8], v[24:25], -v[20:21]
	;; [unrolled: 5-line block ×14, first 2 shown]
	v_add_f64 v[20:21], v[20:21], s[10:11]
	s_mov_b32 s10, 0x652b82fe
	s_mov_b32 s11, 0x3ff71547
	s_delay_alu instid0(SALU_CYCLE_1) | instskip(SKIP_2) | instid1(VALU_DEP_2)
	v_mul_f64 v[26:27], v[18:19], s[10:11]
	s_mov_b32 s10, 0x9ad53528
	s_mov_b32 s11, 0xbe30790b
	v_fma_f64 v[24:25], v[7:8], v[20:21], -v[24:25]
	s_delay_alu instid0(VALU_DEP_2) | instskip(NEXT) | instid1(VALU_DEP_2)
	v_rndne_f64_e32 v[26:27], v[26:27]
	v_add_f64 v[24:25], v[24:25], s[10:11]
	s_mov_b32 s10, 0xfefa39ef
	s_mov_b32 s11, 0xbfe62e42
	s_delay_alu instid0(VALU_DEP_2) | instid1(SALU_CYCLE_1)
	v_fma_f64 v[28:29], v[26:27], s[10:11], v[18:19]
	s_mov_b32 s10, 0x3b39803f
	s_mov_b32 s11, 0xbc7abc9e
	s_delay_alu instid0(VALU_DEP_2) | instskip(NEXT) | instid1(VALU_DEP_2)
	v_fma_f64 v[20:21], v[7:8], v[24:25], -v[20:21]
	v_fma_f64 v[28:29], v[26:27], s[10:11], v[28:29]
	s_mov_b32 s10, 0x94bb46c1
	s_mov_b32 s11, 0xbe5c4153
	s_delay_alu instid0(VALU_DEP_2) | instid1(SALU_CYCLE_1)
	v_add_f64 v[20:21], v[20:21], s[10:11]
	s_mov_b32 s10, 0xfca7ab0c
	s_mov_b32 s11, 0x3e928af3
	s_delay_alu instid0(VALU_DEP_2) | instid1(SALU_CYCLE_1)
	v_fma_f64 v[30:31], v[28:29], s[12:13], s[10:11]
	s_mov_b32 s10, 0x623fde64
	s_mov_b32 s11, 0x3ec71dee
	s_delay_alu instid0(VALU_DEP_2) | instskip(NEXT) | instid1(VALU_DEP_2)
	v_fma_f64 v[24:25], v[7:8], v[20:21], -v[24:25]
	v_fma_f64 v[30:31], v[28:29], v[30:31], s[10:11]
	s_mov_b32 s10, 0x2e9e5443
	s_mov_b32 s11, 0xbe90dbfd
	s_delay_alu instid0(VALU_DEP_2) | instid1(SALU_CYCLE_1)
	;; [unrolled: 13-line block ×5, first 2 shown]
	v_add_f64 v[20:21], v[20:21], s[10:11]
	s_mov_b32 s10, 11
	s_mov_b32 s11, 0x3fe00000
	s_delay_alu instid0(VALU_DEP_2) | instid1(SALU_CYCLE_1)
	v_fma_f64 v[30:31], v[28:29], v[30:31], s[10:11]
	s_mov_b32 s10, 0xb55b1514
	s_mov_b32 s11, 0x3fe8ea18
	s_delay_alu instid0(VALU_DEP_2) | instskip(SKIP_2) | instid1(VALU_DEP_4)
	v_fma_f64 v[7:8], v[7:8], v[20:21], -v[24:25]
	v_fma_f64 v[20:21], v[38:39], v[34:35], v[36:37]
	v_cvt_i32_f64_e32 v36, v[26:27]
	v_fma_f64 v[30:31], v[28:29], v[30:31], 1.0
	s_delay_alu instid0(VALU_DEP_4) | instskip(NEXT) | instid1(VALU_DEP_4)
	v_add_f64 v[7:8], v[7:8], s[10:11]
	v_fma_f64 v[26:27], -v[20:21], v[20:21], v[32:33]
	s_delay_alu instid0(VALU_DEP_3) | instskip(NEXT) | instid1(VALU_DEP_3)
	v_fma_f64 v[28:29], v[28:29], v[30:31], 1.0
	v_add_f64 v[7:8], v[7:8], -v[24:25]
	s_delay_alu instid0(VALU_DEP_3) | instskip(NEXT) | instid1(VALU_DEP_3)
	v_fma_f64 v[20:21], v[26:27], v[34:35], v[20:21]
	v_ldexp_f64 v[24:25], v[28:29], v36
	s_delay_alu instid0(VALU_DEP_3) | instskip(SKIP_2) | instid1(VALU_DEP_4)
	v_mul_f64 v[26:27], v[7:8], 0.5
	v_cndmask_b32_e64 v7, 0, 0xffffff80, vcc_lo
	v_cmp_class_f64_e64 vcc_lo, v[32:33], 0x260
	v_cndmask_b32_e64 v8, 0x7ff00000, v25, s1
	s_delay_alu instid0(VALU_DEP_3) | instskip(SKIP_1) | instid1(VALU_DEP_1)
	v_ldexp_f64 v[20:21], v[20:21], v7
	v_cndmask_b32_e64 v7, 0, v24, s1
	v_mul_f64 v[24:25], v[7:8], v[26:27]
	s_delay_alu instid0(VALU_DEP_3) | instskip(NEXT) | instid1(VALU_DEP_1)
	v_dual_cndmask_b32 v21, v21, v33 :: v_dual_cndmask_b32 v20, v20, v32
	v_div_scale_f64 v[26:27], null, v[20:21], v[20:21], v[24:25]
	s_delay_alu instid0(VALU_DEP_1) | instskip(SKIP_2) | instid1(VALU_DEP_1)
	v_rcp_f64_e32 v[28:29], v[26:27]
	s_waitcnt_depctr 0xfff
	v_fma_f64 v[30:31], -v[26:27], v[28:29], 1.0
	v_fma_f64 v[28:29], v[28:29], v[30:31], v[28:29]
	s_delay_alu instid0(VALU_DEP_1) | instskip(NEXT) | instid1(VALU_DEP_1)
	v_fma_f64 v[30:31], -v[26:27], v[28:29], 1.0
	v_fma_f64 v[28:29], v[28:29], v[30:31], v[28:29]
	v_div_scale_f64 v[30:31], vcc_lo, v[24:25], v[20:21], v[24:25]
	s_delay_alu instid0(VALU_DEP_1) | instskip(NEXT) | instid1(VALU_DEP_1)
	v_mul_f64 v[32:33], v[30:31], v[28:29]
	v_fma_f64 v[26:27], -v[26:27], v[32:33], v[30:31]
	s_delay_alu instid0(VALU_DEP_1) | instskip(NEXT) | instid1(VALU_DEP_1)
	v_div_fmas_f64 v[26:27], v[26:27], v[28:29], v[32:33]
	v_div_fixup_f64 v[20:21], v[26:27], v[20:21], v[24:25]
.LBB0_30:
	s_or_b32 exec_lo, exec_lo, s2
	s_delay_alu instid0(VALU_DEP_2)
	v_frexp_mant_f64_e32 v[24:25], v[2:3]
	s_mov_b32 s3, 0x3fe55555
	s_mov_b32 s2, 0x55555555
	v_mov_b32_e32 v26, 0
	v_fma_f64 v[38:39], v[18:19], v[18:19], -2.0
	s_mov_b32 s10, 0x7a0399e0
	s_mov_b32 s11, 0xbce5dd51
	;; [unrolled: 1-line block ×4, first 2 shown]
	v_frexp_exp_i32_f64_e32 v50, v[2:3]
	v_cmp_eq_f64_e64 s1, 0x7ff00000, v[2:3]
	v_cmp_gt_f64_e32 vcc_lo, s[2:3], v[24:25]
	s_mov_b32 s2, 0x55555780
	s_delay_alu instid0(VALU_DEP_4) | instskip(SKIP_4) | instid1(VALU_DEP_1)
	v_fma_f64 v[48:49], v[38:39], s[12:13], s[10:11]
	s_mov_b32 s13, 0x3c603228
	s_mov_b32 s10, 0xddd0e045
	;; [unrolled: 1-line block ×3, first 2 shown]
	v_cndmask_b32_e64 v27, 0x3ff00000, 2.0, vcc_lo
	v_mul_f64 v[24:25], v[24:25], v[26:27]
	s_delay_alu instid0(VALU_DEP_1) | instskip(SKIP_1) | instid1(VALU_DEP_2)
	v_add_f64 v[26:27], v[24:25], 1.0
	v_add_f64 v[32:33], v[24:25], -1.0
	v_rcp_f64_e32 v[28:29], v[26:27]
	v_add_f64 v[34:35], v[26:27], -1.0
	s_delay_alu instid0(VALU_DEP_1) | instskip(SKIP_2) | instid1(VALU_DEP_1)
	v_add_f64 v[24:25], v[24:25], -v[34:35]
	s_waitcnt_depctr 0xfff
	v_fma_f64 v[30:31], -v[26:27], v[28:29], 1.0
	v_fma_f64 v[28:29], v[30:31], v[28:29], v[28:29]
	s_delay_alu instid0(VALU_DEP_1) | instskip(NEXT) | instid1(VALU_DEP_1)
	v_fma_f64 v[30:31], -v[26:27], v[28:29], 1.0
	v_fma_f64 v[28:29], v[30:31], v[28:29], v[28:29]
	s_delay_alu instid0(VALU_DEP_1) | instskip(NEXT) | instid1(VALU_DEP_1)
	v_mul_f64 v[30:31], v[32:33], v[28:29]
	v_mul_f64 v[36:37], v[26:27], v[30:31]
	s_delay_alu instid0(VALU_DEP_1) | instskip(NEXT) | instid1(VALU_DEP_1)
	v_fma_f64 v[26:27], v[30:31], v[26:27], -v[36:37]
	v_fma_f64 v[24:25], v[30:31], v[24:25], v[26:27]
	s_delay_alu instid0(VALU_DEP_1) | instskip(NEXT) | instid1(VALU_DEP_1)
	v_add_f64 v[26:27], v[36:37], v[24:25]
	v_add_f64 v[34:35], v[32:33], -v[26:27]
	v_add_f64 v[36:37], v[26:27], -v[36:37]
	s_delay_alu instid0(VALU_DEP_2) | instskip(NEXT) | instid1(VALU_DEP_2)
	v_add_f64 v[32:33], v[32:33], -v[34:35]
	v_add_f64 v[24:25], v[36:37], -v[24:25]
	s_delay_alu instid0(VALU_DEP_2) | instskip(SKIP_3) | instid1(VALU_DEP_2)
	v_add_f64 v[26:27], v[32:33], -v[26:27]
	v_fma_f64 v[32:33], v[38:39], v[48:49], s[12:13]
	s_mov_b32 s12, 0xbf559e2b
	s_mov_b32 s13, 0x3fc3ab76
	v_add_f64 v[24:25], v[24:25], v[26:27]
	s_delay_alu instid0(VALU_DEP_2) | instskip(SKIP_2) | instid1(VALU_DEP_2)
	v_add_f64 v[26:27], v[32:33], s[10:11]
	s_mov_b32 s10, 0xb84626ca
	s_mov_b32 s11, 0xbde3663b
	v_add_f64 v[24:25], v[34:35], v[24:25]
	s_delay_alu instid0(VALU_DEP_2) | instskip(NEXT) | instid1(VALU_DEP_2)
	v_fma_f64 v[32:33], v[38:39], v[26:27], -v[48:49]
	v_mul_f64 v[24:25], v[28:29], v[24:25]
	s_delay_alu instid0(VALU_DEP_2) | instskip(SKIP_2) | instid1(VALU_DEP_2)
	v_add_f64 v[28:29], v[32:33], s[10:11]
	s_mov_b32 s10, 0x145c31d0
	s_mov_b32 s11, 0xbe57c41d
	v_add_f64 v[32:33], v[30:31], v[24:25]
	s_delay_alu instid0(VALU_DEP_2) | instskip(NEXT) | instid1(VALU_DEP_2)
	v_fma_f64 v[26:27], v[38:39], v[28:29], -v[26:27]
	v_mul_f64 v[34:35], v[32:33], v[32:33]
	s_delay_alu instid0(VALU_DEP_2) | instskip(SKIP_3) | instid1(VALU_DEP_3)
	v_add_f64 v[26:27], v[26:27], s[10:11]
	s_mov_b32 s10, 0x6b47b09a
	s_mov_b32 s11, 0x3fc38538
	v_add_f64 v[30:31], v[32:33], -v[30:31]
	v_fma_f64 v[36:37], v[34:35], s[12:13], s[10:11]
	s_delay_alu instid0(VALU_DEP_3) | instskip(SKIP_3) | instid1(VALU_DEP_4)
	v_fma_f64 v[28:29], v[38:39], v[26:27], -v[28:29]
	s_mov_b32 s10, 0xd7f4df2e
	s_mov_b32 s11, 0x3fc7474d
	v_mul_f64 v[48:49], v[32:33], v[34:35]
	v_add_f64 v[24:25], v[24:25], -v[30:31]
	s_delay_alu instid0(VALU_DEP_4)
	v_fma_f64 v[36:37], v[34:35], v[36:37], s[10:11]
	s_mov_b32 s10, 0x2c832e3a
	s_mov_b32 s11, 0xbec469b3
	s_delay_alu instid0(VALU_DEP_4) | instid1(SALU_CYCLE_1)
	v_add_f64 v[28:29], v[28:29], s[10:11]
	s_mov_b32 s10, 0x16291751
	s_mov_b32 s11, 0x3fcc71c0
	s_delay_alu instid0(VALU_DEP_3) | instskip(NEXT) | instid1(VALU_DEP_3)
	v_ldexp_f64 v[24:25], v[24:25], 1
	v_fma_f64 v[36:37], v[34:35], v[36:37], s[10:11]
	s_mov_b32 s10, 0x9b27acf1
	s_mov_b32 s11, 0x3fd24924
	s_delay_alu instid0(VALU_DEP_3) | instskip(NEXT) | instid1(VALU_DEP_2)
	v_fma_f64 v[26:27], v[38:39], v[28:29], -v[26:27]
	v_fma_f64 v[36:37], v[34:35], v[36:37], s[10:11]
	s_mov_b32 s10, 0xe5a3bd02
	s_mov_b32 s11, 0xbf26ade2
	s_delay_alu instid0(VALU_DEP_2) | instid1(SALU_CYCLE_1)
	v_add_f64 v[26:27], v[26:27], s[10:11]
	s_mov_b32 s10, 0x998ef7b6
	s_mov_b32 s11, 0x3fd99999
	s_delay_alu instid0(VALU_DEP_2) | instid1(SALU_CYCLE_1)
	v_fma_f64 v[36:37], v[34:35], v[36:37], s[10:11]
	s_delay_alu instid0(VALU_DEP_2) | instskip(NEXT) | instid1(VALU_DEP_2)
	v_fma_f64 v[28:29], v[38:39], v[26:27], -v[28:29]
	v_fma_f64 v[34:35], v[34:35], v[36:37], s[2:3]
	s_mov_b32 s2, 0x9d7d4192
	s_mov_b32 s3, 0xbf7c9293
	v_ldexp_f64 v[36:37], v[32:33], 1
	s_delay_alu instid0(VALU_DEP_3) | instskip(SKIP_2) | instid1(VALU_DEP_3)
	v_add_f64 v[28:29], v[28:29], s[2:3]
	s_mov_b32 s2, 0x43c1db74
	s_mov_b32 s3, 0xbfbf6372
	v_mul_f64 v[34:35], v[48:49], v[34:35]
	v_subrev_co_ci_u32_e32 v48, vcc_lo, 0, v50, vcc_lo
	s_delay_alu instid0(VALU_DEP_3) | instskip(NEXT) | instid1(VALU_DEP_2)
	v_fma_f64 v[26:27], v[38:39], v[28:29], -v[26:27]
	v_cvt_f64_i32_e32 v[48:49], v48
	s_delay_alu instid0(VALU_DEP_4) | instskip(NEXT) | instid1(VALU_DEP_3)
	v_add_f64 v[32:33], v[36:37], v[34:35]
	v_add_f64 v[26:27], v[26:27], s[2:3]
	s_mov_b32 s2, 0xfefa39ef
	s_mov_b32 s3, 0x3fe62e42
	s_delay_alu instid0(VALU_DEP_3) | instid1(SALU_CYCLE_1)
	v_mul_f64 v[50:51], v[48:49], s[2:3]
	s_delay_alu instid0(VALU_DEP_3) | instskip(NEXT) | instid1(VALU_DEP_3)
	v_add_f64 v[30:31], v[32:33], -v[36:37]
	v_fma_f64 v[28:29], v[38:39], v[26:27], -v[28:29]
	s_delay_alu instid0(VALU_DEP_3) | instskip(SKIP_2) | instid1(VALU_DEP_3)
	v_fma_f64 v[36:37], v[48:49], s[2:3], -v[50:51]
	s_mov_b32 s2, 0x757b0dd4
	s_mov_b32 s3, 0xbfd69a1b
	v_add_f64 v[30:31], v[34:35], -v[30:31]
	s_delay_alu instid0(VALU_DEP_3)
	v_add_f64 v[28:29], v[28:29], s[2:3]
	s_mov_b32 s2, 0x3b39803f
	s_mov_b32 s3, 0x3c7abc9e
	s_delay_alu instid0(VALU_DEP_3) | instid1(SALU_CYCLE_1)
	v_fma_f64 v[34:35], v[48:49], s[2:3], v[36:37]
	s_mov_b32 s2, 0x361008ca
	s_mov_b32 s3, 0x3ff867a1
	s_delay_alu instid0(VALU_DEP_3) | instskip(NEXT) | instid1(VALU_DEP_3)
	v_add_f64 v[24:25], v[24:25], v[30:31]
	v_fma_f64 v[28:29], v[38:39], v[28:29], -v[26:27]
	s_delay_alu instid0(VALU_DEP_3) | instskip(NEXT) | instid1(VALU_DEP_3)
	v_add_f64 v[30:31], v[50:51], v[34:35]
	v_add_f64 v[36:37], v[32:33], v[24:25]
	s_delay_alu instid0(VALU_DEP_3) | instskip(NEXT) | instid1(VALU_DEP_3)
	v_add_f64 v[28:29], v[28:29], s[2:3]
	v_add_f64 v[48:49], v[30:31], -v[50:51]
	s_delay_alu instid0(VALU_DEP_3) | instskip(SKIP_1) | instid1(VALU_DEP_4)
	v_add_f64 v[38:39], v[30:31], v[36:37]
	v_add_f64 v[32:33], v[36:37], -v[32:33]
	v_add_f64 v[26:27], v[28:29], -v[26:27]
	s_delay_alu instid0(VALU_DEP_4) | instskip(NEXT) | instid1(VALU_DEP_4)
	v_add_f64 v[34:35], v[34:35], -v[48:49]
	v_add_f64 v[28:29], v[38:39], -v[30:31]
	s_delay_alu instid0(VALU_DEP_4) | instskip(NEXT) | instid1(VALU_DEP_4)
	v_add_f64 v[24:25], v[24:25], -v[32:33]
	v_mul_f64 v[26:27], v[26:27], 0.5
	s_delay_alu instid0(VALU_DEP_3) | instskip(SKIP_1) | instid1(VALU_DEP_4)
	v_add_f64 v[50:51], v[38:39], -v[28:29]
	v_add_f64 v[28:29], v[36:37], -v[28:29]
	v_add_f64 v[36:37], v[34:35], v[24:25]
	s_delay_alu instid0(VALU_DEP_4) | instskip(NEXT) | instid1(VALU_DEP_4)
	v_div_scale_f64 v[52:53], null, v[18:19], v[18:19], v[26:27]
	v_add_f64 v[30:31], v[30:31], -v[50:51]
	s_delay_alu instid0(VALU_DEP_3) | instskip(NEXT) | instid1(VALU_DEP_3)
	v_add_f64 v[48:49], v[36:37], -v[34:35]
	v_rcp_f64_e32 v[32:33], v[52:53]
	s_delay_alu instid0(VALU_DEP_2) | instskip(NEXT) | instid1(VALU_DEP_2)
	v_add_f64 v[28:29], v[28:29], v[30:31]
	v_add_f64 v[24:25], v[24:25], -v[48:49]
	s_waitcnt_depctr 0xfff
	v_fma_f64 v[30:31], -v[52:53], v[32:33], 1.0
	v_add_f64 v[28:29], v[36:37], v[28:29]
	s_delay_alu instid0(VALU_DEP_2) | instskip(SKIP_1) | instid1(VALU_DEP_3)
	v_fma_f64 v[30:31], v[32:33], v[30:31], v[32:33]
	v_add_f64 v[32:33], v[36:37], -v[48:49]
	v_add_f64 v[36:37], v[38:39], v[28:29]
	s_delay_alu instid0(VALU_DEP_3) | instskip(NEXT) | instid1(VALU_DEP_3)
	v_fma_f64 v[50:51], -v[52:53], v[30:31], 1.0
	v_add_f64 v[32:33], v[34:35], -v[32:33]
	s_delay_alu instid0(VALU_DEP_3) | instskip(SKIP_1) | instid1(VALU_DEP_4)
	v_add_f64 v[34:35], v[36:37], -v[38:39]
	v_div_scale_f64 v[38:39], vcc_lo, v[26:27], v[18:19], v[26:27]
	v_fma_f64 v[30:31], v[30:31], v[50:51], v[30:31]
	s_delay_alu instid0(VALU_DEP_4) | instskip(NEXT) | instid1(VALU_DEP_4)
	v_add_f64 v[24:25], v[24:25], v[32:33]
	v_add_f64 v[28:29], v[28:29], -v[34:35]
	s_delay_alu instid0(VALU_DEP_3) | instskip(NEXT) | instid1(VALU_DEP_2)
	v_mul_f64 v[32:33], v[38:39], v[30:31]
	v_add_f64 v[24:25], v[24:25], v[28:29]
	s_delay_alu instid0(VALU_DEP_2) | instskip(NEXT) | instid1(VALU_DEP_2)
	v_fma_f64 v[28:29], -v[52:53], v[32:33], v[38:39]
	v_add_f64 v[24:25], v[36:37], v[24:25]
	s_delay_alu instid0(VALU_DEP_2) | instskip(SKIP_1) | instid1(VALU_DEP_3)
	v_div_fmas_f64 v[28:29], v[28:29], v[30:31], v[32:33]
	v_cmp_neq_f64_e32 vcc_lo, 0, v[2:3]
	v_cndmask_b32_e64 v24, v24, v2, s1
	s_delay_alu instid0(VALU_DEP_4) | instskip(NEXT) | instid1(VALU_DEP_4)
	v_cndmask_b32_e64 v25, v25, v3, s1
	v_div_fixup_f64 v[2:3], v[28:29], v[18:19], v[26:27]
	s_delay_alu instid0(VALU_DEP_2) | instskip(NEXT) | instid1(VALU_DEP_4)
	v_cndmask_b32_e32 v19, 0xfff00000, v25, vcc_lo
	v_cndmask_b32_e32 v18, 0, v24, vcc_lo
	s_delay_alu instid0(VALU_DEP_1) | instskip(NEXT) | instid1(VALU_DEP_1)
	v_fma_f64 v[2:3], v[18:19], v[20:21], v[2:3]
                                        ; implicit-def: $vgpr18_vgpr19
	v_mul_f64 v[7:8], v[7:8], v[2:3]
.LBB0_31:
	s_and_not1_saveexec_b32 s1, s8
	s_cbranch_execz .LBB0_33
; %bb.32:
	v_div_scale_f64 v[2:3], null, v[18:19], v[18:19], 0x40200000
	v_div_scale_f64 v[24:25], vcc_lo, 0x40200000, v[18:19], 0x40200000
	s_mov_b32 s2, 0x838f5ed3
	s_mov_b32 s3, 0x3c74af1a
	;; [unrolled: 1-line block ×4, first 2 shown]
	s_delay_alu instid0(VALU_DEP_2) | instskip(SKIP_2) | instid1(VALU_DEP_1)
	v_rcp_f64_e32 v[7:8], v[2:3]
	s_waitcnt_depctr 0xfff
	v_fma_f64 v[20:21], -v[2:3], v[7:8], 1.0
	v_fma_f64 v[7:8], v[7:8], v[20:21], v[7:8]
	s_delay_alu instid0(VALU_DEP_1) | instskip(NEXT) | instid1(VALU_DEP_1)
	v_fma_f64 v[20:21], -v[2:3], v[7:8], 1.0
	v_fma_f64 v[7:8], v[7:8], v[20:21], v[7:8]
	s_delay_alu instid0(VALU_DEP_1) | instskip(NEXT) | instid1(VALU_DEP_1)
	v_mul_f64 v[20:21], v[24:25], v[7:8]
	v_fma_f64 v[2:3], -v[2:3], v[20:21], v[24:25]
	s_delay_alu instid0(VALU_DEP_1) | instskip(SKIP_1) | instid1(VALU_DEP_2)
	v_div_fmas_f64 v[2:3], v[2:3], v[7:8], v[20:21]
	v_cmp_gt_f64_e32 vcc_lo, 0x10000000, v[18:19]
	v_div_fixup_f64 v[2:3], v[2:3], v[18:19], 0x40200000
	v_cndmask_b32_e64 v24, 0, 1, vcc_lo
	s_delay_alu instid0(VALU_DEP_1) | instskip(NEXT) | instid1(VALU_DEP_1)
	v_lshlrev_b32_e32 v24, 8, v24
	v_ldexp_f64 v[18:19], v[18:19], v24
	s_delay_alu instid0(VALU_DEP_4) | instskip(NEXT) | instid1(VALU_DEP_2)
	v_add_f64 v[2:3], v[2:3], -2.0
	v_rsq_f64_e32 v[24:25], v[18:19]
	s_delay_alu instid0(VALU_DEP_1)
	v_fma_f64 v[7:8], v[2:3], s[8:9], s[2:3]
	s_mov_b32 s9, 0x3c5a8c5d
	s_mov_b32 s2, 0x17771d52
	;; [unrolled: 1-line block ×3, first 2 shown]
	s_waitcnt_depctr 0xfff
	v_mul_f64 v[26:27], v[18:19], v[24:25]
	v_mul_f64 v[24:25], v[24:25], 0.5
	v_fma_f64 v[20:21], v[2:3], v[7:8], s[8:9]
	s_delay_alu instid0(VALU_DEP_2) | instskip(NEXT) | instid1(VALU_DEP_2)
	v_fma_f64 v[28:29], -v[24:25], v[26:27], 0.5
	v_add_f64 v[20:21], v[20:21], s[2:3]
	s_mov_b32 s2, 0x44ee2c0b
	s_mov_b32 s3, 0x3caa7d5e
	s_delay_alu instid0(VALU_DEP_2) | instskip(SKIP_1) | instid1(VALU_DEP_3)
	v_fma_f64 v[26:27], v[26:27], v[28:29], v[26:27]
	v_fma_f64 v[24:25], v[24:25], v[28:29], v[24:25]
	v_fma_f64 v[7:8], v[2:3], v[20:21], -v[7:8]
	s_delay_alu instid0(VALU_DEP_3) | instskip(NEXT) | instid1(VALU_DEP_2)
	v_fma_f64 v[28:29], -v[26:27], v[26:27], v[18:19]
	v_add_f64 v[7:8], v[7:8], s[2:3]
	s_mov_b32 s2, 0xd8758ef2
	s_mov_b32 s3, 0xbcc5d2a3
	s_delay_alu instid0(VALU_DEP_2) | instskip(NEXT) | instid1(VALU_DEP_2)
	v_fma_f64 v[26:27], v[28:29], v[24:25], v[26:27]
	v_fma_f64 v[20:21], v[2:3], v[7:8], -v[20:21]
	s_delay_alu instid0(VALU_DEP_1) | instskip(SKIP_2) | instid1(VALU_DEP_1)
	v_add_f64 v[20:21], v[20:21], s[2:3]
	s_mov_b32 s2, 0xefee81bd
	s_mov_b32 s3, 0x3ce25ced
	v_fma_f64 v[7:8], v[2:3], v[20:21], -v[7:8]
	s_delay_alu instid0(VALU_DEP_1) | instskip(SKIP_2) | instid1(VALU_DEP_1)
	v_add_f64 v[7:8], v[7:8], s[2:3]
	s_mov_b32 s2, 0x364185ab
	s_mov_b32 s3, 0xbcff9d52
	;; [unrolled: 5-line block ×20, first 2 shown]
	v_fma_f64 v[2:3], v[2:3], v[7:8], -v[20:21]
	v_fma_f64 v[7:8], -v[26:27], v[26:27], v[18:19]
	s_delay_alu instid0(VALU_DEP_2) | instskip(NEXT) | instid1(VALU_DEP_2)
	v_add_f64 v[2:3], v[2:3], s[2:3]
	v_fma_f64 v[7:8], v[7:8], v[24:25], v[26:27]
	s_delay_alu instid0(VALU_DEP_2) | instskip(SKIP_2) | instid1(VALU_DEP_2)
	v_add_f64 v[2:3], v[2:3], -v[20:21]
	v_cndmask_b32_e64 v20, 0, 0xffffff80, vcc_lo
	v_cmp_class_f64_e64 vcc_lo, v[18:19], 0x260
	v_ldexp_f64 v[7:8], v[7:8], v20
	s_delay_alu instid0(VALU_DEP_4) | instskip(NEXT) | instid1(VALU_DEP_2)
	v_mul_f64 v[2:3], v[2:3], 0.5
	v_dual_cndmask_b32 v7, v7, v18 :: v_dual_cndmask_b32 v8, v8, v19
	s_delay_alu instid0(VALU_DEP_1) | instskip(NEXT) | instid1(VALU_DEP_1)
	v_div_scale_f64 v[18:19], null, v[7:8], v[7:8], v[2:3]
	v_rcp_f64_e32 v[20:21], v[18:19]
	s_waitcnt_depctr 0xfff
	v_fma_f64 v[24:25], -v[18:19], v[20:21], 1.0
	s_delay_alu instid0(VALU_DEP_1) | instskip(NEXT) | instid1(VALU_DEP_1)
	v_fma_f64 v[20:21], v[20:21], v[24:25], v[20:21]
	v_fma_f64 v[24:25], -v[18:19], v[20:21], 1.0
	s_delay_alu instid0(VALU_DEP_1) | instskip(SKIP_1) | instid1(VALU_DEP_1)
	v_fma_f64 v[20:21], v[20:21], v[24:25], v[20:21]
	v_div_scale_f64 v[24:25], vcc_lo, v[2:3], v[7:8], v[2:3]
	v_mul_f64 v[26:27], v[24:25], v[20:21]
	s_delay_alu instid0(VALU_DEP_1) | instskip(NEXT) | instid1(VALU_DEP_1)
	v_fma_f64 v[18:19], -v[18:19], v[26:27], v[24:25]
	v_div_fmas_f64 v[18:19], v[18:19], v[20:21], v[26:27]
	s_delay_alu instid0(VALU_DEP_1)
	v_div_fixup_f64 v[7:8], v[18:19], v[7:8], v[2:3]
.LBB0_33:
	s_or_b32 exec_lo, exec_lo, s1
.LBB0_34:
	s_delay_alu instid0(SALU_CYCLE_1)
	s_or_b32 exec_lo, exec_lo, s7
.LBB0_35:
	s_delay_alu instid0(SALU_CYCLE_1)
	s_or_b32 exec_lo, exec_lo, s6
.LBB0_36:
	s_delay_alu instid0(SALU_CYCLE_1) | instskip(SKIP_2) | instid1(VALU_DEP_1)
	s_or_b32 exec_lo, exec_lo, s5
	v_add_nc_u32_e32 v2, 0x200, v22
	s_mov_b32 s5, exec_lo
	v_cmpx_lt_i32_e64 v2, v4
	s_cbranch_execz .LBB0_50
; %bb.37:
	v_mov_b32_e32 v9, 0
	v_mov_b32_e32 v10, 0x7ff00000
	s_mov_b32 s6, exec_lo
	s_waitcnt vmcnt(0) lgkmcnt(0)
	v_cmpx_neq_f64_e32 0, v[16:17]
	s_cbranch_execz .LBB0_49
; %bb.38:
	v_mov_b32_e32 v9, 0
	v_mov_b32_e32 v10, 0x7ff80000
	s_mov_b32 s7, exec_lo
	v_cmpx_ngt_f64_e32 0, v[16:17]
	s_cbranch_execz .LBB0_48
; %bb.39:
	s_mov_b32 s1, exec_lo
	v_cmpx_ge_f64_e32 2.0, v[16:17]
	s_xor_b32 s8, exec_lo, s1
	s_cbranch_execz .LBB0_45
; %bb.40:
	v_mul_f64 v[2:3], v[16:17], 0.5
	s_mov_b32 s1, exec_lo
                                        ; implicit-def: $vgpr18_vgpr19
                                        ; implicit-def: $vgpr9_vgpr10
	v_cmpx_ge_f64_e32 0x40200000, v[16:17]
	s_xor_b32 s1, exec_lo, s1
	s_cbranch_execz .LBB0_42
; %bb.41:
	s_delay_alu instid0(VALU_DEP_2)
	v_add_f64 v[9:10], v[2:3], -2.0
	s_mov_b32 s2, 0xc38a0576
	s_mov_b32 s3, 0xbc7857d0
	;; [unrolled: 1-line block ×4, first 2 shown]
	v_cmp_nlt_f64_e32 vcc_lo, 0x40900000, v[16:17]
	s_delay_alu instid0(VALU_DEP_2) | instskip(SKIP_3) | instid1(VALU_DEP_1)
	v_fma_f64 v[18:19], v[9:10], s[10:11], s[2:3]
	s_mov_b32 s11, 0xbc499f2a
	s_mov_b32 s2, 0xe593bfac
	;; [unrolled: 1-line block ×3, first 2 shown]
	v_fma_f64 v[20:21], v[9:10], v[18:19], s[10:11]
	s_mov_b32 s10, 0x6a5dcb37
	s_mov_b32 s11, 0x3e5ade15
	s_delay_alu instid0(VALU_DEP_1) | instskip(SKIP_2) | instid1(VALU_DEP_1)
	v_add_f64 v[20:21], v[20:21], s[2:3]
	s_mov_b32 s2, 0x7e0d1573
	s_mov_b32 s3, 0xbcd3eaaa
	v_fma_f64 v[18:19], v[9:10], v[20:21], -v[18:19]
	s_delay_alu instid0(VALU_DEP_1) | instskip(SKIP_2) | instid1(VALU_DEP_1)
	v_add_f64 v[18:19], v[18:19], s[2:3]
	s_mov_b32 s2, 0x615290c
	s_mov_b32 s3, 0x3d011d7f
	v_fma_f64 v[20:21], v[9:10], v[18:19], -v[20:21]
	;; [unrolled: 5-line block ×19, first 2 shown]
	s_delay_alu instid0(VALU_DEP_1) | instskip(SKIP_2) | instid1(SALU_CYCLE_1)
	v_add_f64 v[18:19], v[18:19], s[2:3]
	s_mov_b32 s2, 0x652b82fe
	s_mov_b32 s3, 0x3ff71547
	v_mul_f64 v[24:25], v[16:17], s[2:3]
	s_mov_b32 s2, 0x49d3a1b4
	s_mov_b32 s3, 0x3f710653
	s_delay_alu instid0(VALU_DEP_2) | instskip(NEXT) | instid1(VALU_DEP_2)
	v_fma_f64 v[20:21], v[9:10], v[18:19], -v[20:21]
	v_rndne_f64_e32 v[24:25], v[24:25]
	s_delay_alu instid0(VALU_DEP_2)
	v_add_f64 v[20:21], v[20:21], s[2:3]
	s_mov_b32 s2, 0xfefa39ef
	s_mov_b32 s3, 0xbfe62e42
	s_delay_alu instid0(VALU_DEP_2) | instid1(SALU_CYCLE_1)
	v_fma_f64 v[26:27], v[24:25], s[2:3], v[16:17]
	s_mov_b32 s2, 0x7913a26a
	s_mov_b32 s3, 0xbf85a29f
	s_delay_alu instid0(VALU_DEP_2) | instskip(NEXT) | instid1(VALU_DEP_1)
	v_fma_f64 v[18:19], v[9:10], v[20:21], -v[18:19]
	v_add_f64 v[18:19], v[18:19], s[2:3]
	s_mov_b32 s2, 0x3b39803f
	s_mov_b32 s3, 0xbc7abc9e
	s_delay_alu instid0(VALU_DEP_3) | instid1(SALU_CYCLE_1)
	v_fma_f64 v[26:27], v[24:25], s[2:3], v[26:27]
	s_mov_b32 s2, 0xfca7ab0c
	s_mov_b32 s3, 0x3e928af3
	s_delay_alu instid0(VALU_DEP_2) | instskip(NEXT) | instid1(VALU_DEP_2)
	v_fma_f64 v[20:21], v[9:10], v[18:19], -v[20:21]
	v_fma_f64 v[28:29], v[26:27], s[10:11], s[2:3]
	s_mov_b32 s2, 0xe7bb2349
	s_mov_b32 s3, 0x3f9951e3
	s_delay_alu instid0(VALU_DEP_2) | instid1(SALU_CYCLE_1)
	v_add_f64 v[20:21], v[20:21], s[2:3]
	s_mov_b32 s2, 0x623fde64
	s_mov_b32 s3, 0x3ec71dee
	s_delay_alu instid0(VALU_DEP_2) | instid1(SALU_CYCLE_1)
	v_fma_f64 v[28:29], v[26:27], v[28:29], s[2:3]
	s_mov_b32 s2, 0x7c89e6b0
	s_mov_b32 s3, 0x3efa0199
	s_delay_alu instid0(VALU_DEP_2) | instskip(NEXT) | instid1(VALU_DEP_2)
	v_fma_f64 v[18:19], v[9:10], v[20:21], -v[18:19]
	v_fma_f64 v[28:29], v[26:27], v[28:29], s[2:3]
	s_mov_b32 s2, 0x537c9ebc
	s_mov_b32 s3, 0xbfab1bbc
	s_delay_alu instid0(VALU_DEP_2) | instid1(SALU_CYCLE_1)
	v_add_f64 v[18:19], v[18:19], s[2:3]
	s_mov_b32 s2, 0x14761f6e
	s_mov_b32 s3, 0x3f2a01a0
	s_delay_alu instid0(VALU_DEP_2) | instid1(SALU_CYCLE_1)
	;; [unrolled: 13-line block ×4, first 2 shown]
	v_fma_f64 v[28:29], v[26:27], v[28:29], s[2:3]
	s_mov_b32 s2, 11
	s_mov_b32 s3, 0x3fe00000
	s_delay_alu instid0(VALU_DEP_2) | instskip(NEXT) | instid1(VALU_DEP_2)
	v_fma_f64 v[9:10], v[9:10], v[18:19], -v[20:21]
	v_fma_f64 v[18:19], v[26:27], v[28:29], s[2:3]
	s_mov_b32 s2, 0x724a7ffa
	s_mov_b32 s3, 0x3fd02a63
	s_delay_alu instid0(VALU_DEP_2) | instid1(SALU_CYCLE_1)
	v_add_f64 v[9:10], v[9:10], s[2:3]
	s_delay_alu instid0(VALU_DEP_2) | instskip(NEXT) | instid1(VALU_DEP_2)
	v_fma_f64 v[18:19], v[26:27], v[18:19], 1.0
	v_add_f64 v[9:10], v[9:10], -v[20:21]
	v_cvt_i32_f64_e32 v20, v[24:25]
	s_delay_alu instid0(VALU_DEP_3) | instskip(NEXT) | instid1(VALU_DEP_3)
	v_fma_f64 v[18:19], v[26:27], v[18:19], 1.0
	v_mul_f64 v[9:10], v[9:10], 0.5
	s_delay_alu instid0(VALU_DEP_2) | instskip(NEXT) | instid1(VALU_DEP_2)
	v_ldexp_f64 v[18:19], v[18:19], v20
	v_mul_f64 v[20:21], v[16:17], v[9:10]
	s_delay_alu instid0(VALU_DEP_2) | instskip(NEXT) | instid1(VALU_DEP_3)
	v_cndmask_b32_e32 v10, 0x7ff00000, v19, vcc_lo
	v_cndmask_b32_e32 v9, 0, v18, vcc_lo
	s_delay_alu instid0(VALU_DEP_1)
	v_mul_f64 v[18:19], v[9:10], v[20:21]
.LBB0_42:
	s_and_not1_saveexec_b32 s2, s1
	s_cbranch_execz .LBB0_44
; %bb.43:
	v_div_scale_f64 v[9:10], null, v[16:17], v[16:17], 0x40400000
	v_div_scale_f64 v[24:25], vcc_lo, 0x40400000, v[16:17], 0x40400000
	s_mov_b32 s10, 0xea87b950
	s_mov_b32 s11, 0x3c545b8a
	s_mov_b32 s13, 0x3c61556d
	s_mov_b32 s12, 0xb352e8e6
	v_cmp_nlt_f64_e64 s1, 0x40900000, v[16:17]
	s_delay_alu instid0(VALU_DEP_3) | instskip(SKIP_2) | instid1(VALU_DEP_1)
	v_rcp_f64_e32 v[18:19], v[9:10]
	s_waitcnt_depctr 0xfff
	v_fma_f64 v[20:21], -v[9:10], v[18:19], 1.0
	v_fma_f64 v[18:19], v[18:19], v[20:21], v[18:19]
	s_delay_alu instid0(VALU_DEP_1) | instskip(NEXT) | instid1(VALU_DEP_1)
	v_fma_f64 v[20:21], -v[9:10], v[18:19], 1.0
	v_fma_f64 v[18:19], v[18:19], v[20:21], v[18:19]
	s_delay_alu instid0(VALU_DEP_1) | instskip(NEXT) | instid1(VALU_DEP_1)
	v_mul_f64 v[20:21], v[24:25], v[18:19]
	v_fma_f64 v[9:10], -v[9:10], v[20:21], v[24:25]
	s_delay_alu instid0(VALU_DEP_1) | instskip(SKIP_1) | instid1(VALU_DEP_2)
	v_div_fmas_f64 v[9:10], v[9:10], v[18:19], v[20:21]
	v_cmp_gt_f64_e32 vcc_lo, 0x10000000, v[16:17]
	v_div_fixup_f64 v[9:10], v[9:10], v[16:17], 0x40400000
	v_cndmask_b32_e64 v30, 0, 1, vcc_lo
	s_delay_alu instid0(VALU_DEP_1) | instskip(NEXT) | instid1(VALU_DEP_1)
	v_lshlrev_b32_e32 v30, 8, v30
	v_ldexp_f64 v[30:31], v[16:17], v30
	s_delay_alu instid0(VALU_DEP_4) | instskip(NEXT) | instid1(VALU_DEP_2)
	v_add_f64 v[9:10], v[9:10], -2.0
	v_rsq_f64_e32 v[32:33], v[30:31]
	s_delay_alu instid0(VALU_DEP_1)
	v_fma_f64 v[18:19], v[9:10], s[12:13], s[10:11]
	s_mov_b32 s13, 0xbc61556d
	s_mov_b32 s10, 0xb2532277
	;; [unrolled: 1-line block ×3, first 2 shown]
	s_waitcnt_depctr 0xfff
	v_mul_f64 v[34:35], v[30:31], v[32:33]
	v_mul_f64 v[32:33], v[32:33], 0.5
	v_fma_f64 v[20:21], v[9:10], v[18:19], s[12:13]
	s_mov_b32 s12, 0x6a5dcb37
	s_mov_b32 s13, 0x3e5ade15
	s_delay_alu instid0(VALU_DEP_2) | instskip(NEXT) | instid1(VALU_DEP_2)
	v_fma_f64 v[36:37], -v[32:33], v[34:35], 0.5
	v_add_f64 v[20:21], v[20:21], s[10:11]
	s_mov_b32 s10, 0x9c773320
	s_mov_b32 s11, 0xbc82806c
	s_delay_alu instid0(VALU_DEP_2) | instskip(SKIP_1) | instid1(VALU_DEP_3)
	v_fma_f64 v[34:35], v[34:35], v[36:37], v[34:35]
	v_fma_f64 v[32:33], v[32:33], v[36:37], v[32:33]
	v_fma_f64 v[18:19], v[9:10], v[20:21], -v[18:19]
	s_delay_alu instid0(VALU_DEP_3) | instskip(NEXT) | instid1(VALU_DEP_2)
	v_fma_f64 v[36:37], -v[34:35], v[34:35], v[30:31]
	v_add_f64 v[18:19], v[18:19], s[10:11]
	s_mov_b32 s10, 0xfceb588a
	s_mov_b32 s11, 0x3cb55915
	s_delay_alu instid0(VALU_DEP_1) | instskip(NEXT) | instid1(VALU_DEP_1)
	v_fma_f64 v[20:21], v[9:10], v[18:19], -v[20:21]
	v_add_f64 v[20:21], v[20:21], s[10:11]
	s_mov_b32 s10, 0x5f04a2d1
	s_mov_b32 s11, 0x3cb7d68e
	s_delay_alu instid0(VALU_DEP_1) | instskip(NEXT) | instid1(VALU_DEP_1)
	v_fma_f64 v[18:19], v[9:10], v[20:21], -v[18:19]
	;; [unrolled: 5-line block ×14, first 2 shown]
	v_add_f64 v[18:19], v[18:19], s[10:11]
	s_mov_b32 s10, 0x652b82fe
	s_mov_b32 s11, 0x3ff71547
	s_delay_alu instid0(SALU_CYCLE_1) | instskip(SKIP_2) | instid1(VALU_DEP_2)
	v_mul_f64 v[24:25], v[16:17], s[10:11]
	s_mov_b32 s10, 0x9ad53528
	s_mov_b32 s11, 0xbe30790b
	v_fma_f64 v[20:21], v[9:10], v[18:19], -v[20:21]
	s_delay_alu instid0(VALU_DEP_2) | instskip(NEXT) | instid1(VALU_DEP_2)
	v_rndne_f64_e32 v[24:25], v[24:25]
	v_add_f64 v[20:21], v[20:21], s[10:11]
	s_mov_b32 s10, 0xfefa39ef
	s_mov_b32 s11, 0xbfe62e42
	s_delay_alu instid0(VALU_DEP_2) | instid1(SALU_CYCLE_1)
	v_fma_f64 v[26:27], v[24:25], s[10:11], v[16:17]
	s_mov_b32 s10, 0x3b39803f
	s_mov_b32 s11, 0xbc7abc9e
	s_delay_alu instid0(VALU_DEP_2) | instskip(NEXT) | instid1(VALU_DEP_2)
	v_fma_f64 v[18:19], v[9:10], v[20:21], -v[18:19]
	v_fma_f64 v[26:27], v[24:25], s[10:11], v[26:27]
	s_mov_b32 s10, 0x94bb46c1
	s_mov_b32 s11, 0xbe5c4153
	s_delay_alu instid0(VALU_DEP_2) | instid1(SALU_CYCLE_1)
	v_add_f64 v[18:19], v[18:19], s[10:11]
	s_mov_b32 s10, 0xfca7ab0c
	s_mov_b32 s11, 0x3e928af3
	s_delay_alu instid0(VALU_DEP_2) | instid1(SALU_CYCLE_1)
	v_fma_f64 v[28:29], v[26:27], s[12:13], s[10:11]
	s_mov_b32 s10, 0x623fde64
	s_mov_b32 s11, 0x3ec71dee
	s_delay_alu instid0(VALU_DEP_2) | instskip(NEXT) | instid1(VALU_DEP_2)
	v_fma_f64 v[20:21], v[9:10], v[18:19], -v[20:21]
	v_fma_f64 v[28:29], v[26:27], v[28:29], s[10:11]
	s_mov_b32 s10, 0x2e9e5443
	s_mov_b32 s11, 0xbe90dbfd
	s_delay_alu instid0(VALU_DEP_2) | instid1(SALU_CYCLE_1)
	;; [unrolled: 13-line block ×5, first 2 shown]
	v_add_f64 v[18:19], v[18:19], s[10:11]
	s_mov_b32 s10, 11
	s_mov_b32 s11, 0x3fe00000
	s_delay_alu instid0(VALU_DEP_2) | instid1(SALU_CYCLE_1)
	v_fma_f64 v[28:29], v[26:27], v[28:29], s[10:11]
	s_mov_b32 s10, 0xb55b1514
	s_mov_b32 s11, 0x3fe8ea18
	s_delay_alu instid0(VALU_DEP_2) | instskip(SKIP_2) | instid1(VALU_DEP_4)
	v_fma_f64 v[9:10], v[9:10], v[18:19], -v[20:21]
	v_fma_f64 v[18:19], v[36:37], v[32:33], v[34:35]
	v_cvt_i32_f64_e32 v34, v[24:25]
	v_fma_f64 v[28:29], v[26:27], v[28:29], 1.0
	s_delay_alu instid0(VALU_DEP_4) | instskip(NEXT) | instid1(VALU_DEP_4)
	v_add_f64 v[9:10], v[9:10], s[10:11]
	v_fma_f64 v[24:25], -v[18:19], v[18:19], v[30:31]
	s_delay_alu instid0(VALU_DEP_3) | instskip(NEXT) | instid1(VALU_DEP_3)
	v_fma_f64 v[26:27], v[26:27], v[28:29], 1.0
	v_add_f64 v[9:10], v[9:10], -v[20:21]
	s_delay_alu instid0(VALU_DEP_3) | instskip(NEXT) | instid1(VALU_DEP_3)
	v_fma_f64 v[18:19], v[24:25], v[32:33], v[18:19]
	v_ldexp_f64 v[20:21], v[26:27], v34
	s_delay_alu instid0(VALU_DEP_3) | instskip(SKIP_2) | instid1(VALU_DEP_4)
	v_mul_f64 v[24:25], v[9:10], 0.5
	v_cndmask_b32_e64 v9, 0, 0xffffff80, vcc_lo
	v_cmp_class_f64_e64 vcc_lo, v[30:31], 0x260
	v_cndmask_b32_e64 v10, 0x7ff00000, v21, s1
	s_delay_alu instid0(VALU_DEP_3) | instskip(SKIP_1) | instid1(VALU_DEP_1)
	v_ldexp_f64 v[18:19], v[18:19], v9
	v_cndmask_b32_e64 v9, 0, v20, s1
	v_mul_f64 v[20:21], v[9:10], v[24:25]
	s_delay_alu instid0(VALU_DEP_3) | instskip(NEXT) | instid1(VALU_DEP_1)
	v_dual_cndmask_b32 v19, v19, v31 :: v_dual_cndmask_b32 v18, v18, v30
	v_div_scale_f64 v[24:25], null, v[18:19], v[18:19], v[20:21]
	s_delay_alu instid0(VALU_DEP_1) | instskip(SKIP_2) | instid1(VALU_DEP_1)
	v_rcp_f64_e32 v[26:27], v[24:25]
	s_waitcnt_depctr 0xfff
	v_fma_f64 v[28:29], -v[24:25], v[26:27], 1.0
	v_fma_f64 v[26:27], v[26:27], v[28:29], v[26:27]
	s_delay_alu instid0(VALU_DEP_1) | instskip(NEXT) | instid1(VALU_DEP_1)
	v_fma_f64 v[28:29], -v[24:25], v[26:27], 1.0
	v_fma_f64 v[26:27], v[26:27], v[28:29], v[26:27]
	v_div_scale_f64 v[28:29], vcc_lo, v[20:21], v[18:19], v[20:21]
	s_delay_alu instid0(VALU_DEP_1) | instskip(NEXT) | instid1(VALU_DEP_1)
	v_mul_f64 v[30:31], v[28:29], v[26:27]
	v_fma_f64 v[24:25], -v[24:25], v[30:31], v[28:29]
	s_delay_alu instid0(VALU_DEP_1) | instskip(NEXT) | instid1(VALU_DEP_1)
	v_div_fmas_f64 v[24:25], v[24:25], v[26:27], v[30:31]
	v_div_fixup_f64 v[18:19], v[24:25], v[18:19], v[20:21]
.LBB0_44:
	s_or_b32 exec_lo, exec_lo, s2
	s_delay_alu instid0(VALU_DEP_2)
	v_frexp_mant_f64_e32 v[20:21], v[2:3]
	s_mov_b32 s3, 0x3fe55555
	s_mov_b32 s2, 0x55555555
	v_mov_b32_e32 v24, 0
	v_fma_f64 v[36:37], v[16:17], v[16:17], -2.0
	s_mov_b32 s10, 0x7a0399e0
	s_mov_b32 s11, 0xbce5dd51
	;; [unrolled: 1-line block ×4, first 2 shown]
	v_frexp_exp_i32_f64_e32 v48, v[2:3]
	v_cmp_eq_f64_e64 s1, 0x7ff00000, v[2:3]
	v_cmp_gt_f64_e32 vcc_lo, s[2:3], v[20:21]
	s_mov_b32 s2, 0x55555780
	s_delay_alu instid0(VALU_DEP_4) | instskip(SKIP_4) | instid1(VALU_DEP_1)
	v_fma_f64 v[38:39], v[36:37], s[12:13], s[10:11]
	s_mov_b32 s13, 0x3c603228
	s_mov_b32 s10, 0xddd0e045
	;; [unrolled: 1-line block ×3, first 2 shown]
	v_cndmask_b32_e64 v25, 0x3ff00000, 2.0, vcc_lo
	v_mul_f64 v[20:21], v[20:21], v[24:25]
	s_delay_alu instid0(VALU_DEP_1) | instskip(SKIP_1) | instid1(VALU_DEP_2)
	v_add_f64 v[24:25], v[20:21], 1.0
	v_add_f64 v[30:31], v[20:21], -1.0
	v_rcp_f64_e32 v[26:27], v[24:25]
	v_add_f64 v[32:33], v[24:25], -1.0
	s_delay_alu instid0(VALU_DEP_1) | instskip(SKIP_2) | instid1(VALU_DEP_1)
	v_add_f64 v[20:21], v[20:21], -v[32:33]
	s_waitcnt_depctr 0xfff
	v_fma_f64 v[28:29], -v[24:25], v[26:27], 1.0
	v_fma_f64 v[26:27], v[28:29], v[26:27], v[26:27]
	s_delay_alu instid0(VALU_DEP_1) | instskip(NEXT) | instid1(VALU_DEP_1)
	v_fma_f64 v[28:29], -v[24:25], v[26:27], 1.0
	v_fma_f64 v[26:27], v[28:29], v[26:27], v[26:27]
	s_delay_alu instid0(VALU_DEP_1) | instskip(NEXT) | instid1(VALU_DEP_1)
	v_mul_f64 v[28:29], v[30:31], v[26:27]
	v_mul_f64 v[34:35], v[24:25], v[28:29]
	s_delay_alu instid0(VALU_DEP_1) | instskip(NEXT) | instid1(VALU_DEP_1)
	v_fma_f64 v[24:25], v[28:29], v[24:25], -v[34:35]
	v_fma_f64 v[20:21], v[28:29], v[20:21], v[24:25]
	s_delay_alu instid0(VALU_DEP_1) | instskip(NEXT) | instid1(VALU_DEP_1)
	v_add_f64 v[24:25], v[34:35], v[20:21]
	v_add_f64 v[32:33], v[30:31], -v[24:25]
	v_add_f64 v[34:35], v[24:25], -v[34:35]
	s_delay_alu instid0(VALU_DEP_2) | instskip(NEXT) | instid1(VALU_DEP_2)
	v_add_f64 v[30:31], v[30:31], -v[32:33]
	v_add_f64 v[20:21], v[34:35], -v[20:21]
	s_delay_alu instid0(VALU_DEP_2) | instskip(SKIP_3) | instid1(VALU_DEP_2)
	v_add_f64 v[24:25], v[30:31], -v[24:25]
	v_fma_f64 v[30:31], v[36:37], v[38:39], s[12:13]
	s_mov_b32 s12, 0xbf559e2b
	s_mov_b32 s13, 0x3fc3ab76
	v_add_f64 v[20:21], v[20:21], v[24:25]
	s_delay_alu instid0(VALU_DEP_2) | instskip(SKIP_2) | instid1(VALU_DEP_2)
	v_add_f64 v[24:25], v[30:31], s[10:11]
	s_mov_b32 s10, 0xb84626ca
	s_mov_b32 s11, 0xbde3663b
	v_add_f64 v[20:21], v[32:33], v[20:21]
	s_delay_alu instid0(VALU_DEP_2) | instskip(NEXT) | instid1(VALU_DEP_2)
	v_fma_f64 v[30:31], v[36:37], v[24:25], -v[38:39]
	v_mul_f64 v[20:21], v[26:27], v[20:21]
	s_delay_alu instid0(VALU_DEP_2) | instskip(SKIP_2) | instid1(VALU_DEP_2)
	v_add_f64 v[26:27], v[30:31], s[10:11]
	s_mov_b32 s10, 0x145c31d0
	s_mov_b32 s11, 0xbe57c41d
	v_add_f64 v[30:31], v[28:29], v[20:21]
	s_delay_alu instid0(VALU_DEP_2) | instskip(NEXT) | instid1(VALU_DEP_2)
	v_fma_f64 v[24:25], v[36:37], v[26:27], -v[24:25]
	v_mul_f64 v[32:33], v[30:31], v[30:31]
	s_delay_alu instid0(VALU_DEP_2) | instskip(SKIP_3) | instid1(VALU_DEP_3)
	v_add_f64 v[24:25], v[24:25], s[10:11]
	s_mov_b32 s10, 0x6b47b09a
	s_mov_b32 s11, 0x3fc38538
	v_add_f64 v[28:29], v[30:31], -v[28:29]
	v_fma_f64 v[34:35], v[32:33], s[12:13], s[10:11]
	s_delay_alu instid0(VALU_DEP_3) | instskip(SKIP_3) | instid1(VALU_DEP_4)
	v_fma_f64 v[26:27], v[36:37], v[24:25], -v[26:27]
	s_mov_b32 s10, 0xd7f4df2e
	s_mov_b32 s11, 0x3fc7474d
	v_mul_f64 v[38:39], v[30:31], v[32:33]
	v_add_f64 v[20:21], v[20:21], -v[28:29]
	s_delay_alu instid0(VALU_DEP_4)
	v_fma_f64 v[34:35], v[32:33], v[34:35], s[10:11]
	s_mov_b32 s10, 0x2c832e3a
	s_mov_b32 s11, 0xbec469b3
	s_delay_alu instid0(VALU_DEP_4) | instid1(SALU_CYCLE_1)
	v_add_f64 v[26:27], v[26:27], s[10:11]
	s_mov_b32 s10, 0x16291751
	s_mov_b32 s11, 0x3fcc71c0
	s_delay_alu instid0(VALU_DEP_3) | instskip(NEXT) | instid1(VALU_DEP_3)
	v_ldexp_f64 v[20:21], v[20:21], 1
	v_fma_f64 v[34:35], v[32:33], v[34:35], s[10:11]
	s_mov_b32 s10, 0x9b27acf1
	s_mov_b32 s11, 0x3fd24924
	s_delay_alu instid0(VALU_DEP_3) | instskip(NEXT) | instid1(VALU_DEP_2)
	v_fma_f64 v[24:25], v[36:37], v[26:27], -v[24:25]
	v_fma_f64 v[34:35], v[32:33], v[34:35], s[10:11]
	s_mov_b32 s10, 0xe5a3bd02
	s_mov_b32 s11, 0xbf26ade2
	s_delay_alu instid0(VALU_DEP_2) | instid1(SALU_CYCLE_1)
	v_add_f64 v[24:25], v[24:25], s[10:11]
	s_mov_b32 s10, 0x998ef7b6
	s_mov_b32 s11, 0x3fd99999
	s_delay_alu instid0(VALU_DEP_2) | instid1(SALU_CYCLE_1)
	v_fma_f64 v[34:35], v[32:33], v[34:35], s[10:11]
	s_delay_alu instid0(VALU_DEP_2) | instskip(NEXT) | instid1(VALU_DEP_2)
	v_fma_f64 v[26:27], v[36:37], v[24:25], -v[26:27]
	v_fma_f64 v[32:33], v[32:33], v[34:35], s[2:3]
	s_mov_b32 s2, 0x9d7d4192
	s_mov_b32 s3, 0xbf7c9293
	v_ldexp_f64 v[34:35], v[30:31], 1
	s_delay_alu instid0(VALU_DEP_3) | instskip(SKIP_2) | instid1(VALU_DEP_3)
	v_add_f64 v[26:27], v[26:27], s[2:3]
	s_mov_b32 s2, 0x43c1db74
	s_mov_b32 s3, 0xbfbf6372
	v_mul_f64 v[32:33], v[38:39], v[32:33]
	v_subrev_co_ci_u32_e32 v38, vcc_lo, 0, v48, vcc_lo
	s_delay_alu instid0(VALU_DEP_3) | instskip(NEXT) | instid1(VALU_DEP_2)
	v_fma_f64 v[24:25], v[36:37], v[26:27], -v[24:25]
	v_cvt_f64_i32_e32 v[38:39], v38
	s_delay_alu instid0(VALU_DEP_4) | instskip(NEXT) | instid1(VALU_DEP_3)
	v_add_f64 v[30:31], v[34:35], v[32:33]
	v_add_f64 v[24:25], v[24:25], s[2:3]
	s_mov_b32 s2, 0xfefa39ef
	s_mov_b32 s3, 0x3fe62e42
	s_delay_alu instid0(VALU_DEP_3) | instid1(SALU_CYCLE_1)
	v_mul_f64 v[48:49], v[38:39], s[2:3]
	s_delay_alu instid0(VALU_DEP_3) | instskip(NEXT) | instid1(VALU_DEP_3)
	v_add_f64 v[28:29], v[30:31], -v[34:35]
	v_fma_f64 v[26:27], v[36:37], v[24:25], -v[26:27]
	s_delay_alu instid0(VALU_DEP_3) | instskip(SKIP_2) | instid1(VALU_DEP_3)
	v_fma_f64 v[34:35], v[38:39], s[2:3], -v[48:49]
	s_mov_b32 s2, 0x757b0dd4
	s_mov_b32 s3, 0xbfd69a1b
	v_add_f64 v[28:29], v[32:33], -v[28:29]
	s_delay_alu instid0(VALU_DEP_3)
	v_add_f64 v[26:27], v[26:27], s[2:3]
	s_mov_b32 s2, 0x3b39803f
	s_mov_b32 s3, 0x3c7abc9e
	s_delay_alu instid0(VALU_DEP_3) | instid1(SALU_CYCLE_1)
	v_fma_f64 v[32:33], v[38:39], s[2:3], v[34:35]
	s_mov_b32 s2, 0x361008ca
	s_mov_b32 s3, 0x3ff867a1
	s_delay_alu instid0(VALU_DEP_3) | instskip(NEXT) | instid1(VALU_DEP_3)
	v_add_f64 v[20:21], v[20:21], v[28:29]
	v_fma_f64 v[26:27], v[36:37], v[26:27], -v[24:25]
	s_delay_alu instid0(VALU_DEP_3) | instskip(NEXT) | instid1(VALU_DEP_3)
	v_add_f64 v[28:29], v[48:49], v[32:33]
	v_add_f64 v[34:35], v[30:31], v[20:21]
	s_delay_alu instid0(VALU_DEP_3) | instskip(NEXT) | instid1(VALU_DEP_3)
	v_add_f64 v[26:27], v[26:27], s[2:3]
	v_add_f64 v[38:39], v[28:29], -v[48:49]
	s_delay_alu instid0(VALU_DEP_3) | instskip(SKIP_1) | instid1(VALU_DEP_4)
	v_add_f64 v[36:37], v[28:29], v[34:35]
	v_add_f64 v[30:31], v[34:35], -v[30:31]
	v_add_f64 v[24:25], v[26:27], -v[24:25]
	s_delay_alu instid0(VALU_DEP_4) | instskip(NEXT) | instid1(VALU_DEP_4)
	v_add_f64 v[32:33], v[32:33], -v[38:39]
	v_add_f64 v[26:27], v[36:37], -v[28:29]
	s_delay_alu instid0(VALU_DEP_4) | instskip(NEXT) | instid1(VALU_DEP_4)
	v_add_f64 v[20:21], v[20:21], -v[30:31]
	v_mul_f64 v[24:25], v[24:25], 0.5
	s_delay_alu instid0(VALU_DEP_3) | instskip(SKIP_1) | instid1(VALU_DEP_4)
	v_add_f64 v[48:49], v[36:37], -v[26:27]
	v_add_f64 v[26:27], v[34:35], -v[26:27]
	v_add_f64 v[34:35], v[32:33], v[20:21]
	s_delay_alu instid0(VALU_DEP_4) | instskip(NEXT) | instid1(VALU_DEP_4)
	v_div_scale_f64 v[50:51], null, v[16:17], v[16:17], v[24:25]
	v_add_f64 v[28:29], v[28:29], -v[48:49]
	s_delay_alu instid0(VALU_DEP_3) | instskip(NEXT) | instid1(VALU_DEP_3)
	v_add_f64 v[38:39], v[34:35], -v[32:33]
	v_rcp_f64_e32 v[30:31], v[50:51]
	s_delay_alu instid0(VALU_DEP_2) | instskip(NEXT) | instid1(VALU_DEP_2)
	v_add_f64 v[26:27], v[26:27], v[28:29]
	v_add_f64 v[20:21], v[20:21], -v[38:39]
	s_waitcnt_depctr 0xfff
	v_fma_f64 v[28:29], -v[50:51], v[30:31], 1.0
	v_add_f64 v[26:27], v[34:35], v[26:27]
	s_delay_alu instid0(VALU_DEP_2) | instskip(SKIP_1) | instid1(VALU_DEP_3)
	v_fma_f64 v[28:29], v[30:31], v[28:29], v[30:31]
	v_add_f64 v[30:31], v[34:35], -v[38:39]
	v_add_f64 v[34:35], v[36:37], v[26:27]
	s_delay_alu instid0(VALU_DEP_3) | instskip(NEXT) | instid1(VALU_DEP_3)
	v_fma_f64 v[48:49], -v[50:51], v[28:29], 1.0
	v_add_f64 v[30:31], v[32:33], -v[30:31]
	s_delay_alu instid0(VALU_DEP_3) | instskip(SKIP_1) | instid1(VALU_DEP_4)
	v_add_f64 v[32:33], v[34:35], -v[36:37]
	v_div_scale_f64 v[36:37], vcc_lo, v[24:25], v[16:17], v[24:25]
	v_fma_f64 v[28:29], v[28:29], v[48:49], v[28:29]
	s_delay_alu instid0(VALU_DEP_4) | instskip(NEXT) | instid1(VALU_DEP_4)
	v_add_f64 v[20:21], v[20:21], v[30:31]
	v_add_f64 v[26:27], v[26:27], -v[32:33]
	s_delay_alu instid0(VALU_DEP_3) | instskip(NEXT) | instid1(VALU_DEP_2)
	v_mul_f64 v[30:31], v[36:37], v[28:29]
	v_add_f64 v[20:21], v[20:21], v[26:27]
	s_delay_alu instid0(VALU_DEP_2) | instskip(NEXT) | instid1(VALU_DEP_2)
	v_fma_f64 v[26:27], -v[50:51], v[30:31], v[36:37]
	v_add_f64 v[20:21], v[34:35], v[20:21]
	s_delay_alu instid0(VALU_DEP_2) | instskip(SKIP_1) | instid1(VALU_DEP_3)
	v_div_fmas_f64 v[26:27], v[26:27], v[28:29], v[30:31]
	v_cmp_neq_f64_e32 vcc_lo, 0, v[2:3]
	v_cndmask_b32_e64 v20, v20, v2, s1
	s_delay_alu instid0(VALU_DEP_4) | instskip(NEXT) | instid1(VALU_DEP_4)
	v_cndmask_b32_e64 v21, v21, v3, s1
	v_div_fixup_f64 v[2:3], v[26:27], v[16:17], v[24:25]
	s_delay_alu instid0(VALU_DEP_2) | instskip(NEXT) | instid1(VALU_DEP_4)
	v_cndmask_b32_e32 v17, 0xfff00000, v21, vcc_lo
	v_cndmask_b32_e32 v16, 0, v20, vcc_lo
	s_delay_alu instid0(VALU_DEP_1) | instskip(NEXT) | instid1(VALU_DEP_1)
	v_fma_f64 v[2:3], v[16:17], v[18:19], v[2:3]
                                        ; implicit-def: $vgpr16_vgpr17
	v_mul_f64 v[9:10], v[9:10], v[2:3]
.LBB0_45:
	s_and_not1_saveexec_b32 s1, s8
	s_cbranch_execz .LBB0_47
; %bb.46:
	v_div_scale_f64 v[2:3], null, v[16:17], v[16:17], 0x40200000
	v_div_scale_f64 v[20:21], vcc_lo, 0x40200000, v[16:17], 0x40200000
	s_mov_b32 s2, 0x838f5ed3
	s_mov_b32 s3, 0x3c74af1a
	;; [unrolled: 1-line block ×4, first 2 shown]
	s_delay_alu instid0(VALU_DEP_2) | instskip(SKIP_2) | instid1(VALU_DEP_1)
	v_rcp_f64_e32 v[9:10], v[2:3]
	s_waitcnt_depctr 0xfff
	v_fma_f64 v[18:19], -v[2:3], v[9:10], 1.0
	v_fma_f64 v[9:10], v[9:10], v[18:19], v[9:10]
	s_delay_alu instid0(VALU_DEP_1) | instskip(NEXT) | instid1(VALU_DEP_1)
	v_fma_f64 v[18:19], -v[2:3], v[9:10], 1.0
	v_fma_f64 v[9:10], v[9:10], v[18:19], v[9:10]
	s_delay_alu instid0(VALU_DEP_1) | instskip(NEXT) | instid1(VALU_DEP_1)
	v_mul_f64 v[18:19], v[20:21], v[9:10]
	v_fma_f64 v[2:3], -v[2:3], v[18:19], v[20:21]
	s_delay_alu instid0(VALU_DEP_1) | instskip(SKIP_1) | instid1(VALU_DEP_2)
	v_div_fmas_f64 v[2:3], v[2:3], v[9:10], v[18:19]
	v_cmp_gt_f64_e32 vcc_lo, 0x10000000, v[16:17]
	v_div_fixup_f64 v[2:3], v[2:3], v[16:17], 0x40200000
	v_cndmask_b32_e64 v20, 0, 1, vcc_lo
	s_delay_alu instid0(VALU_DEP_1) | instskip(NEXT) | instid1(VALU_DEP_1)
	v_lshlrev_b32_e32 v20, 8, v20
	v_ldexp_f64 v[16:17], v[16:17], v20
	s_delay_alu instid0(VALU_DEP_4) | instskip(NEXT) | instid1(VALU_DEP_2)
	v_add_f64 v[2:3], v[2:3], -2.0
	v_rsq_f64_e32 v[20:21], v[16:17]
	s_delay_alu instid0(VALU_DEP_1)
	v_fma_f64 v[9:10], v[2:3], s[8:9], s[2:3]
	s_mov_b32 s9, 0x3c5a8c5d
	s_mov_b32 s2, 0x17771d52
	;; [unrolled: 1-line block ×3, first 2 shown]
	s_waitcnt_depctr 0xfff
	v_mul_f64 v[24:25], v[16:17], v[20:21]
	v_mul_f64 v[20:21], v[20:21], 0.5
	v_fma_f64 v[18:19], v[2:3], v[9:10], s[8:9]
	s_delay_alu instid0(VALU_DEP_2) | instskip(NEXT) | instid1(VALU_DEP_2)
	v_fma_f64 v[26:27], -v[20:21], v[24:25], 0.5
	v_add_f64 v[18:19], v[18:19], s[2:3]
	s_mov_b32 s2, 0x44ee2c0b
	s_mov_b32 s3, 0x3caa7d5e
	s_delay_alu instid0(VALU_DEP_2) | instskip(SKIP_1) | instid1(VALU_DEP_3)
	v_fma_f64 v[24:25], v[24:25], v[26:27], v[24:25]
	v_fma_f64 v[20:21], v[20:21], v[26:27], v[20:21]
	v_fma_f64 v[9:10], v[2:3], v[18:19], -v[9:10]
	s_delay_alu instid0(VALU_DEP_3) | instskip(NEXT) | instid1(VALU_DEP_2)
	v_fma_f64 v[26:27], -v[24:25], v[24:25], v[16:17]
	v_add_f64 v[9:10], v[9:10], s[2:3]
	s_mov_b32 s2, 0xd8758ef2
	s_mov_b32 s3, 0xbcc5d2a3
	s_delay_alu instid0(VALU_DEP_2) | instskip(NEXT) | instid1(VALU_DEP_2)
	v_fma_f64 v[24:25], v[26:27], v[20:21], v[24:25]
	v_fma_f64 v[18:19], v[2:3], v[9:10], -v[18:19]
	s_delay_alu instid0(VALU_DEP_1) | instskip(SKIP_2) | instid1(VALU_DEP_1)
	v_add_f64 v[18:19], v[18:19], s[2:3]
	s_mov_b32 s2, 0xefee81bd
	s_mov_b32 s3, 0x3ce25ced
	v_fma_f64 v[9:10], v[2:3], v[18:19], -v[9:10]
	s_delay_alu instid0(VALU_DEP_1) | instskip(SKIP_2) | instid1(VALU_DEP_1)
	v_add_f64 v[9:10], v[9:10], s[2:3]
	s_mov_b32 s2, 0x364185ab
	s_mov_b32 s3, 0xbcff9d52
	;; [unrolled: 5-line block ×20, first 2 shown]
	v_fma_f64 v[2:3], v[2:3], v[9:10], -v[18:19]
	v_fma_f64 v[9:10], -v[24:25], v[24:25], v[16:17]
	s_delay_alu instid0(VALU_DEP_2) | instskip(NEXT) | instid1(VALU_DEP_2)
	v_add_f64 v[2:3], v[2:3], s[2:3]
	v_fma_f64 v[9:10], v[9:10], v[20:21], v[24:25]
	s_delay_alu instid0(VALU_DEP_2) | instskip(SKIP_2) | instid1(VALU_DEP_2)
	v_add_f64 v[2:3], v[2:3], -v[18:19]
	v_cndmask_b32_e64 v18, 0, 0xffffff80, vcc_lo
	v_cmp_class_f64_e64 vcc_lo, v[16:17], 0x260
	v_ldexp_f64 v[9:10], v[9:10], v18
	s_delay_alu instid0(VALU_DEP_4) | instskip(NEXT) | instid1(VALU_DEP_2)
	v_mul_f64 v[2:3], v[2:3], 0.5
	v_dual_cndmask_b32 v10, v10, v17 :: v_dual_cndmask_b32 v9, v9, v16
	s_delay_alu instid0(VALU_DEP_1) | instskip(NEXT) | instid1(VALU_DEP_1)
	v_div_scale_f64 v[16:17], null, v[9:10], v[9:10], v[2:3]
	v_rcp_f64_e32 v[18:19], v[16:17]
	s_waitcnt_depctr 0xfff
	v_fma_f64 v[20:21], -v[16:17], v[18:19], 1.0
	s_delay_alu instid0(VALU_DEP_1) | instskip(NEXT) | instid1(VALU_DEP_1)
	v_fma_f64 v[18:19], v[18:19], v[20:21], v[18:19]
	v_fma_f64 v[20:21], -v[16:17], v[18:19], 1.0
	s_delay_alu instid0(VALU_DEP_1) | instskip(SKIP_1) | instid1(VALU_DEP_1)
	v_fma_f64 v[18:19], v[18:19], v[20:21], v[18:19]
	v_div_scale_f64 v[20:21], vcc_lo, v[2:3], v[9:10], v[2:3]
	v_mul_f64 v[24:25], v[20:21], v[18:19]
	s_delay_alu instid0(VALU_DEP_1) | instskip(NEXT) | instid1(VALU_DEP_1)
	v_fma_f64 v[16:17], -v[16:17], v[24:25], v[20:21]
	v_div_fmas_f64 v[16:17], v[16:17], v[18:19], v[24:25]
	s_delay_alu instid0(VALU_DEP_1)
	v_div_fixup_f64 v[9:10], v[16:17], v[9:10], v[2:3]
.LBB0_47:
	s_or_b32 exec_lo, exec_lo, s1
.LBB0_48:
	s_delay_alu instid0(SALU_CYCLE_1)
	s_or_b32 exec_lo, exec_lo, s7
.LBB0_49:
	s_delay_alu instid0(SALU_CYCLE_1)
	s_or_b32 exec_lo, exec_lo, s6
.LBB0_50:
	s_delay_alu instid0(SALU_CYCLE_1) | instskip(SKIP_2) | instid1(VALU_DEP_1)
	s_or_b32 exec_lo, exec_lo, s5
	v_add_nc_u32_e32 v2, 0x300, v22
	s_mov_b32 s5, exec_lo
	v_cmpx_lt_i32_e64 v2, v4
	s_cbranch_execnz .LBB0_56
; %bb.51:
	s_or_b32 exec_lo, exec_lo, s5
	s_and_saveexec_b32 s1, s0
	s_delay_alu instid0(SALU_CYCLE_1)
	s_xor_b32 s0, exec_lo, s1
	s_cbranch_execnz .LBB0_69
.LBB0_52:
	s_or_b32 exec_lo, exec_lo, s0
	s_delay_alu instid0(SALU_CYCLE_1)
	s_mov_b32 s0, exec_lo
	v_cmpx_lt_i32_e64 v22, v4
	s_cbranch_execnz .LBB0_70
.LBB0_53:
	s_or_b32 exec_lo, exec_lo, s0
	s_delay_alu instid0(SALU_CYCLE_1)
	s_mov_b32 s0, exec_lo
	v_cmpx_lt_i32_e64 v22, v4
	s_cbranch_execnz .LBB0_71
.LBB0_54:
	s_or_b32 exec_lo, exec_lo, s0
	s_delay_alu instid0(SALU_CYCLE_1)
	s_mov_b32 s0, exec_lo
	v_cmpx_lt_i32_e64 v22, v4
	s_cbranch_execnz .LBB0_72
.LBB0_55:
	s_or_b32 exec_lo, exec_lo, s0
	s_waitcnt vmcnt(0) lgkmcnt(0)
	s_setpc_b64 s[30:31]
.LBB0_56:
	v_mov_b32_e32 v11, 0
	v_mov_b32_e32 v12, 0x7ff00000
	s_mov_b32 s6, exec_lo
	s_waitcnt vmcnt(0) lgkmcnt(0)
	v_cmpx_neq_f64_e32 0, v[14:15]
	s_cbranch_execz .LBB0_68
; %bb.57:
	v_mov_b32_e32 v11, 0
	v_mov_b32_e32 v12, 0x7ff80000
	s_mov_b32 s7, exec_lo
	v_cmpx_ngt_f64_e32 0, v[14:15]
	s_cbranch_execz .LBB0_67
; %bb.58:
	s_mov_b32 s1, exec_lo
	v_cmpx_ge_f64_e32 2.0, v[14:15]
	s_xor_b32 s8, exec_lo, s1
	s_cbranch_execz .LBB0_64
; %bb.59:
	v_mul_f64 v[2:3], v[14:15], 0.5
	s_mov_b32 s1, exec_lo
                                        ; implicit-def: $vgpr16_vgpr17
                                        ; implicit-def: $vgpr11_vgpr12
	v_cmpx_ge_f64_e32 0x40200000, v[14:15]
	s_xor_b32 s1, exec_lo, s1
	s_cbranch_execz .LBB0_61
; %bb.60:
	s_delay_alu instid0(VALU_DEP_2)
	v_add_f64 v[11:12], v[2:3], -2.0
	s_mov_b32 s2, 0xc38a0576
	s_mov_b32 s3, 0xbc7857d0
	;; [unrolled: 1-line block ×4, first 2 shown]
	v_cmp_nlt_f64_e32 vcc_lo, 0x40900000, v[14:15]
	s_delay_alu instid0(VALU_DEP_2) | instskip(SKIP_3) | instid1(VALU_DEP_1)
	v_fma_f64 v[16:17], v[11:12], s[10:11], s[2:3]
	s_mov_b32 s11, 0xbc499f2a
	s_mov_b32 s2, 0xe593bfac
	;; [unrolled: 1-line block ×3, first 2 shown]
	v_fma_f64 v[18:19], v[11:12], v[16:17], s[10:11]
	s_mov_b32 s10, 0x6a5dcb37
	s_mov_b32 s11, 0x3e5ade15
	s_delay_alu instid0(VALU_DEP_1) | instskip(SKIP_2) | instid1(VALU_DEP_1)
	v_add_f64 v[18:19], v[18:19], s[2:3]
	s_mov_b32 s2, 0x7e0d1573
	s_mov_b32 s3, 0xbcd3eaaa
	v_fma_f64 v[16:17], v[11:12], v[18:19], -v[16:17]
	s_delay_alu instid0(VALU_DEP_1) | instskip(SKIP_2) | instid1(VALU_DEP_1)
	v_add_f64 v[16:17], v[16:17], s[2:3]
	s_mov_b32 s2, 0x615290c
	s_mov_b32 s3, 0x3d011d7f
	v_fma_f64 v[18:19], v[11:12], v[16:17], -v[18:19]
	;; [unrolled: 5-line block ×19, first 2 shown]
	s_delay_alu instid0(VALU_DEP_1) | instskip(SKIP_2) | instid1(SALU_CYCLE_1)
	v_add_f64 v[16:17], v[16:17], s[2:3]
	s_mov_b32 s2, 0x652b82fe
	s_mov_b32 s3, 0x3ff71547
	v_mul_f64 v[20:21], v[14:15], s[2:3]
	s_mov_b32 s2, 0x49d3a1b4
	s_mov_b32 s3, 0x3f710653
	s_delay_alu instid0(VALU_DEP_2) | instskip(NEXT) | instid1(VALU_DEP_2)
	v_fma_f64 v[18:19], v[11:12], v[16:17], -v[18:19]
	v_rndne_f64_e32 v[20:21], v[20:21]
	s_delay_alu instid0(VALU_DEP_2)
	v_add_f64 v[18:19], v[18:19], s[2:3]
	s_mov_b32 s2, 0xfefa39ef
	s_mov_b32 s3, 0xbfe62e42
	s_delay_alu instid0(VALU_DEP_2) | instid1(SALU_CYCLE_1)
	v_fma_f64 v[24:25], v[20:21], s[2:3], v[14:15]
	s_mov_b32 s2, 0x7913a26a
	s_mov_b32 s3, 0xbf85a29f
	s_delay_alu instid0(VALU_DEP_2) | instskip(NEXT) | instid1(VALU_DEP_1)
	v_fma_f64 v[16:17], v[11:12], v[18:19], -v[16:17]
	v_add_f64 v[16:17], v[16:17], s[2:3]
	s_mov_b32 s2, 0x3b39803f
	s_mov_b32 s3, 0xbc7abc9e
	s_delay_alu instid0(VALU_DEP_3) | instid1(SALU_CYCLE_1)
	v_fma_f64 v[24:25], v[20:21], s[2:3], v[24:25]
	s_mov_b32 s2, 0xfca7ab0c
	s_mov_b32 s3, 0x3e928af3
	s_delay_alu instid0(VALU_DEP_2) | instskip(NEXT) | instid1(VALU_DEP_2)
	v_fma_f64 v[18:19], v[11:12], v[16:17], -v[18:19]
	v_fma_f64 v[26:27], v[24:25], s[10:11], s[2:3]
	s_mov_b32 s2, 0xe7bb2349
	s_mov_b32 s3, 0x3f9951e3
	s_delay_alu instid0(VALU_DEP_2) | instid1(SALU_CYCLE_1)
	v_add_f64 v[18:19], v[18:19], s[2:3]
	s_mov_b32 s2, 0x623fde64
	s_mov_b32 s3, 0x3ec71dee
	s_delay_alu instid0(VALU_DEP_2) | instid1(SALU_CYCLE_1)
	v_fma_f64 v[26:27], v[24:25], v[26:27], s[2:3]
	s_mov_b32 s2, 0x7c89e6b0
	s_mov_b32 s3, 0x3efa0199
	s_delay_alu instid0(VALU_DEP_2) | instskip(NEXT) | instid1(VALU_DEP_2)
	v_fma_f64 v[16:17], v[11:12], v[18:19], -v[16:17]
	v_fma_f64 v[26:27], v[24:25], v[26:27], s[2:3]
	s_mov_b32 s2, 0x537c9ebc
	s_mov_b32 s3, 0xbfab1bbc
	s_delay_alu instid0(VALU_DEP_2) | instid1(SALU_CYCLE_1)
	v_add_f64 v[16:17], v[16:17], s[2:3]
	s_mov_b32 s2, 0x14761f6e
	s_mov_b32 s3, 0x3f2a01a0
	s_delay_alu instid0(VALU_DEP_2) | instid1(SALU_CYCLE_1)
	;; [unrolled: 13-line block ×4, first 2 shown]
	v_fma_f64 v[26:27], v[24:25], v[26:27], s[2:3]
	s_mov_b32 s2, 11
	s_mov_b32 s3, 0x3fe00000
	s_delay_alu instid0(VALU_DEP_2) | instskip(NEXT) | instid1(VALU_DEP_2)
	v_fma_f64 v[11:12], v[11:12], v[16:17], -v[18:19]
	v_fma_f64 v[16:17], v[24:25], v[26:27], s[2:3]
	s_mov_b32 s2, 0x724a7ffa
	s_mov_b32 s3, 0x3fd02a63
	s_delay_alu instid0(VALU_DEP_2) | instid1(SALU_CYCLE_1)
	v_add_f64 v[11:12], v[11:12], s[2:3]
	s_delay_alu instid0(VALU_DEP_2) | instskip(NEXT) | instid1(VALU_DEP_2)
	v_fma_f64 v[16:17], v[24:25], v[16:17], 1.0
	v_add_f64 v[11:12], v[11:12], -v[18:19]
	v_cvt_i32_f64_e32 v18, v[20:21]
	s_delay_alu instid0(VALU_DEP_3) | instskip(NEXT) | instid1(VALU_DEP_3)
	v_fma_f64 v[16:17], v[24:25], v[16:17], 1.0
	v_mul_f64 v[11:12], v[11:12], 0.5
	s_delay_alu instid0(VALU_DEP_2) | instskip(NEXT) | instid1(VALU_DEP_2)
	v_ldexp_f64 v[16:17], v[16:17], v18
	v_mul_f64 v[18:19], v[14:15], v[11:12]
	s_delay_alu instid0(VALU_DEP_2) | instskip(NEXT) | instid1(VALU_DEP_3)
	v_cndmask_b32_e32 v12, 0x7ff00000, v17, vcc_lo
	v_cndmask_b32_e32 v11, 0, v16, vcc_lo
	s_delay_alu instid0(VALU_DEP_1)
	v_mul_f64 v[16:17], v[11:12], v[18:19]
.LBB0_61:
	s_and_not1_saveexec_b32 s2, s1
	s_cbranch_execz .LBB0_63
; %bb.62:
	v_div_scale_f64 v[11:12], null, v[14:15], v[14:15], 0x40400000
	v_div_scale_f64 v[20:21], vcc_lo, 0x40400000, v[14:15], 0x40400000
	s_mov_b32 s10, 0xea87b950
	s_mov_b32 s11, 0x3c545b8a
	s_mov_b32 s13, 0x3c61556d
	s_mov_b32 s12, 0xb352e8e6
	v_cmp_nlt_f64_e64 s1, 0x40900000, v[14:15]
	s_delay_alu instid0(VALU_DEP_3) | instskip(SKIP_2) | instid1(VALU_DEP_1)
	v_rcp_f64_e32 v[16:17], v[11:12]
	s_waitcnt_depctr 0xfff
	v_fma_f64 v[18:19], -v[11:12], v[16:17], 1.0
	v_fma_f64 v[16:17], v[16:17], v[18:19], v[16:17]
	s_delay_alu instid0(VALU_DEP_1) | instskip(NEXT) | instid1(VALU_DEP_1)
	v_fma_f64 v[18:19], -v[11:12], v[16:17], 1.0
	v_fma_f64 v[16:17], v[16:17], v[18:19], v[16:17]
	s_delay_alu instid0(VALU_DEP_1) | instskip(NEXT) | instid1(VALU_DEP_1)
	v_mul_f64 v[18:19], v[20:21], v[16:17]
	v_fma_f64 v[11:12], -v[11:12], v[18:19], v[20:21]
	s_delay_alu instid0(VALU_DEP_1) | instskip(SKIP_1) | instid1(VALU_DEP_2)
	v_div_fmas_f64 v[11:12], v[11:12], v[16:17], v[18:19]
	v_cmp_gt_f64_e32 vcc_lo, 0x10000000, v[14:15]
	v_div_fixup_f64 v[11:12], v[11:12], v[14:15], 0x40400000
	v_cndmask_b32_e64 v28, 0, 1, vcc_lo
	s_delay_alu instid0(VALU_DEP_1) | instskip(NEXT) | instid1(VALU_DEP_1)
	v_lshlrev_b32_e32 v28, 8, v28
	v_ldexp_f64 v[28:29], v[14:15], v28
	s_delay_alu instid0(VALU_DEP_4) | instskip(NEXT) | instid1(VALU_DEP_2)
	v_add_f64 v[11:12], v[11:12], -2.0
	v_rsq_f64_e32 v[30:31], v[28:29]
	s_delay_alu instid0(VALU_DEP_1)
	v_fma_f64 v[16:17], v[11:12], s[12:13], s[10:11]
	s_mov_b32 s13, 0xbc61556d
	s_mov_b32 s10, 0xb2532277
	;; [unrolled: 1-line block ×3, first 2 shown]
	s_waitcnt_depctr 0xfff
	v_mul_f64 v[32:33], v[28:29], v[30:31]
	v_mul_f64 v[30:31], v[30:31], 0.5
	v_fma_f64 v[18:19], v[11:12], v[16:17], s[12:13]
	s_mov_b32 s12, 0x6a5dcb37
	s_mov_b32 s13, 0x3e5ade15
	s_delay_alu instid0(VALU_DEP_2) | instskip(NEXT) | instid1(VALU_DEP_2)
	v_fma_f64 v[34:35], -v[30:31], v[32:33], 0.5
	v_add_f64 v[18:19], v[18:19], s[10:11]
	s_mov_b32 s10, 0x9c773320
	s_mov_b32 s11, 0xbc82806c
	s_delay_alu instid0(VALU_DEP_2) | instskip(SKIP_1) | instid1(VALU_DEP_3)
	v_fma_f64 v[32:33], v[32:33], v[34:35], v[32:33]
	v_fma_f64 v[30:31], v[30:31], v[34:35], v[30:31]
	v_fma_f64 v[16:17], v[11:12], v[18:19], -v[16:17]
	s_delay_alu instid0(VALU_DEP_3) | instskip(NEXT) | instid1(VALU_DEP_2)
	v_fma_f64 v[34:35], -v[32:33], v[32:33], v[28:29]
	v_add_f64 v[16:17], v[16:17], s[10:11]
	s_mov_b32 s10, 0xfceb588a
	s_mov_b32 s11, 0x3cb55915
	s_delay_alu instid0(VALU_DEP_1) | instskip(NEXT) | instid1(VALU_DEP_1)
	v_fma_f64 v[18:19], v[11:12], v[16:17], -v[18:19]
	v_add_f64 v[18:19], v[18:19], s[10:11]
	s_mov_b32 s10, 0x5f04a2d1
	s_mov_b32 s11, 0x3cb7d68e
	s_delay_alu instid0(VALU_DEP_1) | instskip(NEXT) | instid1(VALU_DEP_1)
	v_fma_f64 v[16:17], v[11:12], v[18:19], -v[16:17]
	;; [unrolled: 5-line block ×14, first 2 shown]
	v_add_f64 v[16:17], v[16:17], s[10:11]
	s_mov_b32 s10, 0x652b82fe
	s_mov_b32 s11, 0x3ff71547
	s_delay_alu instid0(SALU_CYCLE_1) | instskip(SKIP_2) | instid1(VALU_DEP_2)
	v_mul_f64 v[20:21], v[14:15], s[10:11]
	s_mov_b32 s10, 0x9ad53528
	s_mov_b32 s11, 0xbe30790b
	v_fma_f64 v[18:19], v[11:12], v[16:17], -v[18:19]
	s_delay_alu instid0(VALU_DEP_2) | instskip(NEXT) | instid1(VALU_DEP_2)
	v_rndne_f64_e32 v[20:21], v[20:21]
	v_add_f64 v[18:19], v[18:19], s[10:11]
	s_mov_b32 s10, 0xfefa39ef
	s_mov_b32 s11, 0xbfe62e42
	s_delay_alu instid0(VALU_DEP_2) | instid1(SALU_CYCLE_1)
	v_fma_f64 v[24:25], v[20:21], s[10:11], v[14:15]
	s_mov_b32 s10, 0x3b39803f
	s_mov_b32 s11, 0xbc7abc9e
	s_delay_alu instid0(VALU_DEP_2) | instskip(NEXT) | instid1(VALU_DEP_2)
	v_fma_f64 v[16:17], v[11:12], v[18:19], -v[16:17]
	v_fma_f64 v[24:25], v[20:21], s[10:11], v[24:25]
	s_mov_b32 s10, 0x94bb46c1
	s_mov_b32 s11, 0xbe5c4153
	s_delay_alu instid0(VALU_DEP_2) | instid1(SALU_CYCLE_1)
	v_add_f64 v[16:17], v[16:17], s[10:11]
	s_mov_b32 s10, 0xfca7ab0c
	s_mov_b32 s11, 0x3e928af3
	s_delay_alu instid0(VALU_DEP_2) | instid1(SALU_CYCLE_1)
	v_fma_f64 v[26:27], v[24:25], s[12:13], s[10:11]
	s_mov_b32 s10, 0x623fde64
	s_mov_b32 s11, 0x3ec71dee
	s_delay_alu instid0(VALU_DEP_2) | instskip(NEXT) | instid1(VALU_DEP_2)
	v_fma_f64 v[18:19], v[11:12], v[16:17], -v[18:19]
	v_fma_f64 v[26:27], v[24:25], v[26:27], s[10:11]
	s_mov_b32 s10, 0x2e9e5443
	s_mov_b32 s11, 0xbe90dbfd
	s_delay_alu instid0(VALU_DEP_2) | instid1(SALU_CYCLE_1)
	;; [unrolled: 13-line block ×5, first 2 shown]
	v_add_f64 v[16:17], v[16:17], s[10:11]
	s_mov_b32 s10, 11
	s_mov_b32 s11, 0x3fe00000
	s_delay_alu instid0(VALU_DEP_2) | instid1(SALU_CYCLE_1)
	v_fma_f64 v[26:27], v[24:25], v[26:27], s[10:11]
	s_mov_b32 s10, 0xb55b1514
	s_mov_b32 s11, 0x3fe8ea18
	s_delay_alu instid0(VALU_DEP_2) | instskip(SKIP_2) | instid1(VALU_DEP_4)
	v_fma_f64 v[11:12], v[11:12], v[16:17], -v[18:19]
	v_fma_f64 v[16:17], v[34:35], v[30:31], v[32:33]
	v_cvt_i32_f64_e32 v32, v[20:21]
	v_fma_f64 v[26:27], v[24:25], v[26:27], 1.0
	s_delay_alu instid0(VALU_DEP_4) | instskip(NEXT) | instid1(VALU_DEP_4)
	v_add_f64 v[11:12], v[11:12], s[10:11]
	v_fma_f64 v[20:21], -v[16:17], v[16:17], v[28:29]
	s_delay_alu instid0(VALU_DEP_3) | instskip(NEXT) | instid1(VALU_DEP_3)
	v_fma_f64 v[24:25], v[24:25], v[26:27], 1.0
	v_add_f64 v[11:12], v[11:12], -v[18:19]
	s_delay_alu instid0(VALU_DEP_3) | instskip(NEXT) | instid1(VALU_DEP_3)
	v_fma_f64 v[16:17], v[20:21], v[30:31], v[16:17]
	v_ldexp_f64 v[18:19], v[24:25], v32
	s_delay_alu instid0(VALU_DEP_3) | instskip(SKIP_2) | instid1(VALU_DEP_4)
	v_mul_f64 v[20:21], v[11:12], 0.5
	v_cndmask_b32_e64 v11, 0, 0xffffff80, vcc_lo
	v_cmp_class_f64_e64 vcc_lo, v[28:29], 0x260
	v_cndmask_b32_e64 v12, 0x7ff00000, v19, s1
	s_delay_alu instid0(VALU_DEP_3) | instskip(SKIP_1) | instid1(VALU_DEP_1)
	v_ldexp_f64 v[16:17], v[16:17], v11
	v_cndmask_b32_e64 v11, 0, v18, s1
	v_mul_f64 v[18:19], v[11:12], v[20:21]
	s_delay_alu instid0(VALU_DEP_3) | instskip(NEXT) | instid1(VALU_DEP_1)
	v_dual_cndmask_b32 v17, v17, v29 :: v_dual_cndmask_b32 v16, v16, v28
	v_div_scale_f64 v[20:21], null, v[16:17], v[16:17], v[18:19]
	s_delay_alu instid0(VALU_DEP_1) | instskip(SKIP_2) | instid1(VALU_DEP_1)
	v_rcp_f64_e32 v[24:25], v[20:21]
	s_waitcnt_depctr 0xfff
	v_fma_f64 v[26:27], -v[20:21], v[24:25], 1.0
	v_fma_f64 v[24:25], v[24:25], v[26:27], v[24:25]
	s_delay_alu instid0(VALU_DEP_1) | instskip(NEXT) | instid1(VALU_DEP_1)
	v_fma_f64 v[26:27], -v[20:21], v[24:25], 1.0
	v_fma_f64 v[24:25], v[24:25], v[26:27], v[24:25]
	v_div_scale_f64 v[26:27], vcc_lo, v[18:19], v[16:17], v[18:19]
	s_delay_alu instid0(VALU_DEP_1) | instskip(NEXT) | instid1(VALU_DEP_1)
	v_mul_f64 v[28:29], v[26:27], v[24:25]
	v_fma_f64 v[20:21], -v[20:21], v[28:29], v[26:27]
	s_delay_alu instid0(VALU_DEP_1) | instskip(NEXT) | instid1(VALU_DEP_1)
	v_div_fmas_f64 v[20:21], v[20:21], v[24:25], v[28:29]
	v_div_fixup_f64 v[16:17], v[20:21], v[16:17], v[18:19]
.LBB0_63:
	s_or_b32 exec_lo, exec_lo, s2
	s_delay_alu instid0(VALU_DEP_2)
	v_frexp_mant_f64_e32 v[18:19], v[2:3]
	s_mov_b32 s3, 0x3fe55555
	s_mov_b32 s2, 0x55555555
	v_mov_b32_e32 v20, 0
	v_fma_f64 v[34:35], v[14:15], v[14:15], -2.0
	s_mov_b32 s10, 0x7a0399e0
	s_mov_b32 s11, 0xbce5dd51
	;; [unrolled: 1-line block ×4, first 2 shown]
	v_frexp_exp_i32_f64_e32 v38, v[2:3]
	v_cmp_eq_f64_e64 s1, 0x7ff00000, v[2:3]
	v_cmp_gt_f64_e32 vcc_lo, s[2:3], v[18:19]
	s_mov_b32 s2, 0x55555780
	s_delay_alu instid0(VALU_DEP_4) | instskip(SKIP_4) | instid1(VALU_DEP_1)
	v_fma_f64 v[36:37], v[34:35], s[12:13], s[10:11]
	s_mov_b32 s13, 0x3c603228
	s_mov_b32 s10, 0xddd0e045
	;; [unrolled: 1-line block ×3, first 2 shown]
	v_cndmask_b32_e64 v21, 0x3ff00000, 2.0, vcc_lo
	v_mul_f64 v[18:19], v[18:19], v[20:21]
	s_delay_alu instid0(VALU_DEP_1) | instskip(SKIP_1) | instid1(VALU_DEP_2)
	v_add_f64 v[20:21], v[18:19], 1.0
	v_add_f64 v[28:29], v[18:19], -1.0
	v_rcp_f64_e32 v[24:25], v[20:21]
	v_add_f64 v[30:31], v[20:21], -1.0
	s_delay_alu instid0(VALU_DEP_1) | instskip(SKIP_2) | instid1(VALU_DEP_1)
	v_add_f64 v[18:19], v[18:19], -v[30:31]
	s_waitcnt_depctr 0xfff
	v_fma_f64 v[26:27], -v[20:21], v[24:25], 1.0
	v_fma_f64 v[24:25], v[26:27], v[24:25], v[24:25]
	s_delay_alu instid0(VALU_DEP_1) | instskip(NEXT) | instid1(VALU_DEP_1)
	v_fma_f64 v[26:27], -v[20:21], v[24:25], 1.0
	v_fma_f64 v[24:25], v[26:27], v[24:25], v[24:25]
	s_delay_alu instid0(VALU_DEP_1) | instskip(NEXT) | instid1(VALU_DEP_1)
	v_mul_f64 v[26:27], v[28:29], v[24:25]
	v_mul_f64 v[32:33], v[20:21], v[26:27]
	s_delay_alu instid0(VALU_DEP_1) | instskip(NEXT) | instid1(VALU_DEP_1)
	v_fma_f64 v[20:21], v[26:27], v[20:21], -v[32:33]
	v_fma_f64 v[18:19], v[26:27], v[18:19], v[20:21]
	s_delay_alu instid0(VALU_DEP_1) | instskip(NEXT) | instid1(VALU_DEP_1)
	v_add_f64 v[20:21], v[32:33], v[18:19]
	v_add_f64 v[30:31], v[28:29], -v[20:21]
	v_add_f64 v[32:33], v[20:21], -v[32:33]
	s_delay_alu instid0(VALU_DEP_2) | instskip(NEXT) | instid1(VALU_DEP_2)
	v_add_f64 v[28:29], v[28:29], -v[30:31]
	v_add_f64 v[18:19], v[32:33], -v[18:19]
	s_delay_alu instid0(VALU_DEP_2) | instskip(SKIP_3) | instid1(VALU_DEP_2)
	v_add_f64 v[20:21], v[28:29], -v[20:21]
	v_fma_f64 v[28:29], v[34:35], v[36:37], s[12:13]
	s_mov_b32 s12, 0xbf559e2b
	s_mov_b32 s13, 0x3fc3ab76
	v_add_f64 v[18:19], v[18:19], v[20:21]
	s_delay_alu instid0(VALU_DEP_2) | instskip(SKIP_2) | instid1(VALU_DEP_2)
	v_add_f64 v[20:21], v[28:29], s[10:11]
	s_mov_b32 s10, 0xb84626ca
	s_mov_b32 s11, 0xbde3663b
	v_add_f64 v[18:19], v[30:31], v[18:19]
	s_delay_alu instid0(VALU_DEP_2) | instskip(NEXT) | instid1(VALU_DEP_2)
	v_fma_f64 v[28:29], v[34:35], v[20:21], -v[36:37]
	v_mul_f64 v[18:19], v[24:25], v[18:19]
	s_delay_alu instid0(VALU_DEP_2) | instskip(SKIP_2) | instid1(VALU_DEP_2)
	v_add_f64 v[24:25], v[28:29], s[10:11]
	s_mov_b32 s10, 0x145c31d0
	s_mov_b32 s11, 0xbe57c41d
	v_add_f64 v[28:29], v[26:27], v[18:19]
	s_delay_alu instid0(VALU_DEP_2) | instskip(NEXT) | instid1(VALU_DEP_2)
	v_fma_f64 v[20:21], v[34:35], v[24:25], -v[20:21]
	v_mul_f64 v[30:31], v[28:29], v[28:29]
	s_delay_alu instid0(VALU_DEP_2) | instskip(SKIP_3) | instid1(VALU_DEP_3)
	v_add_f64 v[20:21], v[20:21], s[10:11]
	s_mov_b32 s10, 0x6b47b09a
	s_mov_b32 s11, 0x3fc38538
	v_add_f64 v[26:27], v[28:29], -v[26:27]
	v_fma_f64 v[32:33], v[30:31], s[12:13], s[10:11]
	s_delay_alu instid0(VALU_DEP_3) | instskip(SKIP_3) | instid1(VALU_DEP_4)
	v_fma_f64 v[24:25], v[34:35], v[20:21], -v[24:25]
	s_mov_b32 s10, 0xd7f4df2e
	s_mov_b32 s11, 0x3fc7474d
	v_mul_f64 v[36:37], v[28:29], v[30:31]
	v_add_f64 v[18:19], v[18:19], -v[26:27]
	s_delay_alu instid0(VALU_DEP_4)
	v_fma_f64 v[32:33], v[30:31], v[32:33], s[10:11]
	s_mov_b32 s10, 0x2c832e3a
	s_mov_b32 s11, 0xbec469b3
	s_delay_alu instid0(VALU_DEP_4) | instid1(SALU_CYCLE_1)
	v_add_f64 v[24:25], v[24:25], s[10:11]
	s_mov_b32 s10, 0x16291751
	s_mov_b32 s11, 0x3fcc71c0
	s_delay_alu instid0(VALU_DEP_3) | instskip(NEXT) | instid1(VALU_DEP_3)
	v_ldexp_f64 v[18:19], v[18:19], 1
	v_fma_f64 v[32:33], v[30:31], v[32:33], s[10:11]
	s_mov_b32 s10, 0x9b27acf1
	s_mov_b32 s11, 0x3fd24924
	s_delay_alu instid0(VALU_DEP_3) | instskip(NEXT) | instid1(VALU_DEP_2)
	v_fma_f64 v[20:21], v[34:35], v[24:25], -v[20:21]
	v_fma_f64 v[32:33], v[30:31], v[32:33], s[10:11]
	s_mov_b32 s10, 0xe5a3bd02
	s_mov_b32 s11, 0xbf26ade2
	s_delay_alu instid0(VALU_DEP_2) | instid1(SALU_CYCLE_1)
	v_add_f64 v[20:21], v[20:21], s[10:11]
	s_mov_b32 s10, 0x998ef7b6
	s_mov_b32 s11, 0x3fd99999
	s_delay_alu instid0(VALU_DEP_2) | instid1(SALU_CYCLE_1)
	v_fma_f64 v[32:33], v[30:31], v[32:33], s[10:11]
	s_delay_alu instid0(VALU_DEP_2) | instskip(NEXT) | instid1(VALU_DEP_2)
	v_fma_f64 v[24:25], v[34:35], v[20:21], -v[24:25]
	v_fma_f64 v[30:31], v[30:31], v[32:33], s[2:3]
	s_mov_b32 s2, 0x9d7d4192
	s_mov_b32 s3, 0xbf7c9293
	v_ldexp_f64 v[32:33], v[28:29], 1
	s_delay_alu instid0(VALU_DEP_3) | instskip(SKIP_2) | instid1(VALU_DEP_3)
	v_add_f64 v[24:25], v[24:25], s[2:3]
	s_mov_b32 s2, 0x43c1db74
	s_mov_b32 s3, 0xbfbf6372
	v_mul_f64 v[30:31], v[36:37], v[30:31]
	v_subrev_co_ci_u32_e32 v36, vcc_lo, 0, v38, vcc_lo
	s_delay_alu instid0(VALU_DEP_3) | instskip(NEXT) | instid1(VALU_DEP_2)
	v_fma_f64 v[20:21], v[34:35], v[24:25], -v[20:21]
	v_cvt_f64_i32_e32 v[36:37], v36
	s_delay_alu instid0(VALU_DEP_4) | instskip(NEXT) | instid1(VALU_DEP_3)
	v_add_f64 v[28:29], v[32:33], v[30:31]
	v_add_f64 v[20:21], v[20:21], s[2:3]
	s_mov_b32 s2, 0xfefa39ef
	s_mov_b32 s3, 0x3fe62e42
	s_delay_alu instid0(VALU_DEP_3) | instid1(SALU_CYCLE_1)
	v_mul_f64 v[38:39], v[36:37], s[2:3]
	s_delay_alu instid0(VALU_DEP_3) | instskip(NEXT) | instid1(VALU_DEP_3)
	v_add_f64 v[26:27], v[28:29], -v[32:33]
	v_fma_f64 v[24:25], v[34:35], v[20:21], -v[24:25]
	s_delay_alu instid0(VALU_DEP_3) | instskip(SKIP_2) | instid1(VALU_DEP_3)
	v_fma_f64 v[32:33], v[36:37], s[2:3], -v[38:39]
	s_mov_b32 s2, 0x757b0dd4
	s_mov_b32 s3, 0xbfd69a1b
	v_add_f64 v[26:27], v[30:31], -v[26:27]
	s_delay_alu instid0(VALU_DEP_3)
	v_add_f64 v[24:25], v[24:25], s[2:3]
	s_mov_b32 s2, 0x3b39803f
	s_mov_b32 s3, 0x3c7abc9e
	s_delay_alu instid0(VALU_DEP_3) | instid1(SALU_CYCLE_1)
	v_fma_f64 v[30:31], v[36:37], s[2:3], v[32:33]
	s_mov_b32 s2, 0x361008ca
	s_mov_b32 s3, 0x3ff867a1
	s_delay_alu instid0(VALU_DEP_3) | instskip(NEXT) | instid1(VALU_DEP_3)
	v_add_f64 v[18:19], v[18:19], v[26:27]
	v_fma_f64 v[24:25], v[34:35], v[24:25], -v[20:21]
	s_delay_alu instid0(VALU_DEP_3) | instskip(NEXT) | instid1(VALU_DEP_3)
	v_add_f64 v[26:27], v[38:39], v[30:31]
	v_add_f64 v[32:33], v[28:29], v[18:19]
	s_delay_alu instid0(VALU_DEP_3) | instskip(NEXT) | instid1(VALU_DEP_3)
	v_add_f64 v[24:25], v[24:25], s[2:3]
	v_add_f64 v[36:37], v[26:27], -v[38:39]
	s_delay_alu instid0(VALU_DEP_3) | instskip(SKIP_1) | instid1(VALU_DEP_4)
	v_add_f64 v[34:35], v[26:27], v[32:33]
	v_add_f64 v[28:29], v[32:33], -v[28:29]
	v_add_f64 v[20:21], v[24:25], -v[20:21]
	s_delay_alu instid0(VALU_DEP_4) | instskip(NEXT) | instid1(VALU_DEP_4)
	v_add_f64 v[30:31], v[30:31], -v[36:37]
	v_add_f64 v[24:25], v[34:35], -v[26:27]
	s_delay_alu instid0(VALU_DEP_4) | instskip(NEXT) | instid1(VALU_DEP_4)
	v_add_f64 v[18:19], v[18:19], -v[28:29]
	v_mul_f64 v[20:21], v[20:21], 0.5
	s_delay_alu instid0(VALU_DEP_3) | instskip(SKIP_1) | instid1(VALU_DEP_4)
	v_add_f64 v[38:39], v[34:35], -v[24:25]
	v_add_f64 v[24:25], v[32:33], -v[24:25]
	v_add_f64 v[32:33], v[30:31], v[18:19]
	s_delay_alu instid0(VALU_DEP_4) | instskip(NEXT) | instid1(VALU_DEP_4)
	v_div_scale_f64 v[48:49], null, v[14:15], v[14:15], v[20:21]
	v_add_f64 v[26:27], v[26:27], -v[38:39]
	s_delay_alu instid0(VALU_DEP_3) | instskip(NEXT) | instid1(VALU_DEP_3)
	v_add_f64 v[36:37], v[32:33], -v[30:31]
	v_rcp_f64_e32 v[28:29], v[48:49]
	s_delay_alu instid0(VALU_DEP_2) | instskip(NEXT) | instid1(VALU_DEP_2)
	v_add_f64 v[24:25], v[24:25], v[26:27]
	v_add_f64 v[18:19], v[18:19], -v[36:37]
	s_waitcnt_depctr 0xfff
	v_fma_f64 v[26:27], -v[48:49], v[28:29], 1.0
	v_add_f64 v[24:25], v[32:33], v[24:25]
	s_delay_alu instid0(VALU_DEP_2) | instskip(SKIP_1) | instid1(VALU_DEP_3)
	v_fma_f64 v[26:27], v[28:29], v[26:27], v[28:29]
	v_add_f64 v[28:29], v[32:33], -v[36:37]
	v_add_f64 v[32:33], v[34:35], v[24:25]
	s_delay_alu instid0(VALU_DEP_3) | instskip(NEXT) | instid1(VALU_DEP_3)
	v_fma_f64 v[38:39], -v[48:49], v[26:27], 1.0
	v_add_f64 v[28:29], v[30:31], -v[28:29]
	s_delay_alu instid0(VALU_DEP_3) | instskip(SKIP_1) | instid1(VALU_DEP_4)
	v_add_f64 v[30:31], v[32:33], -v[34:35]
	v_div_scale_f64 v[34:35], vcc_lo, v[20:21], v[14:15], v[20:21]
	v_fma_f64 v[26:27], v[26:27], v[38:39], v[26:27]
	s_delay_alu instid0(VALU_DEP_4) | instskip(NEXT) | instid1(VALU_DEP_4)
	v_add_f64 v[18:19], v[18:19], v[28:29]
	v_add_f64 v[24:25], v[24:25], -v[30:31]
	s_delay_alu instid0(VALU_DEP_3) | instskip(NEXT) | instid1(VALU_DEP_2)
	v_mul_f64 v[28:29], v[34:35], v[26:27]
	v_add_f64 v[18:19], v[18:19], v[24:25]
	s_delay_alu instid0(VALU_DEP_2) | instskip(NEXT) | instid1(VALU_DEP_2)
	v_fma_f64 v[24:25], -v[48:49], v[28:29], v[34:35]
	v_add_f64 v[18:19], v[32:33], v[18:19]
	s_delay_alu instid0(VALU_DEP_2) | instskip(SKIP_1) | instid1(VALU_DEP_3)
	v_div_fmas_f64 v[24:25], v[24:25], v[26:27], v[28:29]
	v_cmp_neq_f64_e32 vcc_lo, 0, v[2:3]
	v_cndmask_b32_e64 v18, v18, v2, s1
	s_delay_alu instid0(VALU_DEP_4) | instskip(NEXT) | instid1(VALU_DEP_4)
	v_cndmask_b32_e64 v19, v19, v3, s1
	v_div_fixup_f64 v[2:3], v[24:25], v[14:15], v[20:21]
	s_delay_alu instid0(VALU_DEP_2) | instskip(NEXT) | instid1(VALU_DEP_4)
	v_cndmask_b32_e32 v15, 0xfff00000, v19, vcc_lo
	v_cndmask_b32_e32 v14, 0, v18, vcc_lo
	s_delay_alu instid0(VALU_DEP_1) | instskip(NEXT) | instid1(VALU_DEP_1)
	v_fma_f64 v[2:3], v[14:15], v[16:17], v[2:3]
                                        ; implicit-def: $vgpr14_vgpr15
	v_mul_f64 v[11:12], v[11:12], v[2:3]
.LBB0_64:
	s_and_not1_saveexec_b32 s1, s8
	s_cbranch_execz .LBB0_66
; %bb.65:
	v_div_scale_f64 v[2:3], null, v[14:15], v[14:15], 0x40200000
	v_div_scale_f64 v[18:19], vcc_lo, 0x40200000, v[14:15], 0x40200000
	s_mov_b32 s2, 0x838f5ed3
	s_mov_b32 s3, 0x3c74af1a
	;; [unrolled: 1-line block ×4, first 2 shown]
	s_delay_alu instid0(VALU_DEP_2) | instskip(SKIP_2) | instid1(VALU_DEP_1)
	v_rcp_f64_e32 v[11:12], v[2:3]
	s_waitcnt_depctr 0xfff
	v_fma_f64 v[16:17], -v[2:3], v[11:12], 1.0
	v_fma_f64 v[11:12], v[11:12], v[16:17], v[11:12]
	s_delay_alu instid0(VALU_DEP_1) | instskip(NEXT) | instid1(VALU_DEP_1)
	v_fma_f64 v[16:17], -v[2:3], v[11:12], 1.0
	v_fma_f64 v[11:12], v[11:12], v[16:17], v[11:12]
	s_delay_alu instid0(VALU_DEP_1) | instskip(NEXT) | instid1(VALU_DEP_1)
	v_mul_f64 v[16:17], v[18:19], v[11:12]
	v_fma_f64 v[2:3], -v[2:3], v[16:17], v[18:19]
	s_delay_alu instid0(VALU_DEP_1) | instskip(SKIP_1) | instid1(VALU_DEP_2)
	v_div_fmas_f64 v[2:3], v[2:3], v[11:12], v[16:17]
	v_cmp_gt_f64_e32 vcc_lo, 0x10000000, v[14:15]
	v_div_fixup_f64 v[2:3], v[2:3], v[14:15], 0x40200000
	v_cndmask_b32_e64 v18, 0, 1, vcc_lo
	s_delay_alu instid0(VALU_DEP_1) | instskip(NEXT) | instid1(VALU_DEP_1)
	v_lshlrev_b32_e32 v18, 8, v18
	v_ldexp_f64 v[14:15], v[14:15], v18
	s_delay_alu instid0(VALU_DEP_4) | instskip(NEXT) | instid1(VALU_DEP_2)
	v_add_f64 v[2:3], v[2:3], -2.0
	v_rsq_f64_e32 v[18:19], v[14:15]
	s_delay_alu instid0(VALU_DEP_1)
	v_fma_f64 v[11:12], v[2:3], s[8:9], s[2:3]
	s_mov_b32 s9, 0x3c5a8c5d
	s_mov_b32 s2, 0x17771d52
	;; [unrolled: 1-line block ×3, first 2 shown]
	s_waitcnt_depctr 0xfff
	v_mul_f64 v[20:21], v[14:15], v[18:19]
	v_mul_f64 v[18:19], v[18:19], 0.5
	v_fma_f64 v[16:17], v[2:3], v[11:12], s[8:9]
	s_delay_alu instid0(VALU_DEP_2) | instskip(NEXT) | instid1(VALU_DEP_2)
	v_fma_f64 v[24:25], -v[18:19], v[20:21], 0.5
	v_add_f64 v[16:17], v[16:17], s[2:3]
	s_mov_b32 s2, 0x44ee2c0b
	s_mov_b32 s3, 0x3caa7d5e
	s_delay_alu instid0(VALU_DEP_2) | instskip(SKIP_1) | instid1(VALU_DEP_3)
	v_fma_f64 v[20:21], v[20:21], v[24:25], v[20:21]
	v_fma_f64 v[18:19], v[18:19], v[24:25], v[18:19]
	v_fma_f64 v[11:12], v[2:3], v[16:17], -v[11:12]
	s_delay_alu instid0(VALU_DEP_3) | instskip(NEXT) | instid1(VALU_DEP_2)
	v_fma_f64 v[24:25], -v[20:21], v[20:21], v[14:15]
	v_add_f64 v[11:12], v[11:12], s[2:3]
	s_mov_b32 s2, 0xd8758ef2
	s_mov_b32 s3, 0xbcc5d2a3
	s_delay_alu instid0(VALU_DEP_2) | instskip(NEXT) | instid1(VALU_DEP_2)
	v_fma_f64 v[20:21], v[24:25], v[18:19], v[20:21]
	v_fma_f64 v[16:17], v[2:3], v[11:12], -v[16:17]
	s_delay_alu instid0(VALU_DEP_1) | instskip(SKIP_2) | instid1(VALU_DEP_1)
	v_add_f64 v[16:17], v[16:17], s[2:3]
	s_mov_b32 s2, 0xefee81bd
	s_mov_b32 s3, 0x3ce25ced
	v_fma_f64 v[11:12], v[2:3], v[16:17], -v[11:12]
	s_delay_alu instid0(VALU_DEP_1) | instskip(SKIP_2) | instid1(VALU_DEP_1)
	v_add_f64 v[11:12], v[11:12], s[2:3]
	s_mov_b32 s2, 0x364185ab
	s_mov_b32 s3, 0xbcff9d52
	;; [unrolled: 5-line block ×20, first 2 shown]
	v_fma_f64 v[2:3], v[2:3], v[11:12], -v[16:17]
	v_fma_f64 v[11:12], -v[20:21], v[20:21], v[14:15]
	s_delay_alu instid0(VALU_DEP_2) | instskip(NEXT) | instid1(VALU_DEP_2)
	v_add_f64 v[2:3], v[2:3], s[2:3]
	v_fma_f64 v[11:12], v[11:12], v[18:19], v[20:21]
	s_delay_alu instid0(VALU_DEP_2) | instskip(SKIP_2) | instid1(VALU_DEP_2)
	v_add_f64 v[2:3], v[2:3], -v[16:17]
	v_cndmask_b32_e64 v16, 0, 0xffffff80, vcc_lo
	v_cmp_class_f64_e64 vcc_lo, v[14:15], 0x260
	v_ldexp_f64 v[11:12], v[11:12], v16
	s_delay_alu instid0(VALU_DEP_4) | instskip(NEXT) | instid1(VALU_DEP_2)
	v_mul_f64 v[2:3], v[2:3], 0.5
	v_dual_cndmask_b32 v12, v12, v15 :: v_dual_cndmask_b32 v11, v11, v14
	s_delay_alu instid0(VALU_DEP_1) | instskip(NEXT) | instid1(VALU_DEP_1)
	v_div_scale_f64 v[14:15], null, v[11:12], v[11:12], v[2:3]
	v_rcp_f64_e32 v[16:17], v[14:15]
	s_waitcnt_depctr 0xfff
	v_fma_f64 v[18:19], -v[14:15], v[16:17], 1.0
	s_delay_alu instid0(VALU_DEP_1) | instskip(NEXT) | instid1(VALU_DEP_1)
	v_fma_f64 v[16:17], v[16:17], v[18:19], v[16:17]
	v_fma_f64 v[18:19], -v[14:15], v[16:17], 1.0
	s_delay_alu instid0(VALU_DEP_1) | instskip(SKIP_1) | instid1(VALU_DEP_1)
	v_fma_f64 v[16:17], v[16:17], v[18:19], v[16:17]
	v_div_scale_f64 v[18:19], vcc_lo, v[2:3], v[11:12], v[2:3]
	v_mul_f64 v[20:21], v[18:19], v[16:17]
	s_delay_alu instid0(VALU_DEP_1) | instskip(NEXT) | instid1(VALU_DEP_1)
	v_fma_f64 v[14:15], -v[14:15], v[20:21], v[18:19]
	v_div_fmas_f64 v[14:15], v[14:15], v[16:17], v[20:21]
	s_delay_alu instid0(VALU_DEP_1)
	v_div_fixup_f64 v[11:12], v[14:15], v[11:12], v[2:3]
.LBB0_66:
	s_or_b32 exec_lo, exec_lo, s1
.LBB0_67:
	s_delay_alu instid0(SALU_CYCLE_1)
	s_or_b32 exec_lo, exec_lo, s7
.LBB0_68:
	s_delay_alu instid0(SALU_CYCLE_1) | instskip(NEXT) | instid1(SALU_CYCLE_1)
	s_or_b32 exec_lo, exec_lo, s6
	s_or_b32 exec_lo, exec_lo, s5
	s_and_saveexec_b32 s1, s0
	s_delay_alu instid0(SALU_CYCLE_1)
	s_xor_b32 s0, exec_lo, s1
	s_cbranch_execz .LBB0_52
.LBB0_69:
	s_waitcnt vmcnt(0) lgkmcnt(0)
	v_mov_b32_e32 v14, 0
	v_mov_b32_e32 v22, v23
	s_delay_alu instid0(VALU_DEP_2) | instskip(NEXT) | instid1(VALU_DEP_1)
	v_lshlrev_b64 v[2:3], 3, v[13:14]
	v_add_co_u32 v2, vcc_lo, v0, v2
	s_delay_alu instid0(VALU_DEP_2) | instskip(SKIP_2) | instid1(SALU_CYCLE_1)
	v_add_co_ci_u32_e32 v3, vcc_lo, v1, v3, vcc_lo
	flat_store_b64 v[2:3], v[5:6]
	s_or_b32 exec_lo, exec_lo, s0
	s_mov_b32 s0, exec_lo
	v_cmpx_lt_i32_e64 v22, v4
	s_cbranch_execz .LBB0_53
.LBB0_70:
	v_dual_mov_b32 v3, 0 :: v_dual_add_nc_u32 v2, s4, v22
	v_add_nc_u32_e32 v22, 0x100, v22
	s_delay_alu instid0(VALU_DEP_2) | instskip(NEXT) | instid1(VALU_DEP_1)
	v_lshlrev_b64 v[2:3], 3, v[2:3]
	v_add_co_u32 v2, vcc_lo, v0, v2
	s_delay_alu instid0(VALU_DEP_2) | instskip(SKIP_2) | instid1(SALU_CYCLE_1)
	v_add_co_ci_u32_e32 v3, vcc_lo, v1, v3, vcc_lo
	flat_store_b64 v[2:3], v[7:8]
	s_or_b32 exec_lo, exec_lo, s0
	s_mov_b32 s0, exec_lo
	v_cmpx_lt_i32_e64 v22, v4
	s_cbranch_execz .LBB0_54
.LBB0_71:
	v_dual_mov_b32 v3, 0 :: v_dual_add_nc_u32 v2, s4, v22
	v_add_nc_u32_e32 v22, 0x100, v22
	s_delay_alu instid0(VALU_DEP_2) | instskip(NEXT) | instid1(VALU_DEP_1)
	v_lshlrev_b64 v[2:3], 3, v[2:3]
	v_add_co_u32 v2, vcc_lo, v0, v2
	s_delay_alu instid0(VALU_DEP_2) | instskip(SKIP_2) | instid1(SALU_CYCLE_1)
	v_add_co_ci_u32_e32 v3, vcc_lo, v1, v3, vcc_lo
	flat_store_b64 v[2:3], v[9:10]
	s_or_b32 exec_lo, exec_lo, s0
	s_mov_b32 s0, exec_lo
	v_cmpx_lt_i32_e64 v22, v4
	s_cbranch_execz .LBB0_55
.LBB0_72:
	v_dual_mov_b32 v3, 0 :: v_dual_add_nc_u32 v2, s4, v22
	s_delay_alu instid0(VALU_DEP_1) | instskip(NEXT) | instid1(VALU_DEP_1)
	v_lshlrev_b64 v[2:3], 3, v[2:3]
	v_add_co_u32 v0, vcc_lo, v0, v2
	s_delay_alu instid0(VALU_DEP_2)
	v_add_co_ci_u32_e32 v1, vcc_lo, v1, v3, vcc_lo
	flat_store_b64 v[0:1], v[11:12]
	s_or_b32 exec_lo, exec_lo, s0
	s_waitcnt vmcnt(0) lgkmcnt(0)
	s_setpc_b64 s[30:31]
.Lfunc_end0:
	.size	_ZN2at6native25elementwise_kernel_helperILb0EZZZNS0_12_GLOBAL__N_137scaled_modified_bessel_k1_kernel_cudaERNS_18TensorIteratorBaseEENKUlvE_clEvENKUlvE_clEvEUldE_NS0_6memory8policies11unroll_baseILi256ESt5arrayIPcLm2EE23TrivialOffsetCalculatorILi1EjESF_NS8_15LoadWithoutCastENS8_16StoreWithoutCastELi4ELi1EEEEEvT0_T1_, .Lfunc_end0-_ZN2at6native25elementwise_kernel_helperILb0EZZZNS0_12_GLOBAL__N_137scaled_modified_bessel_k1_kernel_cudaERNS_18TensorIteratorBaseEENKUlvE_clEvENKUlvE_clEvEUldE_NS0_6memory8policies11unroll_baseILi256ESt5arrayIPcLm2EE23TrivialOffsetCalculatorILi1EjESF_NS8_15LoadWithoutCastENS8_16StoreWithoutCastELi4ELi1EEEEEvT0_T1_
                                        ; -- End function
	.section	.AMDGPU.csdata,"",@progbits
; Function info:
; codeLenInByte = 25288
; NumSgprs: 34
; NumVgprs: 54
; ScratchSize: 0
; MemoryBound: 0
	.text
	.p2align	2                               ; -- Begin function _ZN2at6native25elementwise_kernel_helperILb0EZZZNS0_12_GLOBAL__N_137scaled_modified_bessel_k1_kernel_cudaERNS_18TensorIteratorBaseEENKUlvE_clEvENKUlvE_clEvEUldE_NS0_6memory8policies10vectorizedILi4ESt5arrayIPcLm2EELi4EEEEEvT0_T1_
	.type	_ZN2at6native25elementwise_kernel_helperILb0EZZZNS0_12_GLOBAL__N_137scaled_modified_bessel_k1_kernel_cudaERNS_18TensorIteratorBaseEENKUlvE_clEvENKUlvE_clEvEUldE_NS0_6memory8policies10vectorizedILi4ESt5arrayIPcLm2EELi4EEEEEvT0_T1_,@function
_ZN2at6native25elementwise_kernel_helperILb0EZZZNS0_12_GLOBAL__N_137scaled_modified_bessel_k1_kernel_cudaERNS_18TensorIteratorBaseEENKUlvE_clEvENKUlvE_clEvEUldE_NS0_6memory8policies10vectorizedILi4ESt5arrayIPcLm2EELi4EEEEEvT0_T1_: ; @_ZN2at6native25elementwise_kernel_helperILb0EZZZNS0_12_GLOBAL__N_137scaled_modified_bessel_k1_kernel_cudaERNS_18TensorIteratorBaseEENKUlvE_clEvENKUlvE_clEvEUldE_NS0_6memory8policies10vectorizedILi4ESt5arrayIPcLm2EELi4EEEEEvT0_T1_
; %bb.0:
	s_waitcnt vmcnt(0) expcnt(0) lgkmcnt(0)
	s_lshl_b32 s0, s12, 10
	v_and_b32_e32 v4, 0x3ff, v31
	s_ashr_i32 s1, s0, 31
	s_mov_b32 s4, exec_lo
	s_lshl_b64 s[2:3], s[0:1], 3
	s_delay_alu instid0(VALU_DEP_1) | instskip(SKIP_4) | instid1(VALU_DEP_4)
	v_lshlrev_b32_e32 v18, 5, v4
	v_add_co_u32 v2, vcc_lo, v2, s2
	v_add_co_ci_u32_e32 v3, vcc_lo, s3, v3, vcc_lo
	v_mov_b32_e32 v4, 0
	v_mov_b32_e32 v5, 0x7ff00000
	v_add_co_u32 v2, vcc_lo, v2, v18
	s_delay_alu instid0(VALU_DEP_4)
	v_add_co_ci_u32_e32 v3, vcc_lo, 0, v3, vcc_lo
	s_clause 0x1
	flat_load_b128 v[10:13], v[2:3]
	flat_load_b128 v[6:9], v[2:3] offset:16
	v_dual_mov_b32 v2, v4 :: v_dual_mov_b32 v3, v5
	s_waitcnt vmcnt(1) lgkmcnt(1)
	v_cmpx_neq_f64_e32 0, v[10:11]
	s_cbranch_execz .LBB1_12
; %bb.1:
	v_mov_b32_e32 v2, 0
	v_mov_b32_e32 v3, 0x7ff80000
	s_mov_b32 s5, exec_lo
	v_cmpx_ngt_f64_e32 0, v[10:11]
	s_cbranch_execz .LBB1_11
; %bb.2:
	s_mov_b32 s0, exec_lo
	v_cmpx_ge_f64_e32 2.0, v[10:11]
	s_xor_b32 s6, exec_lo, s0
	s_cbranch_execz .LBB1_8
; %bb.3:
	v_mul_f64 v[2:3], v[10:11], 0.5
	s_mov_b32 s0, exec_lo
                                        ; implicit-def: $vgpr16_vgpr17
                                        ; implicit-def: $vgpr14_vgpr15
	v_cmpx_ge_f64_e32 0x40200000, v[10:11]
	s_xor_b32 s0, exec_lo, s0
	s_cbranch_execz .LBB1_5
; %bb.4:
	s_delay_alu instid0(VALU_DEP_2)
	v_add_f64 v[14:15], v[2:3], -2.0
	s_mov_b32 s8, 0xc38a0576
	s_mov_b32 s9, 0xbc7857d0
	;; [unrolled: 1-line block ×4, first 2 shown]
	v_cmp_nlt_f64_e32 vcc_lo, 0x40900000, v[10:11]
	s_delay_alu instid0(VALU_DEP_2) | instskip(SKIP_3) | instid1(VALU_DEP_1)
	v_fma_f64 v[16:17], v[14:15], s[10:11], s[8:9]
	s_mov_b32 s11, 0xbc499f2a
	s_mov_b32 s8, 0xe593bfac
	;; [unrolled: 1-line block ×3, first 2 shown]
	v_fma_f64 v[19:20], v[14:15], v[16:17], s[10:11]
	s_mov_b32 s10, 0x6a5dcb37
	s_mov_b32 s11, 0x3e5ade15
	s_delay_alu instid0(VALU_DEP_1) | instskip(SKIP_2) | instid1(VALU_DEP_1)
	v_add_f64 v[19:20], v[19:20], s[8:9]
	s_mov_b32 s8, 0x7e0d1573
	s_mov_b32 s9, 0xbcd3eaaa
	v_fma_f64 v[16:17], v[14:15], v[19:20], -v[16:17]
	s_delay_alu instid0(VALU_DEP_1) | instskip(SKIP_2) | instid1(VALU_DEP_1)
	v_add_f64 v[16:17], v[16:17], s[8:9]
	s_mov_b32 s8, 0x615290c
	s_mov_b32 s9, 0x3d011d7f
	v_fma_f64 v[19:20], v[14:15], v[16:17], -v[19:20]
	;; [unrolled: 5-line block ×19, first 2 shown]
	s_delay_alu instid0(VALU_DEP_1) | instskip(SKIP_2) | instid1(SALU_CYCLE_1)
	v_add_f64 v[16:17], v[16:17], s[8:9]
	s_mov_b32 s8, 0x652b82fe
	s_mov_b32 s9, 0x3ff71547
	v_mul_f64 v[21:22], v[10:11], s[8:9]
	s_mov_b32 s8, 0x49d3a1b4
	s_mov_b32 s9, 0x3f710653
	s_delay_alu instid0(VALU_DEP_2) | instskip(NEXT) | instid1(VALU_DEP_2)
	v_fma_f64 v[19:20], v[14:15], v[16:17], -v[19:20]
	v_rndne_f64_e32 v[21:22], v[21:22]
	s_delay_alu instid0(VALU_DEP_2)
	v_add_f64 v[19:20], v[19:20], s[8:9]
	s_mov_b32 s8, 0xfefa39ef
	s_mov_b32 s9, 0xbfe62e42
	s_delay_alu instid0(VALU_DEP_2) | instid1(SALU_CYCLE_1)
	v_fma_f64 v[23:24], v[21:22], s[8:9], v[10:11]
	s_mov_b32 s8, 0x7913a26a
	s_mov_b32 s9, 0xbf85a29f
	s_delay_alu instid0(VALU_DEP_2) | instskip(NEXT) | instid1(VALU_DEP_1)
	v_fma_f64 v[16:17], v[14:15], v[19:20], -v[16:17]
	v_add_f64 v[16:17], v[16:17], s[8:9]
	s_mov_b32 s8, 0x3b39803f
	s_mov_b32 s9, 0xbc7abc9e
	s_delay_alu instid0(VALU_DEP_3) | instid1(SALU_CYCLE_1)
	v_fma_f64 v[23:24], v[21:22], s[8:9], v[23:24]
	s_mov_b32 s8, 0xfca7ab0c
	s_mov_b32 s9, 0x3e928af3
	s_delay_alu instid0(VALU_DEP_2) | instskip(NEXT) | instid1(VALU_DEP_2)
	v_fma_f64 v[19:20], v[14:15], v[16:17], -v[19:20]
	v_fma_f64 v[25:26], v[23:24], s[10:11], s[8:9]
	s_mov_b32 s8, 0xe7bb2349
	s_mov_b32 s9, 0x3f9951e3
	s_delay_alu instid0(VALU_DEP_2) | instid1(SALU_CYCLE_1)
	v_add_f64 v[19:20], v[19:20], s[8:9]
	s_mov_b32 s8, 0x623fde64
	s_mov_b32 s9, 0x3ec71dee
	s_delay_alu instid0(VALU_DEP_2) | instid1(SALU_CYCLE_1)
	v_fma_f64 v[25:26], v[23:24], v[25:26], s[8:9]
	s_mov_b32 s8, 0x7c89e6b0
	s_mov_b32 s9, 0x3efa0199
	s_delay_alu instid0(VALU_DEP_2) | instskip(NEXT) | instid1(VALU_DEP_2)
	v_fma_f64 v[16:17], v[14:15], v[19:20], -v[16:17]
	v_fma_f64 v[25:26], v[23:24], v[25:26], s[8:9]
	s_mov_b32 s8, 0x537c9ebc
	s_mov_b32 s9, 0xbfab1bbc
	s_delay_alu instid0(VALU_DEP_2) | instid1(SALU_CYCLE_1)
	v_add_f64 v[16:17], v[16:17], s[8:9]
	s_mov_b32 s8, 0x14761f6e
	s_mov_b32 s9, 0x3f2a01a0
	s_delay_alu instid0(VALU_DEP_2) | instid1(SALU_CYCLE_1)
	v_fma_f64 v[25:26], v[23:24], v[25:26], s[8:9]
	s_mov_b32 s8, 0x1852b7b0
	s_mov_b32 s9, 0x3f56c16c
	s_delay_alu instid0(VALU_DEP_2) | instskip(NEXT) | instid1(VALU_DEP_2)
	v_fma_f64 v[19:20], v[14:15], v[16:17], -v[19:20]
	v_fma_f64 v[25:26], v[23:24], v[25:26], s[8:9]
	s_mov_b32 s8, 0xd536f53c
	s_mov_b32 s9, 0x3fba46da
	s_delay_alu instid0(VALU_DEP_2) | instid1(SALU_CYCLE_1)
	v_add_f64 v[19:20], v[19:20], s[8:9]
	s_mov_b32 s8, 0x11122322
	s_mov_b32 s9, 0x3f811111
	s_delay_alu instid0(VALU_DEP_2) | instid1(SALU_CYCLE_1)
	v_fma_f64 v[25:26], v[23:24], v[25:26], s[8:9]
	s_mov_b32 s8, 0x555502a1
	s_mov_b32 s9, 0x3fa55555
	s_delay_alu instid0(VALU_DEP_2) | instskip(NEXT) | instid1(VALU_DEP_2)
	v_fma_f64 v[16:17], v[14:15], v[19:20], -v[16:17]
	v_fma_f64 v[25:26], v[23:24], v[25:26], s[8:9]
	s_mov_b32 s8, 0x469192e
	s_mov_b32 s9, 0xbfc694d1
	s_delay_alu instid0(VALU_DEP_2) | instid1(SALU_CYCLE_1)
	v_add_f64 v[16:17], v[16:17], s[8:9]
	s_mov_b32 s8, 0x55555511
	s_mov_b32 s9, 0x3fc55555
	s_delay_alu instid0(VALU_DEP_2) | instid1(SALU_CYCLE_1)
	v_fma_f64 v[25:26], v[23:24], v[25:26], s[8:9]
	s_mov_b32 s8, 11
	s_mov_b32 s9, 0x3fe00000
	s_delay_alu instid0(VALU_DEP_2) | instskip(NEXT) | instid1(VALU_DEP_2)
	v_fma_f64 v[14:15], v[14:15], v[16:17], -v[19:20]
	v_fma_f64 v[16:17], v[23:24], v[25:26], s[8:9]
	s_mov_b32 s8, 0x724a7ffa
	s_mov_b32 s9, 0x3fd02a63
	s_delay_alu instid0(VALU_DEP_2) | instid1(SALU_CYCLE_1)
	v_add_f64 v[14:15], v[14:15], s[8:9]
	s_delay_alu instid0(VALU_DEP_2) | instskip(NEXT) | instid1(VALU_DEP_2)
	v_fma_f64 v[16:17], v[23:24], v[16:17], 1.0
	v_add_f64 v[14:15], v[14:15], -v[19:20]
	v_cvt_i32_f64_e32 v19, v[21:22]
	s_delay_alu instid0(VALU_DEP_3) | instskip(NEXT) | instid1(VALU_DEP_3)
	v_fma_f64 v[16:17], v[23:24], v[16:17], 1.0
	v_mul_f64 v[14:15], v[14:15], 0.5
	s_delay_alu instid0(VALU_DEP_2) | instskip(NEXT) | instid1(VALU_DEP_2)
	v_ldexp_f64 v[16:17], v[16:17], v19
	v_mul_f64 v[19:20], v[10:11], v[14:15]
	s_delay_alu instid0(VALU_DEP_2) | instskip(NEXT) | instid1(VALU_DEP_3)
	v_cndmask_b32_e32 v15, 0x7ff00000, v17, vcc_lo
	v_cndmask_b32_e32 v14, 0, v16, vcc_lo
	s_delay_alu instid0(VALU_DEP_1)
	v_mul_f64 v[16:17], v[14:15], v[19:20]
.LBB1_5:
	s_and_not1_saveexec_b32 s1, s0
	s_cbranch_execz .LBB1_7
; %bb.6:
	v_div_scale_f64 v[14:15], null, v[10:11], v[10:11], 0x40400000
	v_div_scale_f64 v[21:22], vcc_lo, 0x40400000, v[10:11], 0x40400000
	s_mov_b32 s8, 0xea87b950
	s_mov_b32 s9, 0x3c545b8a
	;; [unrolled: 1-line block ×4, first 2 shown]
	v_cmp_nlt_f64_e64 s0, 0x40900000, v[10:11]
	s_delay_alu instid0(VALU_DEP_3) | instskip(SKIP_2) | instid1(VALU_DEP_1)
	v_rcp_f64_e32 v[16:17], v[14:15]
	s_waitcnt_depctr 0xfff
	v_fma_f64 v[19:20], -v[14:15], v[16:17], 1.0
	v_fma_f64 v[16:17], v[16:17], v[19:20], v[16:17]
	s_delay_alu instid0(VALU_DEP_1) | instskip(NEXT) | instid1(VALU_DEP_1)
	v_fma_f64 v[19:20], -v[14:15], v[16:17], 1.0
	v_fma_f64 v[16:17], v[16:17], v[19:20], v[16:17]
	s_delay_alu instid0(VALU_DEP_1) | instskip(NEXT) | instid1(VALU_DEP_1)
	v_mul_f64 v[19:20], v[21:22], v[16:17]
	v_fma_f64 v[14:15], -v[14:15], v[19:20], v[21:22]
	s_delay_alu instid0(VALU_DEP_1) | instskip(SKIP_1) | instid1(VALU_DEP_2)
	v_div_fmas_f64 v[14:15], v[14:15], v[16:17], v[19:20]
	v_cmp_gt_f64_e32 vcc_lo, 0x10000000, v[10:11]
	v_div_fixup_f64 v[14:15], v[14:15], v[10:11], 0x40400000
	v_cndmask_b32_e64 v27, 0, 1, vcc_lo
	s_delay_alu instid0(VALU_DEP_1) | instskip(NEXT) | instid1(VALU_DEP_1)
	v_lshlrev_b32_e32 v27, 8, v27
	v_ldexp_f64 v[27:28], v[10:11], v27
	s_delay_alu instid0(VALU_DEP_4) | instskip(NEXT) | instid1(VALU_DEP_2)
	v_add_f64 v[14:15], v[14:15], -2.0
	v_rsq_f64_e32 v[29:30], v[27:28]
	s_delay_alu instid0(VALU_DEP_1)
	v_fma_f64 v[16:17], v[14:15], s[10:11], s[8:9]
	s_mov_b32 s11, 0xbc61556d
	s_mov_b32 s8, 0xb2532277
	s_mov_b32 s9, 0xbc8acea3
	s_waitcnt_depctr 0xfff
	v_mul_f64 v[31:32], v[27:28], v[29:30]
	v_mul_f64 v[29:30], v[29:30], 0.5
	v_fma_f64 v[19:20], v[14:15], v[16:17], s[10:11]
	s_mov_b32 s10, 0x6a5dcb37
	s_mov_b32 s11, 0x3e5ade15
	s_delay_alu instid0(VALU_DEP_2) | instskip(NEXT) | instid1(VALU_DEP_2)
	v_fma_f64 v[33:34], -v[29:30], v[31:32], 0.5
	v_add_f64 v[19:20], v[19:20], s[8:9]
	s_mov_b32 s8, 0x9c773320
	s_mov_b32 s9, 0xbc82806c
	s_delay_alu instid0(VALU_DEP_2) | instskip(SKIP_1) | instid1(VALU_DEP_3)
	v_fma_f64 v[31:32], v[31:32], v[33:34], v[31:32]
	v_fma_f64 v[29:30], v[29:30], v[33:34], v[29:30]
	v_fma_f64 v[16:17], v[14:15], v[19:20], -v[16:17]
	s_delay_alu instid0(VALU_DEP_3) | instskip(NEXT) | instid1(VALU_DEP_2)
	v_fma_f64 v[33:34], -v[31:32], v[31:32], v[27:28]
	v_add_f64 v[16:17], v[16:17], s[8:9]
	s_mov_b32 s8, 0xfceb588a
	s_mov_b32 s9, 0x3cb55915
	s_delay_alu instid0(VALU_DEP_1) | instskip(NEXT) | instid1(VALU_DEP_1)
	v_fma_f64 v[19:20], v[14:15], v[16:17], -v[19:20]
	v_add_f64 v[19:20], v[19:20], s[8:9]
	s_mov_b32 s8, 0x5f04a2d1
	s_mov_b32 s9, 0x3cb7d68e
	s_delay_alu instid0(VALU_DEP_1) | instskip(NEXT) | instid1(VALU_DEP_1)
	v_fma_f64 v[16:17], v[14:15], v[19:20], -v[16:17]
	;; [unrolled: 5-line block ×14, first 2 shown]
	v_add_f64 v[16:17], v[16:17], s[8:9]
	s_mov_b32 s8, 0x652b82fe
	s_mov_b32 s9, 0x3ff71547
	s_delay_alu instid0(SALU_CYCLE_1) | instskip(SKIP_2) | instid1(VALU_DEP_2)
	v_mul_f64 v[21:22], v[10:11], s[8:9]
	s_mov_b32 s8, 0x9ad53528
	s_mov_b32 s9, 0xbe30790b
	v_fma_f64 v[19:20], v[14:15], v[16:17], -v[19:20]
	s_delay_alu instid0(VALU_DEP_2) | instskip(NEXT) | instid1(VALU_DEP_2)
	v_rndne_f64_e32 v[21:22], v[21:22]
	v_add_f64 v[19:20], v[19:20], s[8:9]
	s_mov_b32 s8, 0xfefa39ef
	s_mov_b32 s9, 0xbfe62e42
	s_delay_alu instid0(VALU_DEP_2) | instid1(SALU_CYCLE_1)
	v_fma_f64 v[23:24], v[21:22], s[8:9], v[10:11]
	s_mov_b32 s8, 0x3b39803f
	s_mov_b32 s9, 0xbc7abc9e
	s_delay_alu instid0(VALU_DEP_2) | instskip(NEXT) | instid1(VALU_DEP_2)
	v_fma_f64 v[16:17], v[14:15], v[19:20], -v[16:17]
	v_fma_f64 v[23:24], v[21:22], s[8:9], v[23:24]
	s_mov_b32 s8, 0x94bb46c1
	s_mov_b32 s9, 0xbe5c4153
	s_delay_alu instid0(VALU_DEP_2) | instid1(SALU_CYCLE_1)
	v_add_f64 v[16:17], v[16:17], s[8:9]
	s_mov_b32 s8, 0xfca7ab0c
	s_mov_b32 s9, 0x3e928af3
	s_delay_alu instid0(VALU_DEP_2) | instid1(SALU_CYCLE_1)
	v_fma_f64 v[25:26], v[23:24], s[10:11], s[8:9]
	s_mov_b32 s8, 0x623fde64
	s_mov_b32 s9, 0x3ec71dee
	s_delay_alu instid0(VALU_DEP_2) | instskip(NEXT) | instid1(VALU_DEP_2)
	v_fma_f64 v[19:20], v[14:15], v[16:17], -v[19:20]
	v_fma_f64 v[25:26], v[23:24], v[25:26], s[8:9]
	s_mov_b32 s8, 0x2e9e5443
	s_mov_b32 s9, 0xbe90dbfd
	s_delay_alu instid0(VALU_DEP_2) | instid1(SALU_CYCLE_1)
	;; [unrolled: 13-line block ×5, first 2 shown]
	v_add_f64 v[16:17], v[16:17], s[8:9]
	s_mov_b32 s8, 11
	s_mov_b32 s9, 0x3fe00000
	s_delay_alu instid0(VALU_DEP_2) | instid1(SALU_CYCLE_1)
	v_fma_f64 v[25:26], v[23:24], v[25:26], s[8:9]
	s_mov_b32 s8, 0xb55b1514
	s_mov_b32 s9, 0x3fe8ea18
	s_delay_alu instid0(VALU_DEP_2) | instskip(SKIP_2) | instid1(VALU_DEP_4)
	v_fma_f64 v[14:15], v[14:15], v[16:17], -v[19:20]
	v_fma_f64 v[16:17], v[33:34], v[29:30], v[31:32]
	v_cvt_i32_f64_e32 v31, v[21:22]
	v_fma_f64 v[25:26], v[23:24], v[25:26], 1.0
	s_delay_alu instid0(VALU_DEP_4) | instskip(NEXT) | instid1(VALU_DEP_4)
	v_add_f64 v[14:15], v[14:15], s[8:9]
	v_fma_f64 v[21:22], -v[16:17], v[16:17], v[27:28]
	s_delay_alu instid0(VALU_DEP_3) | instskip(NEXT) | instid1(VALU_DEP_3)
	v_fma_f64 v[23:24], v[23:24], v[25:26], 1.0
	v_add_f64 v[14:15], v[14:15], -v[19:20]
	s_delay_alu instid0(VALU_DEP_3) | instskip(NEXT) | instid1(VALU_DEP_3)
	v_fma_f64 v[16:17], v[21:22], v[29:30], v[16:17]
	v_ldexp_f64 v[19:20], v[23:24], v31
	s_delay_alu instid0(VALU_DEP_3) | instskip(SKIP_2) | instid1(VALU_DEP_4)
	v_mul_f64 v[21:22], v[14:15], 0.5
	v_cndmask_b32_e64 v14, 0, 0xffffff80, vcc_lo
	v_cmp_class_f64_e64 vcc_lo, v[27:28], 0x260
	v_cndmask_b32_e64 v15, 0x7ff00000, v20, s0
	s_delay_alu instid0(VALU_DEP_3) | instskip(SKIP_1) | instid1(VALU_DEP_1)
	v_ldexp_f64 v[16:17], v[16:17], v14
	v_cndmask_b32_e64 v14, 0, v19, s0
	v_mul_f64 v[19:20], v[14:15], v[21:22]
	s_delay_alu instid0(VALU_DEP_3) | instskip(NEXT) | instid1(VALU_DEP_1)
	v_dual_cndmask_b32 v17, v17, v28 :: v_dual_cndmask_b32 v16, v16, v27
	v_div_scale_f64 v[21:22], null, v[16:17], v[16:17], v[19:20]
	s_delay_alu instid0(VALU_DEP_1) | instskip(SKIP_2) | instid1(VALU_DEP_1)
	v_rcp_f64_e32 v[23:24], v[21:22]
	s_waitcnt_depctr 0xfff
	v_fma_f64 v[25:26], -v[21:22], v[23:24], 1.0
	v_fma_f64 v[23:24], v[23:24], v[25:26], v[23:24]
	s_delay_alu instid0(VALU_DEP_1) | instskip(NEXT) | instid1(VALU_DEP_1)
	v_fma_f64 v[25:26], -v[21:22], v[23:24], 1.0
	v_fma_f64 v[23:24], v[23:24], v[25:26], v[23:24]
	v_div_scale_f64 v[25:26], vcc_lo, v[19:20], v[16:17], v[19:20]
	s_delay_alu instid0(VALU_DEP_1) | instskip(NEXT) | instid1(VALU_DEP_1)
	v_mul_f64 v[27:28], v[25:26], v[23:24]
	v_fma_f64 v[21:22], -v[21:22], v[27:28], v[25:26]
	s_delay_alu instid0(VALU_DEP_1) | instskip(NEXT) | instid1(VALU_DEP_1)
	v_div_fmas_f64 v[21:22], v[21:22], v[23:24], v[27:28]
	v_div_fixup_f64 v[16:17], v[21:22], v[16:17], v[19:20]
.LBB1_7:
	s_or_b32 exec_lo, exec_lo, s1
	s_delay_alu instid0(VALU_DEP_2)
	v_frexp_mant_f64_e32 v[19:20], v[2:3]
	s_mov_b32 s1, 0x3fe55555
	s_mov_b32 s0, 0x55555555
	v_mov_b32_e32 v21, 0
	v_fma_f64 v[33:34], v[10:11], v[10:11], -2.0
	s_mov_b32 s8, 0x7a0399e0
	s_mov_b32 s9, 0xbce5dd51
	;; [unrolled: 1-line block ×4, first 2 shown]
	v_frexp_exp_i32_f64_e32 v37, v[2:3]
	s_delay_alu instid0(VALU_DEP_4) | instskip(SKIP_1) | instid1(VALU_DEP_3)
	v_cmp_gt_f64_e32 vcc_lo, s[0:1], v[19:20]
	s_mov_b32 s0, 0x55555780
	v_fma_f64 v[35:36], v[33:34], s[10:11], s[8:9]
	s_mov_b32 s11, 0x3c603228
	s_mov_b32 s8, 0xddd0e045
	;; [unrolled: 1-line block ×3, first 2 shown]
	v_cndmask_b32_e64 v22, 0x3ff00000, 2.0, vcc_lo
	s_delay_alu instid0(VALU_DEP_1) | instskip(NEXT) | instid1(VALU_DEP_1)
	v_mul_f64 v[19:20], v[19:20], v[21:22]
	v_add_f64 v[21:22], v[19:20], 1.0
	v_add_f64 v[27:28], v[19:20], -1.0
	s_delay_alu instid0(VALU_DEP_2) | instskip(SKIP_1) | instid1(VALU_DEP_1)
	v_rcp_f64_e32 v[23:24], v[21:22]
	v_add_f64 v[29:30], v[21:22], -1.0
	v_add_f64 v[19:20], v[19:20], -v[29:30]
	s_waitcnt_depctr 0xfff
	v_fma_f64 v[25:26], -v[21:22], v[23:24], 1.0
	s_delay_alu instid0(VALU_DEP_1) | instskip(NEXT) | instid1(VALU_DEP_1)
	v_fma_f64 v[23:24], v[25:26], v[23:24], v[23:24]
	v_fma_f64 v[25:26], -v[21:22], v[23:24], 1.0
	s_delay_alu instid0(VALU_DEP_1) | instskip(NEXT) | instid1(VALU_DEP_1)
	v_fma_f64 v[23:24], v[25:26], v[23:24], v[23:24]
	v_mul_f64 v[25:26], v[27:28], v[23:24]
	s_delay_alu instid0(VALU_DEP_1) | instskip(NEXT) | instid1(VALU_DEP_1)
	v_mul_f64 v[31:32], v[21:22], v[25:26]
	v_fma_f64 v[21:22], v[25:26], v[21:22], -v[31:32]
	s_delay_alu instid0(VALU_DEP_1) | instskip(NEXT) | instid1(VALU_DEP_1)
	v_fma_f64 v[19:20], v[25:26], v[19:20], v[21:22]
	v_add_f64 v[21:22], v[31:32], v[19:20]
	s_delay_alu instid0(VALU_DEP_1) | instskip(SKIP_1) | instid1(VALU_DEP_2)
	v_add_f64 v[29:30], v[27:28], -v[21:22]
	v_add_f64 v[31:32], v[21:22], -v[31:32]
	;; [unrolled: 1-line block ×3, first 2 shown]
	s_delay_alu instid0(VALU_DEP_2) | instskip(NEXT) | instid1(VALU_DEP_2)
	v_add_f64 v[19:20], v[31:32], -v[19:20]
	v_add_f64 v[21:22], v[27:28], -v[21:22]
	v_fma_f64 v[27:28], v[33:34], v[35:36], s[10:11]
	s_mov_b32 s10, 0xbf559e2b
	s_mov_b32 s11, 0x3fc3ab76
	s_delay_alu instid0(VALU_DEP_2) | instskip(NEXT) | instid1(VALU_DEP_2)
	v_add_f64 v[19:20], v[19:20], v[21:22]
	v_add_f64 v[21:22], v[27:28], s[8:9]
	s_mov_b32 s8, 0xb84626ca
	s_mov_b32 s9, 0xbde3663b
	s_delay_alu instid0(VALU_DEP_2) | instskip(NEXT) | instid1(VALU_DEP_2)
	v_add_f64 v[19:20], v[29:30], v[19:20]
	v_fma_f64 v[27:28], v[33:34], v[21:22], -v[35:36]
	s_delay_alu instid0(VALU_DEP_2) | instskip(NEXT) | instid1(VALU_DEP_2)
	v_mul_f64 v[19:20], v[23:24], v[19:20]
	v_add_f64 v[23:24], v[27:28], s[8:9]
	s_mov_b32 s8, 0x145c31d0
	s_mov_b32 s9, 0xbe57c41d
	s_delay_alu instid0(VALU_DEP_2) | instskip(NEXT) | instid1(VALU_DEP_2)
	v_add_f64 v[27:28], v[25:26], v[19:20]
	v_fma_f64 v[21:22], v[33:34], v[23:24], -v[21:22]
	s_delay_alu instid0(VALU_DEP_2) | instskip(NEXT) | instid1(VALU_DEP_2)
	v_mul_f64 v[29:30], v[27:28], v[27:28]
	v_add_f64 v[21:22], v[21:22], s[8:9]
	s_mov_b32 s8, 0x6b47b09a
	s_mov_b32 s9, 0x3fc38538
	v_add_f64 v[25:26], v[27:28], -v[25:26]
	s_delay_alu instid0(VALU_DEP_3) | instskip(NEXT) | instid1(VALU_DEP_3)
	v_fma_f64 v[31:32], v[29:30], s[10:11], s[8:9]
	v_fma_f64 v[23:24], v[33:34], v[21:22], -v[23:24]
	s_mov_b32 s8, 0xd7f4df2e
	s_mov_b32 s9, 0x3fc7474d
	v_mul_f64 v[35:36], v[27:28], v[29:30]
	s_delay_alu instid0(VALU_DEP_4) | instskip(NEXT) | instid1(VALU_DEP_4)
	v_add_f64 v[19:20], v[19:20], -v[25:26]
	v_fma_f64 v[31:32], v[29:30], v[31:32], s[8:9]
	s_mov_b32 s8, 0x2c832e3a
	s_mov_b32 s9, 0xbec469b3
	s_delay_alu instid0(VALU_DEP_4) | instid1(SALU_CYCLE_1)
	v_add_f64 v[23:24], v[23:24], s[8:9]
	s_mov_b32 s8, 0x16291751
	s_mov_b32 s9, 0x3fcc71c0
	s_delay_alu instid0(VALU_DEP_3) | instskip(NEXT) | instid1(VALU_DEP_3)
	v_ldexp_f64 v[19:20], v[19:20], 1
	v_fma_f64 v[31:32], v[29:30], v[31:32], s[8:9]
	s_mov_b32 s8, 0x9b27acf1
	s_mov_b32 s9, 0x3fd24924
	s_delay_alu instid0(VALU_DEP_3) | instskip(NEXT) | instid1(VALU_DEP_2)
	v_fma_f64 v[21:22], v[33:34], v[23:24], -v[21:22]
	v_fma_f64 v[31:32], v[29:30], v[31:32], s[8:9]
	s_mov_b32 s8, 0xe5a3bd02
	s_mov_b32 s9, 0xbf26ade2
	s_delay_alu instid0(VALU_DEP_2) | instid1(SALU_CYCLE_1)
	v_add_f64 v[21:22], v[21:22], s[8:9]
	s_mov_b32 s8, 0x998ef7b6
	s_mov_b32 s9, 0x3fd99999
	s_delay_alu instid0(VALU_DEP_2) | instid1(SALU_CYCLE_1)
	v_fma_f64 v[31:32], v[29:30], v[31:32], s[8:9]
	s_delay_alu instid0(VALU_DEP_2) | instskip(NEXT) | instid1(VALU_DEP_2)
	v_fma_f64 v[23:24], v[33:34], v[21:22], -v[23:24]
	v_fma_f64 v[29:30], v[29:30], v[31:32], s[0:1]
	s_mov_b32 s0, 0x9d7d4192
	s_mov_b32 s1, 0xbf7c9293
	v_ldexp_f64 v[31:32], v[27:28], 1
	s_delay_alu instid0(VALU_DEP_3) | instskip(SKIP_2) | instid1(VALU_DEP_3)
	v_add_f64 v[23:24], v[23:24], s[0:1]
	s_mov_b32 s0, 0x43c1db74
	s_mov_b32 s1, 0xbfbf6372
	v_mul_f64 v[29:30], v[35:36], v[29:30]
	v_subrev_co_ci_u32_e32 v35, vcc_lo, 0, v37, vcc_lo
	s_delay_alu instid0(VALU_DEP_3) | instskip(NEXT) | instid1(VALU_DEP_2)
	v_fma_f64 v[21:22], v[33:34], v[23:24], -v[21:22]
	v_cvt_f64_i32_e32 v[35:36], v35
	s_delay_alu instid0(VALU_DEP_4) | instskip(NEXT) | instid1(VALU_DEP_3)
	v_add_f64 v[27:28], v[31:32], v[29:30]
	v_add_f64 v[21:22], v[21:22], s[0:1]
	s_mov_b32 s0, 0xfefa39ef
	s_mov_b32 s1, 0x3fe62e42
	s_delay_alu instid0(VALU_DEP_3) | instid1(SALU_CYCLE_1)
	v_mul_f64 v[37:38], v[35:36], s[0:1]
	s_delay_alu instid0(VALU_DEP_3) | instskip(NEXT) | instid1(VALU_DEP_3)
	v_add_f64 v[25:26], v[27:28], -v[31:32]
	v_fma_f64 v[23:24], v[33:34], v[21:22], -v[23:24]
	s_delay_alu instid0(VALU_DEP_3) | instskip(SKIP_2) | instid1(VALU_DEP_3)
	v_fma_f64 v[31:32], v[35:36], s[0:1], -v[37:38]
	s_mov_b32 s0, 0x757b0dd4
	s_mov_b32 s1, 0xbfd69a1b
	v_add_f64 v[25:26], v[29:30], -v[25:26]
	s_delay_alu instid0(VALU_DEP_3)
	v_add_f64 v[23:24], v[23:24], s[0:1]
	s_mov_b32 s0, 0x3b39803f
	s_mov_b32 s1, 0x3c7abc9e
	s_delay_alu instid0(VALU_DEP_3) | instid1(SALU_CYCLE_1)
	v_fma_f64 v[29:30], v[35:36], s[0:1], v[31:32]
	s_mov_b32 s0, 0x361008ca
	s_mov_b32 s1, 0x3ff867a1
	s_delay_alu instid0(VALU_DEP_3) | instskip(NEXT) | instid1(VALU_DEP_3)
	v_add_f64 v[19:20], v[19:20], v[25:26]
	v_fma_f64 v[23:24], v[33:34], v[23:24], -v[21:22]
	s_delay_alu instid0(VALU_DEP_3) | instskip(NEXT) | instid1(VALU_DEP_3)
	v_add_f64 v[25:26], v[37:38], v[29:30]
	v_add_f64 v[31:32], v[27:28], v[19:20]
	s_delay_alu instid0(VALU_DEP_3) | instskip(SKIP_1) | instid1(VALU_DEP_4)
	v_add_f64 v[23:24], v[23:24], s[0:1]
	v_cmp_eq_f64_e64 s0, 0x7ff00000, v[2:3]
	v_add_f64 v[35:36], v[25:26], -v[37:38]
	s_delay_alu instid0(VALU_DEP_4) | instskip(SKIP_2) | instid1(VALU_DEP_4)
	v_add_f64 v[33:34], v[25:26], v[31:32]
	v_add_f64 v[27:28], v[31:32], -v[27:28]
	v_add_f64 v[21:22], v[23:24], -v[21:22]
	;; [unrolled: 1-line block ×3, first 2 shown]
	s_delay_alu instid0(VALU_DEP_4) | instskip(NEXT) | instid1(VALU_DEP_4)
	v_add_f64 v[23:24], v[33:34], -v[25:26]
	v_add_f64 v[19:20], v[19:20], -v[27:28]
	s_delay_alu instid0(VALU_DEP_4) | instskip(NEXT) | instid1(VALU_DEP_3)
	v_mul_f64 v[21:22], v[21:22], 0.5
	v_add_f64 v[37:38], v[33:34], -v[23:24]
	v_add_f64 v[23:24], v[31:32], -v[23:24]
	s_delay_alu instid0(VALU_DEP_4) | instskip(NEXT) | instid1(VALU_DEP_4)
	v_add_f64 v[31:32], v[29:30], v[19:20]
	v_div_scale_f64 v[48:49], null, v[10:11], v[10:11], v[21:22]
	s_delay_alu instid0(VALU_DEP_4) | instskip(NEXT) | instid1(VALU_DEP_3)
	v_add_f64 v[25:26], v[25:26], -v[37:38]
	v_add_f64 v[35:36], v[31:32], -v[29:30]
	s_delay_alu instid0(VALU_DEP_3) | instskip(NEXT) | instid1(VALU_DEP_2)
	v_rcp_f64_e32 v[27:28], v[48:49]
	v_add_f64 v[23:24], v[23:24], v[25:26]
	s_delay_alu instid0(VALU_DEP_2) | instskip(SKIP_3) | instid1(VALU_DEP_2)
	v_add_f64 v[19:20], v[19:20], -v[35:36]
	s_waitcnt_depctr 0xfff
	v_fma_f64 v[25:26], -v[48:49], v[27:28], 1.0
	v_add_f64 v[23:24], v[31:32], v[23:24]
	v_fma_f64 v[25:26], v[27:28], v[25:26], v[27:28]
	v_add_f64 v[27:28], v[31:32], -v[35:36]
	s_delay_alu instid0(VALU_DEP_3) | instskip(NEXT) | instid1(VALU_DEP_3)
	v_add_f64 v[31:32], v[33:34], v[23:24]
	v_fma_f64 v[37:38], -v[48:49], v[25:26], 1.0
	s_delay_alu instid0(VALU_DEP_3) | instskip(NEXT) | instid1(VALU_DEP_3)
	v_add_f64 v[27:28], v[29:30], -v[27:28]
	v_add_f64 v[29:30], v[31:32], -v[33:34]
	v_div_scale_f64 v[33:34], vcc_lo, v[21:22], v[10:11], v[21:22]
	s_delay_alu instid0(VALU_DEP_4) | instskip(NEXT) | instid1(VALU_DEP_4)
	v_fma_f64 v[25:26], v[25:26], v[37:38], v[25:26]
	v_add_f64 v[19:20], v[19:20], v[27:28]
	s_delay_alu instid0(VALU_DEP_4) | instskip(NEXT) | instid1(VALU_DEP_3)
	v_add_f64 v[23:24], v[23:24], -v[29:30]
	v_mul_f64 v[27:28], v[33:34], v[25:26]
	s_delay_alu instid0(VALU_DEP_2) | instskip(NEXT) | instid1(VALU_DEP_2)
	v_add_f64 v[19:20], v[19:20], v[23:24]
	v_fma_f64 v[23:24], -v[48:49], v[27:28], v[33:34]
	s_delay_alu instid0(VALU_DEP_2) | instskip(NEXT) | instid1(VALU_DEP_2)
	v_add_f64 v[19:20], v[31:32], v[19:20]
	v_div_fmas_f64 v[23:24], v[23:24], v[25:26], v[27:28]
	v_cmp_neq_f64_e32 vcc_lo, 0, v[2:3]
	s_delay_alu instid0(VALU_DEP_3) | instskip(NEXT) | instid1(VALU_DEP_4)
	v_cndmask_b32_e64 v19, v19, v2, s0
	v_cndmask_b32_e64 v20, v20, v3, s0
	s_delay_alu instid0(VALU_DEP_4) | instskip(NEXT) | instid1(VALU_DEP_3)
	v_div_fixup_f64 v[2:3], v[23:24], v[10:11], v[21:22]
	v_cndmask_b32_e32 v10, 0, v19, vcc_lo
	s_delay_alu instid0(VALU_DEP_3) | instskip(NEXT) | instid1(VALU_DEP_1)
	v_cndmask_b32_e32 v11, 0xfff00000, v20, vcc_lo
	v_fma_f64 v[2:3], v[10:11], v[16:17], v[2:3]
	s_delay_alu instid0(VALU_DEP_1)
	v_mul_f64 v[2:3], v[14:15], v[2:3]
.LBB1_8:
	s_and_not1_saveexec_b32 s0, s6
	s_cbranch_execz .LBB1_10
; %bb.9:
	v_div_scale_f64 v[2:3], null, v[10:11], v[10:11], 0x40200000
	v_div_scale_f64 v[19:20], vcc_lo, 0x40200000, v[10:11], 0x40200000
	s_mov_b32 s6, 0x838f5ed3
	s_mov_b32 s7, 0x3c74af1a
	;; [unrolled: 1-line block ×4, first 2 shown]
	s_delay_alu instid0(VALU_DEP_2) | instskip(SKIP_2) | instid1(VALU_DEP_1)
	v_rcp_f64_e32 v[14:15], v[2:3]
	s_waitcnt_depctr 0xfff
	v_fma_f64 v[16:17], -v[2:3], v[14:15], 1.0
	v_fma_f64 v[14:15], v[14:15], v[16:17], v[14:15]
	s_delay_alu instid0(VALU_DEP_1) | instskip(NEXT) | instid1(VALU_DEP_1)
	v_fma_f64 v[16:17], -v[2:3], v[14:15], 1.0
	v_fma_f64 v[14:15], v[14:15], v[16:17], v[14:15]
	s_delay_alu instid0(VALU_DEP_1) | instskip(NEXT) | instid1(VALU_DEP_1)
	v_mul_f64 v[16:17], v[19:20], v[14:15]
	v_fma_f64 v[2:3], -v[2:3], v[16:17], v[19:20]
	s_delay_alu instid0(VALU_DEP_1) | instskip(SKIP_1) | instid1(VALU_DEP_2)
	v_div_fmas_f64 v[2:3], v[2:3], v[14:15], v[16:17]
	v_cmp_gt_f64_e32 vcc_lo, 0x10000000, v[10:11]
	v_div_fixup_f64 v[2:3], v[2:3], v[10:11], 0x40200000
	v_cndmask_b32_e64 v19, 0, 1, vcc_lo
	s_delay_alu instid0(VALU_DEP_1) | instskip(NEXT) | instid1(VALU_DEP_1)
	v_lshlrev_b32_e32 v19, 8, v19
	v_ldexp_f64 v[10:11], v[10:11], v19
	s_delay_alu instid0(VALU_DEP_4) | instskip(NEXT) | instid1(VALU_DEP_2)
	v_add_f64 v[2:3], v[2:3], -2.0
	v_rsq_f64_e32 v[19:20], v[10:11]
	s_delay_alu instid0(VALU_DEP_1)
	v_fma_f64 v[14:15], v[2:3], s[8:9], s[6:7]
	s_mov_b32 s9, 0x3c5a8c5d
	s_mov_b32 s6, 0x17771d52
	;; [unrolled: 1-line block ×3, first 2 shown]
	s_waitcnt_depctr 0xfff
	v_mul_f64 v[21:22], v[10:11], v[19:20]
	v_mul_f64 v[19:20], v[19:20], 0.5
	v_fma_f64 v[16:17], v[2:3], v[14:15], s[8:9]
	s_delay_alu instid0(VALU_DEP_2) | instskip(NEXT) | instid1(VALU_DEP_2)
	v_fma_f64 v[23:24], -v[19:20], v[21:22], 0.5
	v_add_f64 v[16:17], v[16:17], s[6:7]
	s_mov_b32 s6, 0x44ee2c0b
	s_mov_b32 s7, 0x3caa7d5e
	s_delay_alu instid0(VALU_DEP_2) | instskip(SKIP_1) | instid1(VALU_DEP_3)
	v_fma_f64 v[21:22], v[21:22], v[23:24], v[21:22]
	v_fma_f64 v[19:20], v[19:20], v[23:24], v[19:20]
	v_fma_f64 v[14:15], v[2:3], v[16:17], -v[14:15]
	s_delay_alu instid0(VALU_DEP_3) | instskip(NEXT) | instid1(VALU_DEP_2)
	v_fma_f64 v[23:24], -v[21:22], v[21:22], v[10:11]
	v_add_f64 v[14:15], v[14:15], s[6:7]
	s_mov_b32 s6, 0xd8758ef2
	s_mov_b32 s7, 0xbcc5d2a3
	s_delay_alu instid0(VALU_DEP_2) | instskip(NEXT) | instid1(VALU_DEP_2)
	v_fma_f64 v[21:22], v[23:24], v[19:20], v[21:22]
	v_fma_f64 v[16:17], v[2:3], v[14:15], -v[16:17]
	s_delay_alu instid0(VALU_DEP_1) | instskip(SKIP_2) | instid1(VALU_DEP_1)
	v_add_f64 v[16:17], v[16:17], s[6:7]
	s_mov_b32 s6, 0xefee81bd
	s_mov_b32 s7, 0x3ce25ced
	v_fma_f64 v[14:15], v[2:3], v[16:17], -v[14:15]
	s_delay_alu instid0(VALU_DEP_1) | instskip(SKIP_2) | instid1(VALU_DEP_1)
	v_add_f64 v[14:15], v[14:15], s[6:7]
	s_mov_b32 s6, 0x364185ab
	s_mov_b32 s7, 0xbcff9d52
	;; [unrolled: 5-line block ×20, first 2 shown]
	v_fma_f64 v[2:3], v[2:3], v[14:15], -v[16:17]
	v_fma_f64 v[14:15], -v[21:22], v[21:22], v[10:11]
	s_delay_alu instid0(VALU_DEP_2) | instskip(NEXT) | instid1(VALU_DEP_2)
	v_add_f64 v[2:3], v[2:3], s[6:7]
	v_fma_f64 v[14:15], v[14:15], v[19:20], v[21:22]
	s_delay_alu instid0(VALU_DEP_2) | instskip(SKIP_2) | instid1(VALU_DEP_2)
	v_add_f64 v[2:3], v[2:3], -v[16:17]
	v_cndmask_b32_e64 v16, 0, 0xffffff80, vcc_lo
	v_cmp_class_f64_e64 vcc_lo, v[10:11], 0x260
	v_ldexp_f64 v[14:15], v[14:15], v16
	s_delay_alu instid0(VALU_DEP_4) | instskip(NEXT) | instid1(VALU_DEP_2)
	v_mul_f64 v[2:3], v[2:3], 0.5
	v_dual_cndmask_b32 v10, v14, v10 :: v_dual_cndmask_b32 v11, v15, v11
	s_delay_alu instid0(VALU_DEP_1) | instskip(NEXT) | instid1(VALU_DEP_1)
	v_div_scale_f64 v[14:15], null, v[10:11], v[10:11], v[2:3]
	v_rcp_f64_e32 v[16:17], v[14:15]
	s_waitcnt_depctr 0xfff
	v_fma_f64 v[19:20], -v[14:15], v[16:17], 1.0
	s_delay_alu instid0(VALU_DEP_1) | instskip(NEXT) | instid1(VALU_DEP_1)
	v_fma_f64 v[16:17], v[16:17], v[19:20], v[16:17]
	v_fma_f64 v[19:20], -v[14:15], v[16:17], 1.0
	s_delay_alu instid0(VALU_DEP_1) | instskip(SKIP_1) | instid1(VALU_DEP_1)
	v_fma_f64 v[16:17], v[16:17], v[19:20], v[16:17]
	v_div_scale_f64 v[19:20], vcc_lo, v[2:3], v[10:11], v[2:3]
	v_mul_f64 v[21:22], v[19:20], v[16:17]
	s_delay_alu instid0(VALU_DEP_1) | instskip(NEXT) | instid1(VALU_DEP_1)
	v_fma_f64 v[14:15], -v[14:15], v[21:22], v[19:20]
	v_div_fmas_f64 v[14:15], v[14:15], v[16:17], v[21:22]
	s_delay_alu instid0(VALU_DEP_1)
	v_div_fixup_f64 v[2:3], v[14:15], v[10:11], v[2:3]
.LBB1_10:
	s_or_b32 exec_lo, exec_lo, s0
.LBB1_11:
	s_delay_alu instid0(SALU_CYCLE_1)
	s_or_b32 exec_lo, exec_lo, s5
.LBB1_12:
	s_delay_alu instid0(SALU_CYCLE_1) | instskip(NEXT) | instid1(SALU_CYCLE_1)
	s_or_b32 exec_lo, exec_lo, s4
	s_mov_b32 s4, exec_lo
	v_cmpx_neq_f64_e32 0, v[12:13]
	s_cbranch_execz .LBB1_24
; %bb.13:
	v_mov_b32_e32 v4, 0
	v_mov_b32_e32 v5, 0x7ff80000
	s_mov_b32 s5, exec_lo
	v_cmpx_ngt_f64_e32 0, v[12:13]
	s_cbranch_execz .LBB1_23
; %bb.14:
	s_mov_b32 s0, exec_lo
	v_cmpx_ge_f64_e32 2.0, v[12:13]
	s_xor_b32 s6, exec_lo, s0
	s_cbranch_execz .LBB1_20
; %bb.15:
	v_mul_f64 v[4:5], v[12:13], 0.5
	s_mov_b32 s0, exec_lo
                                        ; implicit-def: $vgpr14_vgpr15
                                        ; implicit-def: $vgpr10_vgpr11
	v_cmpx_ge_f64_e32 0x40200000, v[12:13]
	s_xor_b32 s0, exec_lo, s0
	s_cbranch_execz .LBB1_17
; %bb.16:
	s_delay_alu instid0(VALU_DEP_2)
	v_add_f64 v[10:11], v[4:5], -2.0
	s_mov_b32 s8, 0xc38a0576
	s_mov_b32 s9, 0xbc7857d0
	s_mov_b32 s11, 0x3c499f2a
	s_mov_b32 s10, 0xc3c4014
	v_cmp_nlt_f64_e32 vcc_lo, 0x40900000, v[12:13]
	s_delay_alu instid0(VALU_DEP_2) | instskip(SKIP_3) | instid1(VALU_DEP_1)
	v_fma_f64 v[14:15], v[10:11], s[10:11], s[8:9]
	s_mov_b32 s11, 0xbc499f2a
	s_mov_b32 s8, 0xe593bfac
	;; [unrolled: 1-line block ×3, first 2 shown]
	v_fma_f64 v[16:17], v[10:11], v[14:15], s[10:11]
	s_mov_b32 s10, 0x6a5dcb37
	s_mov_b32 s11, 0x3e5ade15
	s_delay_alu instid0(VALU_DEP_1) | instskip(SKIP_2) | instid1(VALU_DEP_1)
	v_add_f64 v[16:17], v[16:17], s[8:9]
	s_mov_b32 s8, 0x7e0d1573
	s_mov_b32 s9, 0xbcd3eaaa
	v_fma_f64 v[14:15], v[10:11], v[16:17], -v[14:15]
	s_delay_alu instid0(VALU_DEP_1) | instskip(SKIP_2) | instid1(VALU_DEP_1)
	v_add_f64 v[14:15], v[14:15], s[8:9]
	s_mov_b32 s8, 0x615290c
	s_mov_b32 s9, 0x3d011d7f
	v_fma_f64 v[16:17], v[10:11], v[14:15], -v[16:17]
	;; [unrolled: 5-line block ×19, first 2 shown]
	s_delay_alu instid0(VALU_DEP_1) | instskip(SKIP_2) | instid1(SALU_CYCLE_1)
	v_add_f64 v[14:15], v[14:15], s[8:9]
	s_mov_b32 s8, 0x652b82fe
	s_mov_b32 s9, 0x3ff71547
	v_mul_f64 v[19:20], v[12:13], s[8:9]
	s_mov_b32 s8, 0x49d3a1b4
	s_mov_b32 s9, 0x3f710653
	s_delay_alu instid0(VALU_DEP_2) | instskip(NEXT) | instid1(VALU_DEP_2)
	v_fma_f64 v[16:17], v[10:11], v[14:15], -v[16:17]
	v_rndne_f64_e32 v[19:20], v[19:20]
	s_delay_alu instid0(VALU_DEP_2)
	v_add_f64 v[16:17], v[16:17], s[8:9]
	s_mov_b32 s8, 0xfefa39ef
	s_mov_b32 s9, 0xbfe62e42
	s_delay_alu instid0(VALU_DEP_2) | instid1(SALU_CYCLE_1)
	v_fma_f64 v[21:22], v[19:20], s[8:9], v[12:13]
	s_mov_b32 s8, 0x7913a26a
	s_mov_b32 s9, 0xbf85a29f
	s_delay_alu instid0(VALU_DEP_2) | instskip(NEXT) | instid1(VALU_DEP_1)
	v_fma_f64 v[14:15], v[10:11], v[16:17], -v[14:15]
	v_add_f64 v[14:15], v[14:15], s[8:9]
	s_mov_b32 s8, 0x3b39803f
	s_mov_b32 s9, 0xbc7abc9e
	s_delay_alu instid0(VALU_DEP_3) | instid1(SALU_CYCLE_1)
	v_fma_f64 v[21:22], v[19:20], s[8:9], v[21:22]
	s_mov_b32 s8, 0xfca7ab0c
	s_mov_b32 s9, 0x3e928af3
	s_delay_alu instid0(VALU_DEP_2) | instskip(NEXT) | instid1(VALU_DEP_2)
	v_fma_f64 v[16:17], v[10:11], v[14:15], -v[16:17]
	v_fma_f64 v[23:24], v[21:22], s[10:11], s[8:9]
	s_mov_b32 s8, 0xe7bb2349
	s_mov_b32 s9, 0x3f9951e3
	s_delay_alu instid0(VALU_DEP_2) | instid1(SALU_CYCLE_1)
	v_add_f64 v[16:17], v[16:17], s[8:9]
	s_mov_b32 s8, 0x623fde64
	s_mov_b32 s9, 0x3ec71dee
	s_delay_alu instid0(VALU_DEP_2) | instid1(SALU_CYCLE_1)
	v_fma_f64 v[23:24], v[21:22], v[23:24], s[8:9]
	s_mov_b32 s8, 0x7c89e6b0
	s_mov_b32 s9, 0x3efa0199
	s_delay_alu instid0(VALU_DEP_2) | instskip(NEXT) | instid1(VALU_DEP_2)
	v_fma_f64 v[14:15], v[10:11], v[16:17], -v[14:15]
	v_fma_f64 v[23:24], v[21:22], v[23:24], s[8:9]
	s_mov_b32 s8, 0x537c9ebc
	s_mov_b32 s9, 0xbfab1bbc
	s_delay_alu instid0(VALU_DEP_2) | instid1(SALU_CYCLE_1)
	v_add_f64 v[14:15], v[14:15], s[8:9]
	s_mov_b32 s8, 0x14761f6e
	s_mov_b32 s9, 0x3f2a01a0
	s_delay_alu instid0(VALU_DEP_2) | instid1(SALU_CYCLE_1)
	;; [unrolled: 13-line block ×4, first 2 shown]
	v_fma_f64 v[23:24], v[21:22], v[23:24], s[8:9]
	s_mov_b32 s8, 11
	s_mov_b32 s9, 0x3fe00000
	s_delay_alu instid0(VALU_DEP_2) | instskip(NEXT) | instid1(VALU_DEP_2)
	v_fma_f64 v[10:11], v[10:11], v[14:15], -v[16:17]
	v_fma_f64 v[14:15], v[21:22], v[23:24], s[8:9]
	s_mov_b32 s8, 0x724a7ffa
	s_mov_b32 s9, 0x3fd02a63
	s_delay_alu instid0(VALU_DEP_2) | instid1(SALU_CYCLE_1)
	v_add_f64 v[10:11], v[10:11], s[8:9]
	s_delay_alu instid0(VALU_DEP_2) | instskip(NEXT) | instid1(VALU_DEP_2)
	v_fma_f64 v[14:15], v[21:22], v[14:15], 1.0
	v_add_f64 v[10:11], v[10:11], -v[16:17]
	v_cvt_i32_f64_e32 v16, v[19:20]
	s_delay_alu instid0(VALU_DEP_3) | instskip(NEXT) | instid1(VALU_DEP_3)
	v_fma_f64 v[14:15], v[21:22], v[14:15], 1.0
	v_mul_f64 v[10:11], v[10:11], 0.5
	s_delay_alu instid0(VALU_DEP_2) | instskip(NEXT) | instid1(VALU_DEP_2)
	v_ldexp_f64 v[14:15], v[14:15], v16
	v_mul_f64 v[16:17], v[12:13], v[10:11]
	s_delay_alu instid0(VALU_DEP_2) | instskip(NEXT) | instid1(VALU_DEP_3)
	v_cndmask_b32_e32 v11, 0x7ff00000, v15, vcc_lo
	v_cndmask_b32_e32 v10, 0, v14, vcc_lo
	s_delay_alu instid0(VALU_DEP_1)
	v_mul_f64 v[14:15], v[10:11], v[16:17]
.LBB1_17:
	s_and_not1_saveexec_b32 s1, s0
	s_cbranch_execz .LBB1_19
; %bb.18:
	v_div_scale_f64 v[10:11], null, v[12:13], v[12:13], 0x40400000
	v_div_scale_f64 v[19:20], vcc_lo, 0x40400000, v[12:13], 0x40400000
	s_mov_b32 s8, 0xea87b950
	s_mov_b32 s9, 0x3c545b8a
	;; [unrolled: 1-line block ×4, first 2 shown]
	v_cmp_nlt_f64_e64 s0, 0x40900000, v[12:13]
	s_delay_alu instid0(VALU_DEP_3) | instskip(SKIP_2) | instid1(VALU_DEP_1)
	v_rcp_f64_e32 v[14:15], v[10:11]
	s_waitcnt_depctr 0xfff
	v_fma_f64 v[16:17], -v[10:11], v[14:15], 1.0
	v_fma_f64 v[14:15], v[14:15], v[16:17], v[14:15]
	s_delay_alu instid0(VALU_DEP_1) | instskip(NEXT) | instid1(VALU_DEP_1)
	v_fma_f64 v[16:17], -v[10:11], v[14:15], 1.0
	v_fma_f64 v[14:15], v[14:15], v[16:17], v[14:15]
	s_delay_alu instid0(VALU_DEP_1) | instskip(NEXT) | instid1(VALU_DEP_1)
	v_mul_f64 v[16:17], v[19:20], v[14:15]
	v_fma_f64 v[10:11], -v[10:11], v[16:17], v[19:20]
	s_delay_alu instid0(VALU_DEP_1) | instskip(SKIP_1) | instid1(VALU_DEP_2)
	v_div_fmas_f64 v[10:11], v[10:11], v[14:15], v[16:17]
	v_cmp_gt_f64_e32 vcc_lo, 0x10000000, v[12:13]
	v_div_fixup_f64 v[10:11], v[10:11], v[12:13], 0x40400000
	v_cndmask_b32_e64 v25, 0, 1, vcc_lo
	s_delay_alu instid0(VALU_DEP_1) | instskip(NEXT) | instid1(VALU_DEP_1)
	v_lshlrev_b32_e32 v25, 8, v25
	v_ldexp_f64 v[25:26], v[12:13], v25
	s_delay_alu instid0(VALU_DEP_4) | instskip(NEXT) | instid1(VALU_DEP_2)
	v_add_f64 v[10:11], v[10:11], -2.0
	v_rsq_f64_e32 v[27:28], v[25:26]
	s_delay_alu instid0(VALU_DEP_1)
	v_fma_f64 v[14:15], v[10:11], s[10:11], s[8:9]
	s_mov_b32 s11, 0xbc61556d
	s_mov_b32 s8, 0xb2532277
	s_mov_b32 s9, 0xbc8acea3
	s_waitcnt_depctr 0xfff
	v_mul_f64 v[29:30], v[25:26], v[27:28]
	v_mul_f64 v[27:28], v[27:28], 0.5
	v_fma_f64 v[16:17], v[10:11], v[14:15], s[10:11]
	s_mov_b32 s10, 0x6a5dcb37
	s_mov_b32 s11, 0x3e5ade15
	s_delay_alu instid0(VALU_DEP_2) | instskip(NEXT) | instid1(VALU_DEP_2)
	v_fma_f64 v[31:32], -v[27:28], v[29:30], 0.5
	v_add_f64 v[16:17], v[16:17], s[8:9]
	s_mov_b32 s8, 0x9c773320
	s_mov_b32 s9, 0xbc82806c
	s_delay_alu instid0(VALU_DEP_2) | instskip(SKIP_1) | instid1(VALU_DEP_3)
	v_fma_f64 v[29:30], v[29:30], v[31:32], v[29:30]
	v_fma_f64 v[27:28], v[27:28], v[31:32], v[27:28]
	v_fma_f64 v[14:15], v[10:11], v[16:17], -v[14:15]
	s_delay_alu instid0(VALU_DEP_3) | instskip(NEXT) | instid1(VALU_DEP_2)
	v_fma_f64 v[31:32], -v[29:30], v[29:30], v[25:26]
	v_add_f64 v[14:15], v[14:15], s[8:9]
	s_mov_b32 s8, 0xfceb588a
	s_mov_b32 s9, 0x3cb55915
	s_delay_alu instid0(VALU_DEP_1) | instskip(NEXT) | instid1(VALU_DEP_1)
	v_fma_f64 v[16:17], v[10:11], v[14:15], -v[16:17]
	v_add_f64 v[16:17], v[16:17], s[8:9]
	s_mov_b32 s8, 0x5f04a2d1
	s_mov_b32 s9, 0x3cb7d68e
	s_delay_alu instid0(VALU_DEP_1) | instskip(NEXT) | instid1(VALU_DEP_1)
	v_fma_f64 v[14:15], v[10:11], v[16:17], -v[14:15]
	;; [unrolled: 5-line block ×14, first 2 shown]
	v_add_f64 v[14:15], v[14:15], s[8:9]
	s_mov_b32 s8, 0x652b82fe
	s_mov_b32 s9, 0x3ff71547
	s_delay_alu instid0(SALU_CYCLE_1) | instskip(SKIP_2) | instid1(VALU_DEP_2)
	v_mul_f64 v[19:20], v[12:13], s[8:9]
	s_mov_b32 s8, 0x9ad53528
	s_mov_b32 s9, 0xbe30790b
	v_fma_f64 v[16:17], v[10:11], v[14:15], -v[16:17]
	s_delay_alu instid0(VALU_DEP_2) | instskip(NEXT) | instid1(VALU_DEP_2)
	v_rndne_f64_e32 v[19:20], v[19:20]
	v_add_f64 v[16:17], v[16:17], s[8:9]
	s_mov_b32 s8, 0xfefa39ef
	s_mov_b32 s9, 0xbfe62e42
	s_delay_alu instid0(VALU_DEP_2) | instid1(SALU_CYCLE_1)
	v_fma_f64 v[21:22], v[19:20], s[8:9], v[12:13]
	s_mov_b32 s8, 0x3b39803f
	s_mov_b32 s9, 0xbc7abc9e
	s_delay_alu instid0(VALU_DEP_2) | instskip(NEXT) | instid1(VALU_DEP_2)
	v_fma_f64 v[14:15], v[10:11], v[16:17], -v[14:15]
	v_fma_f64 v[21:22], v[19:20], s[8:9], v[21:22]
	s_mov_b32 s8, 0x94bb46c1
	s_mov_b32 s9, 0xbe5c4153
	s_delay_alu instid0(VALU_DEP_2) | instid1(SALU_CYCLE_1)
	v_add_f64 v[14:15], v[14:15], s[8:9]
	s_mov_b32 s8, 0xfca7ab0c
	s_mov_b32 s9, 0x3e928af3
	s_delay_alu instid0(VALU_DEP_2) | instid1(SALU_CYCLE_1)
	v_fma_f64 v[23:24], v[21:22], s[10:11], s[8:9]
	s_mov_b32 s8, 0x623fde64
	s_mov_b32 s9, 0x3ec71dee
	s_delay_alu instid0(VALU_DEP_2) | instskip(NEXT) | instid1(VALU_DEP_2)
	v_fma_f64 v[16:17], v[10:11], v[14:15], -v[16:17]
	v_fma_f64 v[23:24], v[21:22], v[23:24], s[8:9]
	s_mov_b32 s8, 0x2e9e5443
	s_mov_b32 s9, 0xbe90dbfd
	s_delay_alu instid0(VALU_DEP_2) | instid1(SALU_CYCLE_1)
	;; [unrolled: 13-line block ×5, first 2 shown]
	v_add_f64 v[14:15], v[14:15], s[8:9]
	s_mov_b32 s8, 11
	s_mov_b32 s9, 0x3fe00000
	s_delay_alu instid0(VALU_DEP_2) | instid1(SALU_CYCLE_1)
	v_fma_f64 v[23:24], v[21:22], v[23:24], s[8:9]
	s_mov_b32 s8, 0xb55b1514
	s_mov_b32 s9, 0x3fe8ea18
	s_delay_alu instid0(VALU_DEP_2) | instskip(SKIP_2) | instid1(VALU_DEP_4)
	v_fma_f64 v[10:11], v[10:11], v[14:15], -v[16:17]
	v_fma_f64 v[14:15], v[31:32], v[27:28], v[29:30]
	v_cvt_i32_f64_e32 v29, v[19:20]
	v_fma_f64 v[23:24], v[21:22], v[23:24], 1.0
	s_delay_alu instid0(VALU_DEP_4) | instskip(NEXT) | instid1(VALU_DEP_4)
	v_add_f64 v[10:11], v[10:11], s[8:9]
	v_fma_f64 v[19:20], -v[14:15], v[14:15], v[25:26]
	s_delay_alu instid0(VALU_DEP_3) | instskip(NEXT) | instid1(VALU_DEP_3)
	v_fma_f64 v[21:22], v[21:22], v[23:24], 1.0
	v_add_f64 v[10:11], v[10:11], -v[16:17]
	s_delay_alu instid0(VALU_DEP_3) | instskip(NEXT) | instid1(VALU_DEP_3)
	v_fma_f64 v[14:15], v[19:20], v[27:28], v[14:15]
	v_ldexp_f64 v[16:17], v[21:22], v29
	s_delay_alu instid0(VALU_DEP_3) | instskip(SKIP_2) | instid1(VALU_DEP_4)
	v_mul_f64 v[19:20], v[10:11], 0.5
	v_cndmask_b32_e64 v10, 0, 0xffffff80, vcc_lo
	v_cmp_class_f64_e64 vcc_lo, v[25:26], 0x260
	v_cndmask_b32_e64 v11, 0x7ff00000, v17, s0
	s_delay_alu instid0(VALU_DEP_3) | instskip(SKIP_1) | instid1(VALU_DEP_1)
	v_ldexp_f64 v[14:15], v[14:15], v10
	v_cndmask_b32_e64 v10, 0, v16, s0
	v_mul_f64 v[16:17], v[10:11], v[19:20]
	s_delay_alu instid0(VALU_DEP_3) | instskip(NEXT) | instid1(VALU_DEP_1)
	v_dual_cndmask_b32 v15, v15, v26 :: v_dual_cndmask_b32 v14, v14, v25
	v_div_scale_f64 v[19:20], null, v[14:15], v[14:15], v[16:17]
	s_delay_alu instid0(VALU_DEP_1) | instskip(SKIP_2) | instid1(VALU_DEP_1)
	v_rcp_f64_e32 v[21:22], v[19:20]
	s_waitcnt_depctr 0xfff
	v_fma_f64 v[23:24], -v[19:20], v[21:22], 1.0
	v_fma_f64 v[21:22], v[21:22], v[23:24], v[21:22]
	s_delay_alu instid0(VALU_DEP_1) | instskip(NEXT) | instid1(VALU_DEP_1)
	v_fma_f64 v[23:24], -v[19:20], v[21:22], 1.0
	v_fma_f64 v[21:22], v[21:22], v[23:24], v[21:22]
	v_div_scale_f64 v[23:24], vcc_lo, v[16:17], v[14:15], v[16:17]
	s_delay_alu instid0(VALU_DEP_1) | instskip(NEXT) | instid1(VALU_DEP_1)
	v_mul_f64 v[25:26], v[23:24], v[21:22]
	v_fma_f64 v[19:20], -v[19:20], v[25:26], v[23:24]
	s_delay_alu instid0(VALU_DEP_1) | instskip(NEXT) | instid1(VALU_DEP_1)
	v_div_fmas_f64 v[19:20], v[19:20], v[21:22], v[25:26]
	v_div_fixup_f64 v[14:15], v[19:20], v[14:15], v[16:17]
.LBB1_19:
	s_or_b32 exec_lo, exec_lo, s1
	s_delay_alu instid0(VALU_DEP_2)
	v_frexp_mant_f64_e32 v[16:17], v[4:5]
	s_mov_b32 s1, 0x3fe55555
	s_mov_b32 s0, 0x55555555
	v_mov_b32_e32 v19, 0
	v_fma_f64 v[31:32], v[12:13], v[12:13], -2.0
	s_mov_b32 s8, 0x7a0399e0
	s_mov_b32 s9, 0xbce5dd51
	;; [unrolled: 1-line block ×4, first 2 shown]
	v_frexp_exp_i32_f64_e32 v35, v[4:5]
	s_delay_alu instid0(VALU_DEP_4) | instskip(SKIP_1) | instid1(VALU_DEP_3)
	v_cmp_gt_f64_e32 vcc_lo, s[0:1], v[16:17]
	s_mov_b32 s0, 0x55555780
	v_fma_f64 v[33:34], v[31:32], s[10:11], s[8:9]
	s_mov_b32 s11, 0x3c603228
	s_mov_b32 s8, 0xddd0e045
	s_mov_b32 s9, 0xbd677502
	v_cndmask_b32_e64 v20, 0x3ff00000, 2.0, vcc_lo
	s_delay_alu instid0(VALU_DEP_1) | instskip(NEXT) | instid1(VALU_DEP_1)
	v_mul_f64 v[16:17], v[16:17], v[19:20]
	v_add_f64 v[19:20], v[16:17], 1.0
	v_add_f64 v[25:26], v[16:17], -1.0
	s_delay_alu instid0(VALU_DEP_2) | instskip(SKIP_1) | instid1(VALU_DEP_1)
	v_rcp_f64_e32 v[21:22], v[19:20]
	v_add_f64 v[27:28], v[19:20], -1.0
	v_add_f64 v[16:17], v[16:17], -v[27:28]
	s_waitcnt_depctr 0xfff
	v_fma_f64 v[23:24], -v[19:20], v[21:22], 1.0
	s_delay_alu instid0(VALU_DEP_1) | instskip(NEXT) | instid1(VALU_DEP_1)
	v_fma_f64 v[21:22], v[23:24], v[21:22], v[21:22]
	v_fma_f64 v[23:24], -v[19:20], v[21:22], 1.0
	s_delay_alu instid0(VALU_DEP_1) | instskip(NEXT) | instid1(VALU_DEP_1)
	v_fma_f64 v[21:22], v[23:24], v[21:22], v[21:22]
	v_mul_f64 v[23:24], v[25:26], v[21:22]
	s_delay_alu instid0(VALU_DEP_1) | instskip(NEXT) | instid1(VALU_DEP_1)
	v_mul_f64 v[29:30], v[19:20], v[23:24]
	v_fma_f64 v[19:20], v[23:24], v[19:20], -v[29:30]
	s_delay_alu instid0(VALU_DEP_1) | instskip(NEXT) | instid1(VALU_DEP_1)
	v_fma_f64 v[16:17], v[23:24], v[16:17], v[19:20]
	v_add_f64 v[19:20], v[29:30], v[16:17]
	s_delay_alu instid0(VALU_DEP_1) | instskip(SKIP_1) | instid1(VALU_DEP_2)
	v_add_f64 v[27:28], v[25:26], -v[19:20]
	v_add_f64 v[29:30], v[19:20], -v[29:30]
	;; [unrolled: 1-line block ×3, first 2 shown]
	s_delay_alu instid0(VALU_DEP_2) | instskip(NEXT) | instid1(VALU_DEP_2)
	v_add_f64 v[16:17], v[29:30], -v[16:17]
	v_add_f64 v[19:20], v[25:26], -v[19:20]
	v_fma_f64 v[25:26], v[31:32], v[33:34], s[10:11]
	s_mov_b32 s10, 0xbf559e2b
	s_mov_b32 s11, 0x3fc3ab76
	s_delay_alu instid0(VALU_DEP_2) | instskip(NEXT) | instid1(VALU_DEP_2)
	v_add_f64 v[16:17], v[16:17], v[19:20]
	v_add_f64 v[19:20], v[25:26], s[8:9]
	s_mov_b32 s8, 0xb84626ca
	s_mov_b32 s9, 0xbde3663b
	s_delay_alu instid0(VALU_DEP_2) | instskip(NEXT) | instid1(VALU_DEP_2)
	v_add_f64 v[16:17], v[27:28], v[16:17]
	v_fma_f64 v[25:26], v[31:32], v[19:20], -v[33:34]
	s_delay_alu instid0(VALU_DEP_2) | instskip(NEXT) | instid1(VALU_DEP_2)
	v_mul_f64 v[16:17], v[21:22], v[16:17]
	v_add_f64 v[21:22], v[25:26], s[8:9]
	s_mov_b32 s8, 0x145c31d0
	s_mov_b32 s9, 0xbe57c41d
	s_delay_alu instid0(VALU_DEP_2) | instskip(NEXT) | instid1(VALU_DEP_2)
	v_add_f64 v[25:26], v[23:24], v[16:17]
	v_fma_f64 v[19:20], v[31:32], v[21:22], -v[19:20]
	s_delay_alu instid0(VALU_DEP_2) | instskip(NEXT) | instid1(VALU_DEP_2)
	v_mul_f64 v[27:28], v[25:26], v[25:26]
	v_add_f64 v[19:20], v[19:20], s[8:9]
	s_mov_b32 s8, 0x6b47b09a
	s_mov_b32 s9, 0x3fc38538
	v_add_f64 v[23:24], v[25:26], -v[23:24]
	s_delay_alu instid0(VALU_DEP_3) | instskip(NEXT) | instid1(VALU_DEP_3)
	v_fma_f64 v[29:30], v[27:28], s[10:11], s[8:9]
	v_fma_f64 v[21:22], v[31:32], v[19:20], -v[21:22]
	s_mov_b32 s8, 0xd7f4df2e
	s_mov_b32 s9, 0x3fc7474d
	v_mul_f64 v[33:34], v[25:26], v[27:28]
	s_delay_alu instid0(VALU_DEP_4) | instskip(NEXT) | instid1(VALU_DEP_4)
	v_add_f64 v[16:17], v[16:17], -v[23:24]
	v_fma_f64 v[29:30], v[27:28], v[29:30], s[8:9]
	s_mov_b32 s8, 0x2c832e3a
	s_mov_b32 s9, 0xbec469b3
	s_delay_alu instid0(VALU_DEP_4) | instid1(SALU_CYCLE_1)
	v_add_f64 v[21:22], v[21:22], s[8:9]
	s_mov_b32 s8, 0x16291751
	s_mov_b32 s9, 0x3fcc71c0
	s_delay_alu instid0(VALU_DEP_3) | instskip(NEXT) | instid1(VALU_DEP_3)
	v_ldexp_f64 v[16:17], v[16:17], 1
	v_fma_f64 v[29:30], v[27:28], v[29:30], s[8:9]
	s_mov_b32 s8, 0x9b27acf1
	s_mov_b32 s9, 0x3fd24924
	s_delay_alu instid0(VALU_DEP_3) | instskip(NEXT) | instid1(VALU_DEP_2)
	v_fma_f64 v[19:20], v[31:32], v[21:22], -v[19:20]
	v_fma_f64 v[29:30], v[27:28], v[29:30], s[8:9]
	s_mov_b32 s8, 0xe5a3bd02
	s_mov_b32 s9, 0xbf26ade2
	s_delay_alu instid0(VALU_DEP_2) | instid1(SALU_CYCLE_1)
	v_add_f64 v[19:20], v[19:20], s[8:9]
	s_mov_b32 s8, 0x998ef7b6
	s_mov_b32 s9, 0x3fd99999
	s_delay_alu instid0(VALU_DEP_2) | instid1(SALU_CYCLE_1)
	v_fma_f64 v[29:30], v[27:28], v[29:30], s[8:9]
	s_delay_alu instid0(VALU_DEP_2) | instskip(NEXT) | instid1(VALU_DEP_2)
	v_fma_f64 v[21:22], v[31:32], v[19:20], -v[21:22]
	v_fma_f64 v[27:28], v[27:28], v[29:30], s[0:1]
	s_mov_b32 s0, 0x9d7d4192
	s_mov_b32 s1, 0xbf7c9293
	v_ldexp_f64 v[29:30], v[25:26], 1
	s_delay_alu instid0(VALU_DEP_3) | instskip(SKIP_2) | instid1(VALU_DEP_3)
	v_add_f64 v[21:22], v[21:22], s[0:1]
	s_mov_b32 s0, 0x43c1db74
	s_mov_b32 s1, 0xbfbf6372
	v_mul_f64 v[27:28], v[33:34], v[27:28]
	v_subrev_co_ci_u32_e32 v33, vcc_lo, 0, v35, vcc_lo
	s_delay_alu instid0(VALU_DEP_3) | instskip(NEXT) | instid1(VALU_DEP_2)
	v_fma_f64 v[19:20], v[31:32], v[21:22], -v[19:20]
	v_cvt_f64_i32_e32 v[33:34], v33
	s_delay_alu instid0(VALU_DEP_4) | instskip(NEXT) | instid1(VALU_DEP_3)
	v_add_f64 v[25:26], v[29:30], v[27:28]
	v_add_f64 v[19:20], v[19:20], s[0:1]
	s_mov_b32 s0, 0xfefa39ef
	s_mov_b32 s1, 0x3fe62e42
	s_delay_alu instid0(VALU_DEP_3) | instid1(SALU_CYCLE_1)
	v_mul_f64 v[35:36], v[33:34], s[0:1]
	s_delay_alu instid0(VALU_DEP_3) | instskip(NEXT) | instid1(VALU_DEP_3)
	v_add_f64 v[23:24], v[25:26], -v[29:30]
	v_fma_f64 v[21:22], v[31:32], v[19:20], -v[21:22]
	s_delay_alu instid0(VALU_DEP_3) | instskip(SKIP_2) | instid1(VALU_DEP_3)
	v_fma_f64 v[29:30], v[33:34], s[0:1], -v[35:36]
	s_mov_b32 s0, 0x757b0dd4
	s_mov_b32 s1, 0xbfd69a1b
	v_add_f64 v[23:24], v[27:28], -v[23:24]
	s_delay_alu instid0(VALU_DEP_3)
	v_add_f64 v[21:22], v[21:22], s[0:1]
	s_mov_b32 s0, 0x3b39803f
	s_mov_b32 s1, 0x3c7abc9e
	s_delay_alu instid0(VALU_DEP_3) | instid1(SALU_CYCLE_1)
	v_fma_f64 v[27:28], v[33:34], s[0:1], v[29:30]
	s_mov_b32 s0, 0x361008ca
	s_mov_b32 s1, 0x3ff867a1
	s_delay_alu instid0(VALU_DEP_3) | instskip(NEXT) | instid1(VALU_DEP_3)
	v_add_f64 v[16:17], v[16:17], v[23:24]
	v_fma_f64 v[21:22], v[31:32], v[21:22], -v[19:20]
	s_delay_alu instid0(VALU_DEP_3) | instskip(NEXT) | instid1(VALU_DEP_3)
	v_add_f64 v[23:24], v[35:36], v[27:28]
	v_add_f64 v[29:30], v[25:26], v[16:17]
	s_delay_alu instid0(VALU_DEP_3) | instskip(SKIP_1) | instid1(VALU_DEP_4)
	v_add_f64 v[21:22], v[21:22], s[0:1]
	v_cmp_eq_f64_e64 s0, 0x7ff00000, v[4:5]
	v_add_f64 v[33:34], v[23:24], -v[35:36]
	s_delay_alu instid0(VALU_DEP_4) | instskip(SKIP_2) | instid1(VALU_DEP_4)
	v_add_f64 v[31:32], v[23:24], v[29:30]
	v_add_f64 v[25:26], v[29:30], -v[25:26]
	v_add_f64 v[19:20], v[21:22], -v[19:20]
	;; [unrolled: 1-line block ×3, first 2 shown]
	s_delay_alu instid0(VALU_DEP_4) | instskip(NEXT) | instid1(VALU_DEP_4)
	v_add_f64 v[21:22], v[31:32], -v[23:24]
	v_add_f64 v[16:17], v[16:17], -v[25:26]
	s_delay_alu instid0(VALU_DEP_4) | instskip(NEXT) | instid1(VALU_DEP_3)
	v_mul_f64 v[19:20], v[19:20], 0.5
	v_add_f64 v[35:36], v[31:32], -v[21:22]
	v_add_f64 v[21:22], v[29:30], -v[21:22]
	s_delay_alu instid0(VALU_DEP_4) | instskip(NEXT) | instid1(VALU_DEP_4)
	v_add_f64 v[29:30], v[27:28], v[16:17]
	v_div_scale_f64 v[37:38], null, v[12:13], v[12:13], v[19:20]
	s_delay_alu instid0(VALU_DEP_4) | instskip(NEXT) | instid1(VALU_DEP_3)
	v_add_f64 v[23:24], v[23:24], -v[35:36]
	v_add_f64 v[33:34], v[29:30], -v[27:28]
	s_delay_alu instid0(VALU_DEP_3) | instskip(NEXT) | instid1(VALU_DEP_2)
	v_rcp_f64_e32 v[25:26], v[37:38]
	v_add_f64 v[21:22], v[21:22], v[23:24]
	s_delay_alu instid0(VALU_DEP_2) | instskip(SKIP_3) | instid1(VALU_DEP_2)
	v_add_f64 v[16:17], v[16:17], -v[33:34]
	s_waitcnt_depctr 0xfff
	v_fma_f64 v[23:24], -v[37:38], v[25:26], 1.0
	v_add_f64 v[21:22], v[29:30], v[21:22]
	v_fma_f64 v[23:24], v[25:26], v[23:24], v[25:26]
	v_add_f64 v[25:26], v[29:30], -v[33:34]
	s_delay_alu instid0(VALU_DEP_3) | instskip(NEXT) | instid1(VALU_DEP_3)
	v_add_f64 v[29:30], v[31:32], v[21:22]
	v_fma_f64 v[35:36], -v[37:38], v[23:24], 1.0
	s_delay_alu instid0(VALU_DEP_3) | instskip(NEXT) | instid1(VALU_DEP_3)
	v_add_f64 v[25:26], v[27:28], -v[25:26]
	v_add_f64 v[27:28], v[29:30], -v[31:32]
	v_div_scale_f64 v[31:32], vcc_lo, v[19:20], v[12:13], v[19:20]
	s_delay_alu instid0(VALU_DEP_4) | instskip(NEXT) | instid1(VALU_DEP_4)
	v_fma_f64 v[23:24], v[23:24], v[35:36], v[23:24]
	v_add_f64 v[16:17], v[16:17], v[25:26]
	s_delay_alu instid0(VALU_DEP_4) | instskip(NEXT) | instid1(VALU_DEP_3)
	v_add_f64 v[21:22], v[21:22], -v[27:28]
	v_mul_f64 v[25:26], v[31:32], v[23:24]
	s_delay_alu instid0(VALU_DEP_2) | instskip(NEXT) | instid1(VALU_DEP_2)
	v_add_f64 v[16:17], v[16:17], v[21:22]
	v_fma_f64 v[21:22], -v[37:38], v[25:26], v[31:32]
	s_delay_alu instid0(VALU_DEP_2) | instskip(NEXT) | instid1(VALU_DEP_2)
	v_add_f64 v[16:17], v[29:30], v[16:17]
	v_div_fmas_f64 v[21:22], v[21:22], v[23:24], v[25:26]
	v_cmp_neq_f64_e32 vcc_lo, 0, v[4:5]
	s_delay_alu instid0(VALU_DEP_3) | instskip(NEXT) | instid1(VALU_DEP_4)
	v_cndmask_b32_e64 v16, v16, v4, s0
	v_cndmask_b32_e64 v17, v17, v5, s0
	s_delay_alu instid0(VALU_DEP_4) | instskip(NEXT) | instid1(VALU_DEP_3)
	v_div_fixup_f64 v[4:5], v[21:22], v[12:13], v[19:20]
	v_cndmask_b32_e32 v12, 0, v16, vcc_lo
	s_delay_alu instid0(VALU_DEP_3) | instskip(NEXT) | instid1(VALU_DEP_1)
	v_cndmask_b32_e32 v13, 0xfff00000, v17, vcc_lo
	v_fma_f64 v[4:5], v[12:13], v[14:15], v[4:5]
                                        ; implicit-def: $vgpr12_vgpr13
	s_delay_alu instid0(VALU_DEP_1)
	v_mul_f64 v[4:5], v[10:11], v[4:5]
.LBB1_20:
	s_and_not1_saveexec_b32 s0, s6
	s_cbranch_execz .LBB1_22
; %bb.21:
	v_div_scale_f64 v[4:5], null, v[12:13], v[12:13], 0x40200000
	v_div_scale_f64 v[16:17], vcc_lo, 0x40200000, v[12:13], 0x40200000
	s_mov_b32 s6, 0x838f5ed3
	s_mov_b32 s7, 0x3c74af1a
	;; [unrolled: 1-line block ×4, first 2 shown]
	s_delay_alu instid0(VALU_DEP_2) | instskip(SKIP_2) | instid1(VALU_DEP_1)
	v_rcp_f64_e32 v[10:11], v[4:5]
	s_waitcnt_depctr 0xfff
	v_fma_f64 v[14:15], -v[4:5], v[10:11], 1.0
	v_fma_f64 v[10:11], v[10:11], v[14:15], v[10:11]
	s_delay_alu instid0(VALU_DEP_1) | instskip(NEXT) | instid1(VALU_DEP_1)
	v_fma_f64 v[14:15], -v[4:5], v[10:11], 1.0
	v_fma_f64 v[10:11], v[10:11], v[14:15], v[10:11]
	s_delay_alu instid0(VALU_DEP_1) | instskip(NEXT) | instid1(VALU_DEP_1)
	v_mul_f64 v[14:15], v[16:17], v[10:11]
	v_fma_f64 v[4:5], -v[4:5], v[14:15], v[16:17]
	s_delay_alu instid0(VALU_DEP_1) | instskip(SKIP_1) | instid1(VALU_DEP_2)
	v_div_fmas_f64 v[4:5], v[4:5], v[10:11], v[14:15]
	v_cmp_gt_f64_e32 vcc_lo, 0x10000000, v[12:13]
	v_div_fixup_f64 v[4:5], v[4:5], v[12:13], 0x40200000
	v_cndmask_b32_e64 v16, 0, 1, vcc_lo
	s_delay_alu instid0(VALU_DEP_1) | instskip(NEXT) | instid1(VALU_DEP_1)
	v_lshlrev_b32_e32 v16, 8, v16
	v_ldexp_f64 v[12:13], v[12:13], v16
	s_delay_alu instid0(VALU_DEP_4) | instskip(NEXT) | instid1(VALU_DEP_2)
	v_add_f64 v[4:5], v[4:5], -2.0
	v_rsq_f64_e32 v[16:17], v[12:13]
	s_delay_alu instid0(VALU_DEP_1)
	v_fma_f64 v[10:11], v[4:5], s[8:9], s[6:7]
	s_mov_b32 s9, 0x3c5a8c5d
	s_mov_b32 s6, 0x17771d52
	;; [unrolled: 1-line block ×3, first 2 shown]
	s_waitcnt_depctr 0xfff
	v_mul_f64 v[19:20], v[12:13], v[16:17]
	v_mul_f64 v[16:17], v[16:17], 0.5
	v_fma_f64 v[14:15], v[4:5], v[10:11], s[8:9]
	s_delay_alu instid0(VALU_DEP_2) | instskip(NEXT) | instid1(VALU_DEP_2)
	v_fma_f64 v[21:22], -v[16:17], v[19:20], 0.5
	v_add_f64 v[14:15], v[14:15], s[6:7]
	s_mov_b32 s6, 0x44ee2c0b
	s_mov_b32 s7, 0x3caa7d5e
	s_delay_alu instid0(VALU_DEP_2) | instskip(SKIP_1) | instid1(VALU_DEP_3)
	v_fma_f64 v[19:20], v[19:20], v[21:22], v[19:20]
	v_fma_f64 v[16:17], v[16:17], v[21:22], v[16:17]
	v_fma_f64 v[10:11], v[4:5], v[14:15], -v[10:11]
	s_delay_alu instid0(VALU_DEP_3) | instskip(NEXT) | instid1(VALU_DEP_2)
	v_fma_f64 v[21:22], -v[19:20], v[19:20], v[12:13]
	v_add_f64 v[10:11], v[10:11], s[6:7]
	s_mov_b32 s6, 0xd8758ef2
	s_mov_b32 s7, 0xbcc5d2a3
	s_delay_alu instid0(VALU_DEP_2) | instskip(NEXT) | instid1(VALU_DEP_2)
	v_fma_f64 v[19:20], v[21:22], v[16:17], v[19:20]
	v_fma_f64 v[14:15], v[4:5], v[10:11], -v[14:15]
	s_delay_alu instid0(VALU_DEP_1) | instskip(SKIP_2) | instid1(VALU_DEP_1)
	v_add_f64 v[14:15], v[14:15], s[6:7]
	s_mov_b32 s6, 0xefee81bd
	s_mov_b32 s7, 0x3ce25ced
	v_fma_f64 v[10:11], v[4:5], v[14:15], -v[10:11]
	s_delay_alu instid0(VALU_DEP_1) | instskip(SKIP_2) | instid1(VALU_DEP_1)
	v_add_f64 v[10:11], v[10:11], s[6:7]
	s_mov_b32 s6, 0x364185ab
	s_mov_b32 s7, 0xbcff9d52
	;; [unrolled: 5-line block ×20, first 2 shown]
	v_fma_f64 v[4:5], v[4:5], v[10:11], -v[14:15]
	v_fma_f64 v[10:11], -v[19:20], v[19:20], v[12:13]
	s_delay_alu instid0(VALU_DEP_2) | instskip(NEXT) | instid1(VALU_DEP_2)
	v_add_f64 v[4:5], v[4:5], s[6:7]
	v_fma_f64 v[10:11], v[10:11], v[16:17], v[19:20]
	s_delay_alu instid0(VALU_DEP_2) | instskip(SKIP_2) | instid1(VALU_DEP_2)
	v_add_f64 v[4:5], v[4:5], -v[14:15]
	v_cndmask_b32_e64 v14, 0, 0xffffff80, vcc_lo
	v_cmp_class_f64_e64 vcc_lo, v[12:13], 0x260
	v_ldexp_f64 v[10:11], v[10:11], v14
	s_delay_alu instid0(VALU_DEP_4) | instskip(NEXT) | instid1(VALU_DEP_2)
	v_mul_f64 v[4:5], v[4:5], 0.5
	v_dual_cndmask_b32 v11, v11, v13 :: v_dual_cndmask_b32 v10, v10, v12
	s_delay_alu instid0(VALU_DEP_1) | instskip(NEXT) | instid1(VALU_DEP_1)
	v_div_scale_f64 v[12:13], null, v[10:11], v[10:11], v[4:5]
	v_rcp_f64_e32 v[14:15], v[12:13]
	s_waitcnt_depctr 0xfff
	v_fma_f64 v[16:17], -v[12:13], v[14:15], 1.0
	s_delay_alu instid0(VALU_DEP_1) | instskip(NEXT) | instid1(VALU_DEP_1)
	v_fma_f64 v[14:15], v[14:15], v[16:17], v[14:15]
	v_fma_f64 v[16:17], -v[12:13], v[14:15], 1.0
	s_delay_alu instid0(VALU_DEP_1) | instskip(SKIP_1) | instid1(VALU_DEP_1)
	v_fma_f64 v[14:15], v[14:15], v[16:17], v[14:15]
	v_div_scale_f64 v[16:17], vcc_lo, v[4:5], v[10:11], v[4:5]
	v_mul_f64 v[19:20], v[16:17], v[14:15]
	s_delay_alu instid0(VALU_DEP_1) | instskip(NEXT) | instid1(VALU_DEP_1)
	v_fma_f64 v[12:13], -v[12:13], v[19:20], v[16:17]
	v_div_fmas_f64 v[12:13], v[12:13], v[14:15], v[19:20]
	s_delay_alu instid0(VALU_DEP_1)
	v_div_fixup_f64 v[4:5], v[12:13], v[10:11], v[4:5]
.LBB1_22:
	s_or_b32 exec_lo, exec_lo, s0
.LBB1_23:
	s_delay_alu instid0(SALU_CYCLE_1)
	s_or_b32 exec_lo, exec_lo, s5
.LBB1_24:
	s_delay_alu instid0(SALU_CYCLE_1) | instskip(SKIP_2) | instid1(VALU_DEP_2)
	s_or_b32 exec_lo, exec_lo, s4
	v_mov_b32_e32 v12, 0
	v_mov_b32_e32 v13, 0x7ff00000
	;; [unrolled: 1-line block ×3, first 2 shown]
	s_mov_b32 s4, exec_lo
	s_delay_alu instid0(VALU_DEP_2)
	v_mov_b32_e32 v11, v13
	s_waitcnt vmcnt(0) lgkmcnt(0)
	v_cmpx_neq_f64_e32 0, v[6:7]
	s_cbranch_execz .LBB1_36
; %bb.25:
	v_mov_b32_e32 v10, 0
	v_mov_b32_e32 v11, 0x7ff80000
	s_mov_b32 s5, exec_lo
	v_cmpx_ngt_f64_e32 0, v[6:7]
	s_cbranch_execz .LBB1_35
; %bb.26:
	s_mov_b32 s0, exec_lo
	v_cmpx_ge_f64_e32 2.0, v[6:7]
	s_xor_b32 s6, exec_lo, s0
	s_cbranch_execz .LBB1_32
; %bb.27:
	v_mul_f64 v[10:11], v[6:7], 0.5
	s_mov_b32 s0, exec_lo
                                        ; implicit-def: $vgpr16_vgpr17
                                        ; implicit-def: $vgpr14_vgpr15
	v_cmpx_ge_f64_e32 0x40200000, v[6:7]
	s_xor_b32 s0, exec_lo, s0
	s_cbranch_execz .LBB1_29
; %bb.28:
	s_delay_alu instid0(VALU_DEP_2)
	v_add_f64 v[14:15], v[10:11], -2.0
	s_mov_b32 s8, 0xc38a0576
	s_mov_b32 s9, 0xbc7857d0
	s_mov_b32 s11, 0x3c499f2a
	s_mov_b32 s10, 0xc3c4014
	v_cmp_nlt_f64_e32 vcc_lo, 0x40900000, v[6:7]
	s_delay_alu instid0(VALU_DEP_2) | instskip(SKIP_3) | instid1(VALU_DEP_1)
	v_fma_f64 v[16:17], v[14:15], s[10:11], s[8:9]
	s_mov_b32 s11, 0xbc499f2a
	s_mov_b32 s8, 0xe593bfac
	;; [unrolled: 1-line block ×3, first 2 shown]
	v_fma_f64 v[19:20], v[14:15], v[16:17], s[10:11]
	s_mov_b32 s10, 0x6a5dcb37
	s_mov_b32 s11, 0x3e5ade15
	s_delay_alu instid0(VALU_DEP_1) | instskip(SKIP_2) | instid1(VALU_DEP_1)
	v_add_f64 v[19:20], v[19:20], s[8:9]
	s_mov_b32 s8, 0x7e0d1573
	s_mov_b32 s9, 0xbcd3eaaa
	v_fma_f64 v[16:17], v[14:15], v[19:20], -v[16:17]
	s_delay_alu instid0(VALU_DEP_1) | instskip(SKIP_2) | instid1(VALU_DEP_1)
	v_add_f64 v[16:17], v[16:17], s[8:9]
	s_mov_b32 s8, 0x615290c
	s_mov_b32 s9, 0x3d011d7f
	v_fma_f64 v[19:20], v[14:15], v[16:17], -v[19:20]
	;; [unrolled: 5-line block ×19, first 2 shown]
	s_delay_alu instid0(VALU_DEP_1) | instskip(SKIP_2) | instid1(SALU_CYCLE_1)
	v_add_f64 v[16:17], v[16:17], s[8:9]
	s_mov_b32 s8, 0x652b82fe
	s_mov_b32 s9, 0x3ff71547
	v_mul_f64 v[21:22], v[6:7], s[8:9]
	s_mov_b32 s8, 0x49d3a1b4
	s_mov_b32 s9, 0x3f710653
	s_delay_alu instid0(VALU_DEP_2) | instskip(NEXT) | instid1(VALU_DEP_2)
	v_fma_f64 v[19:20], v[14:15], v[16:17], -v[19:20]
	v_rndne_f64_e32 v[21:22], v[21:22]
	s_delay_alu instid0(VALU_DEP_2)
	v_add_f64 v[19:20], v[19:20], s[8:9]
	s_mov_b32 s8, 0xfefa39ef
	s_mov_b32 s9, 0xbfe62e42
	s_delay_alu instid0(VALU_DEP_2) | instid1(SALU_CYCLE_1)
	v_fma_f64 v[23:24], v[21:22], s[8:9], v[6:7]
	s_mov_b32 s8, 0x7913a26a
	s_mov_b32 s9, 0xbf85a29f
	s_delay_alu instid0(VALU_DEP_2) | instskip(NEXT) | instid1(VALU_DEP_1)
	v_fma_f64 v[16:17], v[14:15], v[19:20], -v[16:17]
	v_add_f64 v[16:17], v[16:17], s[8:9]
	s_mov_b32 s8, 0x3b39803f
	s_mov_b32 s9, 0xbc7abc9e
	s_delay_alu instid0(VALU_DEP_3) | instid1(SALU_CYCLE_1)
	v_fma_f64 v[23:24], v[21:22], s[8:9], v[23:24]
	s_mov_b32 s8, 0xfca7ab0c
	s_mov_b32 s9, 0x3e928af3
	s_delay_alu instid0(VALU_DEP_2) | instskip(NEXT) | instid1(VALU_DEP_2)
	v_fma_f64 v[19:20], v[14:15], v[16:17], -v[19:20]
	v_fma_f64 v[25:26], v[23:24], s[10:11], s[8:9]
	s_mov_b32 s8, 0xe7bb2349
	s_mov_b32 s9, 0x3f9951e3
	s_delay_alu instid0(VALU_DEP_2) | instid1(SALU_CYCLE_1)
	v_add_f64 v[19:20], v[19:20], s[8:9]
	s_mov_b32 s8, 0x623fde64
	s_mov_b32 s9, 0x3ec71dee
	s_delay_alu instid0(VALU_DEP_2) | instid1(SALU_CYCLE_1)
	v_fma_f64 v[25:26], v[23:24], v[25:26], s[8:9]
	s_mov_b32 s8, 0x7c89e6b0
	s_mov_b32 s9, 0x3efa0199
	s_delay_alu instid0(VALU_DEP_2) | instskip(NEXT) | instid1(VALU_DEP_2)
	v_fma_f64 v[16:17], v[14:15], v[19:20], -v[16:17]
	v_fma_f64 v[25:26], v[23:24], v[25:26], s[8:9]
	s_mov_b32 s8, 0x537c9ebc
	s_mov_b32 s9, 0xbfab1bbc
	s_delay_alu instid0(VALU_DEP_2) | instid1(SALU_CYCLE_1)
	v_add_f64 v[16:17], v[16:17], s[8:9]
	s_mov_b32 s8, 0x14761f6e
	s_mov_b32 s9, 0x3f2a01a0
	s_delay_alu instid0(VALU_DEP_2) | instid1(SALU_CYCLE_1)
	;; [unrolled: 13-line block ×4, first 2 shown]
	v_fma_f64 v[25:26], v[23:24], v[25:26], s[8:9]
	s_mov_b32 s8, 11
	s_mov_b32 s9, 0x3fe00000
	s_delay_alu instid0(VALU_DEP_2) | instskip(NEXT) | instid1(VALU_DEP_2)
	v_fma_f64 v[14:15], v[14:15], v[16:17], -v[19:20]
	v_fma_f64 v[16:17], v[23:24], v[25:26], s[8:9]
	s_mov_b32 s8, 0x724a7ffa
	s_mov_b32 s9, 0x3fd02a63
	s_delay_alu instid0(VALU_DEP_2) | instid1(SALU_CYCLE_1)
	v_add_f64 v[14:15], v[14:15], s[8:9]
	s_delay_alu instid0(VALU_DEP_2) | instskip(NEXT) | instid1(VALU_DEP_2)
	v_fma_f64 v[16:17], v[23:24], v[16:17], 1.0
	v_add_f64 v[14:15], v[14:15], -v[19:20]
	v_cvt_i32_f64_e32 v19, v[21:22]
	s_delay_alu instid0(VALU_DEP_3) | instskip(NEXT) | instid1(VALU_DEP_3)
	v_fma_f64 v[16:17], v[23:24], v[16:17], 1.0
	v_mul_f64 v[14:15], v[14:15], 0.5
	s_delay_alu instid0(VALU_DEP_2) | instskip(NEXT) | instid1(VALU_DEP_2)
	v_ldexp_f64 v[16:17], v[16:17], v19
	v_mul_f64 v[19:20], v[6:7], v[14:15]
	s_delay_alu instid0(VALU_DEP_2) | instskip(NEXT) | instid1(VALU_DEP_3)
	v_cndmask_b32_e32 v15, 0x7ff00000, v17, vcc_lo
	v_cndmask_b32_e32 v14, 0, v16, vcc_lo
	s_delay_alu instid0(VALU_DEP_1)
	v_mul_f64 v[16:17], v[14:15], v[19:20]
.LBB1_29:
	s_and_not1_saveexec_b32 s1, s0
	s_cbranch_execz .LBB1_31
; %bb.30:
	v_div_scale_f64 v[14:15], null, v[6:7], v[6:7], 0x40400000
	v_div_scale_f64 v[21:22], vcc_lo, 0x40400000, v[6:7], 0x40400000
	s_mov_b32 s8, 0xea87b950
	s_mov_b32 s9, 0x3c545b8a
	;; [unrolled: 1-line block ×4, first 2 shown]
	v_cmp_nlt_f64_e64 s0, 0x40900000, v[6:7]
	s_delay_alu instid0(VALU_DEP_3) | instskip(SKIP_2) | instid1(VALU_DEP_1)
	v_rcp_f64_e32 v[16:17], v[14:15]
	s_waitcnt_depctr 0xfff
	v_fma_f64 v[19:20], -v[14:15], v[16:17], 1.0
	v_fma_f64 v[16:17], v[16:17], v[19:20], v[16:17]
	s_delay_alu instid0(VALU_DEP_1) | instskip(NEXT) | instid1(VALU_DEP_1)
	v_fma_f64 v[19:20], -v[14:15], v[16:17], 1.0
	v_fma_f64 v[16:17], v[16:17], v[19:20], v[16:17]
	s_delay_alu instid0(VALU_DEP_1) | instskip(NEXT) | instid1(VALU_DEP_1)
	v_mul_f64 v[19:20], v[21:22], v[16:17]
	v_fma_f64 v[14:15], -v[14:15], v[19:20], v[21:22]
	s_delay_alu instid0(VALU_DEP_1) | instskip(SKIP_1) | instid1(VALU_DEP_2)
	v_div_fmas_f64 v[14:15], v[14:15], v[16:17], v[19:20]
	v_cmp_gt_f64_e32 vcc_lo, 0x10000000, v[6:7]
	v_div_fixup_f64 v[14:15], v[14:15], v[6:7], 0x40400000
	v_cndmask_b32_e64 v27, 0, 1, vcc_lo
	s_delay_alu instid0(VALU_DEP_1) | instskip(NEXT) | instid1(VALU_DEP_1)
	v_lshlrev_b32_e32 v27, 8, v27
	v_ldexp_f64 v[27:28], v[6:7], v27
	s_delay_alu instid0(VALU_DEP_4) | instskip(NEXT) | instid1(VALU_DEP_2)
	v_add_f64 v[14:15], v[14:15], -2.0
	v_rsq_f64_e32 v[29:30], v[27:28]
	s_delay_alu instid0(VALU_DEP_1)
	v_fma_f64 v[16:17], v[14:15], s[10:11], s[8:9]
	s_mov_b32 s11, 0xbc61556d
	s_mov_b32 s8, 0xb2532277
	s_mov_b32 s9, 0xbc8acea3
	s_waitcnt_depctr 0xfff
	v_mul_f64 v[31:32], v[27:28], v[29:30]
	v_mul_f64 v[29:30], v[29:30], 0.5
	v_fma_f64 v[19:20], v[14:15], v[16:17], s[10:11]
	s_mov_b32 s10, 0x6a5dcb37
	s_mov_b32 s11, 0x3e5ade15
	s_delay_alu instid0(VALU_DEP_2) | instskip(NEXT) | instid1(VALU_DEP_2)
	v_fma_f64 v[33:34], -v[29:30], v[31:32], 0.5
	v_add_f64 v[19:20], v[19:20], s[8:9]
	s_mov_b32 s8, 0x9c773320
	s_mov_b32 s9, 0xbc82806c
	s_delay_alu instid0(VALU_DEP_2) | instskip(SKIP_1) | instid1(VALU_DEP_3)
	v_fma_f64 v[31:32], v[31:32], v[33:34], v[31:32]
	v_fma_f64 v[29:30], v[29:30], v[33:34], v[29:30]
	v_fma_f64 v[16:17], v[14:15], v[19:20], -v[16:17]
	s_delay_alu instid0(VALU_DEP_3) | instskip(NEXT) | instid1(VALU_DEP_2)
	v_fma_f64 v[33:34], -v[31:32], v[31:32], v[27:28]
	v_add_f64 v[16:17], v[16:17], s[8:9]
	s_mov_b32 s8, 0xfceb588a
	s_mov_b32 s9, 0x3cb55915
	s_delay_alu instid0(VALU_DEP_1) | instskip(NEXT) | instid1(VALU_DEP_1)
	v_fma_f64 v[19:20], v[14:15], v[16:17], -v[19:20]
	v_add_f64 v[19:20], v[19:20], s[8:9]
	s_mov_b32 s8, 0x5f04a2d1
	s_mov_b32 s9, 0x3cb7d68e
	s_delay_alu instid0(VALU_DEP_1) | instskip(NEXT) | instid1(VALU_DEP_1)
	v_fma_f64 v[16:17], v[14:15], v[19:20], -v[16:17]
	;; [unrolled: 5-line block ×14, first 2 shown]
	v_add_f64 v[16:17], v[16:17], s[8:9]
	s_mov_b32 s8, 0x652b82fe
	s_mov_b32 s9, 0x3ff71547
	s_delay_alu instid0(SALU_CYCLE_1) | instskip(SKIP_2) | instid1(VALU_DEP_2)
	v_mul_f64 v[21:22], v[6:7], s[8:9]
	s_mov_b32 s8, 0x9ad53528
	s_mov_b32 s9, 0xbe30790b
	v_fma_f64 v[19:20], v[14:15], v[16:17], -v[19:20]
	s_delay_alu instid0(VALU_DEP_2) | instskip(NEXT) | instid1(VALU_DEP_2)
	v_rndne_f64_e32 v[21:22], v[21:22]
	v_add_f64 v[19:20], v[19:20], s[8:9]
	s_mov_b32 s8, 0xfefa39ef
	s_mov_b32 s9, 0xbfe62e42
	s_delay_alu instid0(VALU_DEP_2) | instid1(SALU_CYCLE_1)
	v_fma_f64 v[23:24], v[21:22], s[8:9], v[6:7]
	s_mov_b32 s8, 0x3b39803f
	s_mov_b32 s9, 0xbc7abc9e
	s_delay_alu instid0(VALU_DEP_2) | instskip(NEXT) | instid1(VALU_DEP_2)
	v_fma_f64 v[16:17], v[14:15], v[19:20], -v[16:17]
	v_fma_f64 v[23:24], v[21:22], s[8:9], v[23:24]
	s_mov_b32 s8, 0x94bb46c1
	s_mov_b32 s9, 0xbe5c4153
	s_delay_alu instid0(VALU_DEP_2) | instid1(SALU_CYCLE_1)
	v_add_f64 v[16:17], v[16:17], s[8:9]
	s_mov_b32 s8, 0xfca7ab0c
	s_mov_b32 s9, 0x3e928af3
	s_delay_alu instid0(VALU_DEP_2) | instid1(SALU_CYCLE_1)
	v_fma_f64 v[25:26], v[23:24], s[10:11], s[8:9]
	s_mov_b32 s8, 0x623fde64
	s_mov_b32 s9, 0x3ec71dee
	s_delay_alu instid0(VALU_DEP_2) | instskip(NEXT) | instid1(VALU_DEP_2)
	v_fma_f64 v[19:20], v[14:15], v[16:17], -v[19:20]
	v_fma_f64 v[25:26], v[23:24], v[25:26], s[8:9]
	s_mov_b32 s8, 0x2e9e5443
	s_mov_b32 s9, 0xbe90dbfd
	s_delay_alu instid0(VALU_DEP_2) | instid1(SALU_CYCLE_1)
	;; [unrolled: 13-line block ×5, first 2 shown]
	v_add_f64 v[16:17], v[16:17], s[8:9]
	s_mov_b32 s8, 11
	s_mov_b32 s9, 0x3fe00000
	s_delay_alu instid0(VALU_DEP_2) | instid1(SALU_CYCLE_1)
	v_fma_f64 v[25:26], v[23:24], v[25:26], s[8:9]
	s_mov_b32 s8, 0xb55b1514
	s_mov_b32 s9, 0x3fe8ea18
	s_delay_alu instid0(VALU_DEP_2) | instskip(SKIP_2) | instid1(VALU_DEP_4)
	v_fma_f64 v[14:15], v[14:15], v[16:17], -v[19:20]
	v_fma_f64 v[16:17], v[33:34], v[29:30], v[31:32]
	v_cvt_i32_f64_e32 v31, v[21:22]
	v_fma_f64 v[25:26], v[23:24], v[25:26], 1.0
	s_delay_alu instid0(VALU_DEP_4) | instskip(NEXT) | instid1(VALU_DEP_4)
	v_add_f64 v[14:15], v[14:15], s[8:9]
	v_fma_f64 v[21:22], -v[16:17], v[16:17], v[27:28]
	s_delay_alu instid0(VALU_DEP_3) | instskip(NEXT) | instid1(VALU_DEP_3)
	v_fma_f64 v[23:24], v[23:24], v[25:26], 1.0
	v_add_f64 v[14:15], v[14:15], -v[19:20]
	s_delay_alu instid0(VALU_DEP_3) | instskip(NEXT) | instid1(VALU_DEP_3)
	v_fma_f64 v[16:17], v[21:22], v[29:30], v[16:17]
	v_ldexp_f64 v[19:20], v[23:24], v31
	s_delay_alu instid0(VALU_DEP_3) | instskip(SKIP_2) | instid1(VALU_DEP_4)
	v_mul_f64 v[21:22], v[14:15], 0.5
	v_cndmask_b32_e64 v14, 0, 0xffffff80, vcc_lo
	v_cmp_class_f64_e64 vcc_lo, v[27:28], 0x260
	v_cndmask_b32_e64 v15, 0x7ff00000, v20, s0
	s_delay_alu instid0(VALU_DEP_3) | instskip(SKIP_1) | instid1(VALU_DEP_1)
	v_ldexp_f64 v[16:17], v[16:17], v14
	v_cndmask_b32_e64 v14, 0, v19, s0
	v_mul_f64 v[19:20], v[14:15], v[21:22]
	s_delay_alu instid0(VALU_DEP_3) | instskip(NEXT) | instid1(VALU_DEP_1)
	v_dual_cndmask_b32 v17, v17, v28 :: v_dual_cndmask_b32 v16, v16, v27
	v_div_scale_f64 v[21:22], null, v[16:17], v[16:17], v[19:20]
	s_delay_alu instid0(VALU_DEP_1) | instskip(SKIP_2) | instid1(VALU_DEP_1)
	v_rcp_f64_e32 v[23:24], v[21:22]
	s_waitcnt_depctr 0xfff
	v_fma_f64 v[25:26], -v[21:22], v[23:24], 1.0
	v_fma_f64 v[23:24], v[23:24], v[25:26], v[23:24]
	s_delay_alu instid0(VALU_DEP_1) | instskip(NEXT) | instid1(VALU_DEP_1)
	v_fma_f64 v[25:26], -v[21:22], v[23:24], 1.0
	v_fma_f64 v[23:24], v[23:24], v[25:26], v[23:24]
	v_div_scale_f64 v[25:26], vcc_lo, v[19:20], v[16:17], v[19:20]
	s_delay_alu instid0(VALU_DEP_1) | instskip(NEXT) | instid1(VALU_DEP_1)
	v_mul_f64 v[27:28], v[25:26], v[23:24]
	v_fma_f64 v[21:22], -v[21:22], v[27:28], v[25:26]
	s_delay_alu instid0(VALU_DEP_1) | instskip(NEXT) | instid1(VALU_DEP_1)
	v_div_fmas_f64 v[21:22], v[21:22], v[23:24], v[27:28]
	v_div_fixup_f64 v[16:17], v[21:22], v[16:17], v[19:20]
.LBB1_31:
	s_or_b32 exec_lo, exec_lo, s1
	s_delay_alu instid0(VALU_DEP_2)
	v_frexp_mant_f64_e32 v[19:20], v[10:11]
	s_mov_b32 s1, 0x3fe55555
	s_mov_b32 s0, 0x55555555
	v_mov_b32_e32 v21, 0
	v_fma_f64 v[33:34], v[6:7], v[6:7], -2.0
	s_mov_b32 s8, 0x7a0399e0
	s_mov_b32 s9, 0xbce5dd51
	;; [unrolled: 1-line block ×4, first 2 shown]
	v_frexp_exp_i32_f64_e32 v37, v[10:11]
	s_delay_alu instid0(VALU_DEP_4) | instskip(SKIP_1) | instid1(VALU_DEP_3)
	v_cmp_gt_f64_e32 vcc_lo, s[0:1], v[19:20]
	s_mov_b32 s0, 0x55555780
	v_fma_f64 v[35:36], v[33:34], s[10:11], s[8:9]
	s_mov_b32 s11, 0x3c603228
	s_mov_b32 s8, 0xddd0e045
	;; [unrolled: 1-line block ×3, first 2 shown]
	v_cndmask_b32_e64 v22, 0x3ff00000, 2.0, vcc_lo
	s_delay_alu instid0(VALU_DEP_1) | instskip(NEXT) | instid1(VALU_DEP_1)
	v_mul_f64 v[19:20], v[19:20], v[21:22]
	v_add_f64 v[21:22], v[19:20], 1.0
	v_add_f64 v[27:28], v[19:20], -1.0
	s_delay_alu instid0(VALU_DEP_2) | instskip(SKIP_1) | instid1(VALU_DEP_1)
	v_rcp_f64_e32 v[23:24], v[21:22]
	v_add_f64 v[29:30], v[21:22], -1.0
	v_add_f64 v[19:20], v[19:20], -v[29:30]
	s_waitcnt_depctr 0xfff
	v_fma_f64 v[25:26], -v[21:22], v[23:24], 1.0
	s_delay_alu instid0(VALU_DEP_1) | instskip(NEXT) | instid1(VALU_DEP_1)
	v_fma_f64 v[23:24], v[25:26], v[23:24], v[23:24]
	v_fma_f64 v[25:26], -v[21:22], v[23:24], 1.0
	s_delay_alu instid0(VALU_DEP_1) | instskip(NEXT) | instid1(VALU_DEP_1)
	v_fma_f64 v[23:24], v[25:26], v[23:24], v[23:24]
	v_mul_f64 v[25:26], v[27:28], v[23:24]
	s_delay_alu instid0(VALU_DEP_1) | instskip(NEXT) | instid1(VALU_DEP_1)
	v_mul_f64 v[31:32], v[21:22], v[25:26]
	v_fma_f64 v[21:22], v[25:26], v[21:22], -v[31:32]
	s_delay_alu instid0(VALU_DEP_1) | instskip(NEXT) | instid1(VALU_DEP_1)
	v_fma_f64 v[19:20], v[25:26], v[19:20], v[21:22]
	v_add_f64 v[21:22], v[31:32], v[19:20]
	s_delay_alu instid0(VALU_DEP_1) | instskip(SKIP_1) | instid1(VALU_DEP_2)
	v_add_f64 v[29:30], v[27:28], -v[21:22]
	v_add_f64 v[31:32], v[21:22], -v[31:32]
	;; [unrolled: 1-line block ×3, first 2 shown]
	s_delay_alu instid0(VALU_DEP_2) | instskip(NEXT) | instid1(VALU_DEP_2)
	v_add_f64 v[19:20], v[31:32], -v[19:20]
	v_add_f64 v[21:22], v[27:28], -v[21:22]
	v_fma_f64 v[27:28], v[33:34], v[35:36], s[10:11]
	s_mov_b32 s10, 0xbf559e2b
	s_mov_b32 s11, 0x3fc3ab76
	s_delay_alu instid0(VALU_DEP_2) | instskip(NEXT) | instid1(VALU_DEP_2)
	v_add_f64 v[19:20], v[19:20], v[21:22]
	v_add_f64 v[21:22], v[27:28], s[8:9]
	s_mov_b32 s8, 0xb84626ca
	s_mov_b32 s9, 0xbde3663b
	s_delay_alu instid0(VALU_DEP_2) | instskip(NEXT) | instid1(VALU_DEP_2)
	v_add_f64 v[19:20], v[29:30], v[19:20]
	v_fma_f64 v[27:28], v[33:34], v[21:22], -v[35:36]
	s_delay_alu instid0(VALU_DEP_2) | instskip(NEXT) | instid1(VALU_DEP_2)
	v_mul_f64 v[19:20], v[23:24], v[19:20]
	v_add_f64 v[23:24], v[27:28], s[8:9]
	s_mov_b32 s8, 0x145c31d0
	s_mov_b32 s9, 0xbe57c41d
	s_delay_alu instid0(VALU_DEP_2) | instskip(NEXT) | instid1(VALU_DEP_2)
	v_add_f64 v[27:28], v[25:26], v[19:20]
	v_fma_f64 v[21:22], v[33:34], v[23:24], -v[21:22]
	s_delay_alu instid0(VALU_DEP_2) | instskip(NEXT) | instid1(VALU_DEP_2)
	v_mul_f64 v[29:30], v[27:28], v[27:28]
	v_add_f64 v[21:22], v[21:22], s[8:9]
	s_mov_b32 s8, 0x6b47b09a
	s_mov_b32 s9, 0x3fc38538
	v_add_f64 v[25:26], v[27:28], -v[25:26]
	s_delay_alu instid0(VALU_DEP_3) | instskip(NEXT) | instid1(VALU_DEP_3)
	v_fma_f64 v[31:32], v[29:30], s[10:11], s[8:9]
	v_fma_f64 v[23:24], v[33:34], v[21:22], -v[23:24]
	s_mov_b32 s8, 0xd7f4df2e
	s_mov_b32 s9, 0x3fc7474d
	v_mul_f64 v[35:36], v[27:28], v[29:30]
	s_delay_alu instid0(VALU_DEP_4) | instskip(NEXT) | instid1(VALU_DEP_4)
	v_add_f64 v[19:20], v[19:20], -v[25:26]
	v_fma_f64 v[31:32], v[29:30], v[31:32], s[8:9]
	s_mov_b32 s8, 0x2c832e3a
	s_mov_b32 s9, 0xbec469b3
	s_delay_alu instid0(VALU_DEP_4) | instid1(SALU_CYCLE_1)
	v_add_f64 v[23:24], v[23:24], s[8:9]
	s_mov_b32 s8, 0x16291751
	s_mov_b32 s9, 0x3fcc71c0
	s_delay_alu instid0(VALU_DEP_3) | instskip(NEXT) | instid1(VALU_DEP_3)
	v_ldexp_f64 v[19:20], v[19:20], 1
	v_fma_f64 v[31:32], v[29:30], v[31:32], s[8:9]
	s_mov_b32 s8, 0x9b27acf1
	s_mov_b32 s9, 0x3fd24924
	s_delay_alu instid0(VALU_DEP_3) | instskip(NEXT) | instid1(VALU_DEP_2)
	v_fma_f64 v[21:22], v[33:34], v[23:24], -v[21:22]
	v_fma_f64 v[31:32], v[29:30], v[31:32], s[8:9]
	s_mov_b32 s8, 0xe5a3bd02
	s_mov_b32 s9, 0xbf26ade2
	s_delay_alu instid0(VALU_DEP_2) | instid1(SALU_CYCLE_1)
	v_add_f64 v[21:22], v[21:22], s[8:9]
	s_mov_b32 s8, 0x998ef7b6
	s_mov_b32 s9, 0x3fd99999
	s_delay_alu instid0(VALU_DEP_2) | instid1(SALU_CYCLE_1)
	v_fma_f64 v[31:32], v[29:30], v[31:32], s[8:9]
	s_delay_alu instid0(VALU_DEP_2) | instskip(NEXT) | instid1(VALU_DEP_2)
	v_fma_f64 v[23:24], v[33:34], v[21:22], -v[23:24]
	v_fma_f64 v[29:30], v[29:30], v[31:32], s[0:1]
	s_mov_b32 s0, 0x9d7d4192
	s_mov_b32 s1, 0xbf7c9293
	v_ldexp_f64 v[31:32], v[27:28], 1
	s_delay_alu instid0(VALU_DEP_3) | instskip(SKIP_2) | instid1(VALU_DEP_3)
	v_add_f64 v[23:24], v[23:24], s[0:1]
	s_mov_b32 s0, 0x43c1db74
	s_mov_b32 s1, 0xbfbf6372
	v_mul_f64 v[29:30], v[35:36], v[29:30]
	v_subrev_co_ci_u32_e32 v35, vcc_lo, 0, v37, vcc_lo
	s_delay_alu instid0(VALU_DEP_3) | instskip(NEXT) | instid1(VALU_DEP_2)
	v_fma_f64 v[21:22], v[33:34], v[23:24], -v[21:22]
	v_cvt_f64_i32_e32 v[35:36], v35
	s_delay_alu instid0(VALU_DEP_4) | instskip(NEXT) | instid1(VALU_DEP_3)
	v_add_f64 v[27:28], v[31:32], v[29:30]
	v_add_f64 v[21:22], v[21:22], s[0:1]
	s_mov_b32 s0, 0xfefa39ef
	s_mov_b32 s1, 0x3fe62e42
	s_delay_alu instid0(VALU_DEP_3) | instid1(SALU_CYCLE_1)
	v_mul_f64 v[37:38], v[35:36], s[0:1]
	s_delay_alu instid0(VALU_DEP_3) | instskip(NEXT) | instid1(VALU_DEP_3)
	v_add_f64 v[25:26], v[27:28], -v[31:32]
	v_fma_f64 v[23:24], v[33:34], v[21:22], -v[23:24]
	s_delay_alu instid0(VALU_DEP_3) | instskip(SKIP_2) | instid1(VALU_DEP_3)
	v_fma_f64 v[31:32], v[35:36], s[0:1], -v[37:38]
	s_mov_b32 s0, 0x757b0dd4
	s_mov_b32 s1, 0xbfd69a1b
	v_add_f64 v[25:26], v[29:30], -v[25:26]
	s_delay_alu instid0(VALU_DEP_3)
	v_add_f64 v[23:24], v[23:24], s[0:1]
	s_mov_b32 s0, 0x3b39803f
	s_mov_b32 s1, 0x3c7abc9e
	s_delay_alu instid0(VALU_DEP_3) | instid1(SALU_CYCLE_1)
	v_fma_f64 v[29:30], v[35:36], s[0:1], v[31:32]
	s_mov_b32 s0, 0x361008ca
	s_mov_b32 s1, 0x3ff867a1
	s_delay_alu instid0(VALU_DEP_3) | instskip(NEXT) | instid1(VALU_DEP_3)
	v_add_f64 v[19:20], v[19:20], v[25:26]
	v_fma_f64 v[23:24], v[33:34], v[23:24], -v[21:22]
	s_delay_alu instid0(VALU_DEP_3) | instskip(NEXT) | instid1(VALU_DEP_3)
	v_add_f64 v[25:26], v[37:38], v[29:30]
	v_add_f64 v[31:32], v[27:28], v[19:20]
	s_delay_alu instid0(VALU_DEP_3) | instskip(SKIP_1) | instid1(VALU_DEP_4)
	v_add_f64 v[23:24], v[23:24], s[0:1]
	v_cmp_eq_f64_e64 s0, 0x7ff00000, v[10:11]
	v_add_f64 v[35:36], v[25:26], -v[37:38]
	s_delay_alu instid0(VALU_DEP_4) | instskip(SKIP_2) | instid1(VALU_DEP_4)
	v_add_f64 v[33:34], v[25:26], v[31:32]
	v_add_f64 v[27:28], v[31:32], -v[27:28]
	v_add_f64 v[21:22], v[23:24], -v[21:22]
	;; [unrolled: 1-line block ×3, first 2 shown]
	s_delay_alu instid0(VALU_DEP_4) | instskip(NEXT) | instid1(VALU_DEP_4)
	v_add_f64 v[23:24], v[33:34], -v[25:26]
	v_add_f64 v[19:20], v[19:20], -v[27:28]
	s_delay_alu instid0(VALU_DEP_4) | instskip(NEXT) | instid1(VALU_DEP_3)
	v_mul_f64 v[21:22], v[21:22], 0.5
	v_add_f64 v[37:38], v[33:34], -v[23:24]
	v_add_f64 v[23:24], v[31:32], -v[23:24]
	s_delay_alu instid0(VALU_DEP_4) | instskip(NEXT) | instid1(VALU_DEP_4)
	v_add_f64 v[31:32], v[29:30], v[19:20]
	v_div_scale_f64 v[48:49], null, v[6:7], v[6:7], v[21:22]
	s_delay_alu instid0(VALU_DEP_4) | instskip(NEXT) | instid1(VALU_DEP_3)
	v_add_f64 v[25:26], v[25:26], -v[37:38]
	v_add_f64 v[35:36], v[31:32], -v[29:30]
	s_delay_alu instid0(VALU_DEP_3) | instskip(NEXT) | instid1(VALU_DEP_2)
	v_rcp_f64_e32 v[27:28], v[48:49]
	v_add_f64 v[23:24], v[23:24], v[25:26]
	s_delay_alu instid0(VALU_DEP_2) | instskip(SKIP_3) | instid1(VALU_DEP_2)
	v_add_f64 v[19:20], v[19:20], -v[35:36]
	s_waitcnt_depctr 0xfff
	v_fma_f64 v[25:26], -v[48:49], v[27:28], 1.0
	v_add_f64 v[23:24], v[31:32], v[23:24]
	v_fma_f64 v[25:26], v[27:28], v[25:26], v[27:28]
	v_add_f64 v[27:28], v[31:32], -v[35:36]
	s_delay_alu instid0(VALU_DEP_3) | instskip(NEXT) | instid1(VALU_DEP_3)
	v_add_f64 v[31:32], v[33:34], v[23:24]
	v_fma_f64 v[37:38], -v[48:49], v[25:26], 1.0
	s_delay_alu instid0(VALU_DEP_3) | instskip(NEXT) | instid1(VALU_DEP_3)
	v_add_f64 v[27:28], v[29:30], -v[27:28]
	v_add_f64 v[29:30], v[31:32], -v[33:34]
	v_div_scale_f64 v[33:34], vcc_lo, v[21:22], v[6:7], v[21:22]
	s_delay_alu instid0(VALU_DEP_4) | instskip(NEXT) | instid1(VALU_DEP_4)
	v_fma_f64 v[25:26], v[25:26], v[37:38], v[25:26]
	v_add_f64 v[19:20], v[19:20], v[27:28]
	s_delay_alu instid0(VALU_DEP_4) | instskip(NEXT) | instid1(VALU_DEP_3)
	v_add_f64 v[23:24], v[23:24], -v[29:30]
	v_mul_f64 v[27:28], v[33:34], v[25:26]
	s_delay_alu instid0(VALU_DEP_2) | instskip(NEXT) | instid1(VALU_DEP_2)
	v_add_f64 v[19:20], v[19:20], v[23:24]
	v_fma_f64 v[23:24], -v[48:49], v[27:28], v[33:34]
	s_delay_alu instid0(VALU_DEP_2) | instskip(NEXT) | instid1(VALU_DEP_2)
	v_add_f64 v[19:20], v[31:32], v[19:20]
	v_div_fmas_f64 v[23:24], v[23:24], v[25:26], v[27:28]
	v_cmp_neq_f64_e32 vcc_lo, 0, v[10:11]
	s_delay_alu instid0(VALU_DEP_3) | instskip(NEXT) | instid1(VALU_DEP_4)
	v_cndmask_b32_e64 v19, v19, v10, s0
	v_cndmask_b32_e64 v20, v20, v11, s0
	s_delay_alu instid0(VALU_DEP_4) | instskip(NEXT) | instid1(VALU_DEP_3)
	v_div_fixup_f64 v[6:7], v[23:24], v[6:7], v[21:22]
	v_cndmask_b32_e32 v10, 0, v19, vcc_lo
	s_delay_alu instid0(VALU_DEP_3) | instskip(NEXT) | instid1(VALU_DEP_1)
	v_cndmask_b32_e32 v11, 0xfff00000, v20, vcc_lo
	v_fma_f64 v[6:7], v[10:11], v[16:17], v[6:7]
	s_delay_alu instid0(VALU_DEP_1)
	v_mul_f64 v[10:11], v[14:15], v[6:7]
.LBB1_32:
	s_and_not1_saveexec_b32 s0, s6
	s_cbranch_execz .LBB1_34
; %bb.33:
	v_div_scale_f64 v[10:11], null, v[6:7], v[6:7], 0x40200000
	v_div_scale_f64 v[19:20], vcc_lo, 0x40200000, v[6:7], 0x40200000
	s_mov_b32 s6, 0x838f5ed3
	s_mov_b32 s7, 0x3c74af1a
	;; [unrolled: 1-line block ×4, first 2 shown]
	s_delay_alu instid0(VALU_DEP_2) | instskip(SKIP_2) | instid1(VALU_DEP_1)
	v_rcp_f64_e32 v[14:15], v[10:11]
	s_waitcnt_depctr 0xfff
	v_fma_f64 v[16:17], -v[10:11], v[14:15], 1.0
	v_fma_f64 v[14:15], v[14:15], v[16:17], v[14:15]
	s_delay_alu instid0(VALU_DEP_1) | instskip(NEXT) | instid1(VALU_DEP_1)
	v_fma_f64 v[16:17], -v[10:11], v[14:15], 1.0
	v_fma_f64 v[14:15], v[14:15], v[16:17], v[14:15]
	s_delay_alu instid0(VALU_DEP_1) | instskip(NEXT) | instid1(VALU_DEP_1)
	v_mul_f64 v[16:17], v[19:20], v[14:15]
	v_fma_f64 v[10:11], -v[10:11], v[16:17], v[19:20]
	s_delay_alu instid0(VALU_DEP_1) | instskip(SKIP_1) | instid1(VALU_DEP_2)
	v_div_fmas_f64 v[10:11], v[10:11], v[14:15], v[16:17]
	v_cmp_gt_f64_e32 vcc_lo, 0x10000000, v[6:7]
	v_div_fixup_f64 v[10:11], v[10:11], v[6:7], 0x40200000
	v_cndmask_b32_e64 v19, 0, 1, vcc_lo
	s_delay_alu instid0(VALU_DEP_1) | instskip(NEXT) | instid1(VALU_DEP_1)
	v_lshlrev_b32_e32 v19, 8, v19
	v_ldexp_f64 v[6:7], v[6:7], v19
	s_delay_alu instid0(VALU_DEP_4) | instskip(NEXT) | instid1(VALU_DEP_2)
	v_add_f64 v[10:11], v[10:11], -2.0
	v_rsq_f64_e32 v[19:20], v[6:7]
	s_delay_alu instid0(VALU_DEP_1)
	v_fma_f64 v[14:15], v[10:11], s[8:9], s[6:7]
	s_mov_b32 s9, 0x3c5a8c5d
	s_mov_b32 s6, 0x17771d52
	;; [unrolled: 1-line block ×3, first 2 shown]
	s_waitcnt_depctr 0xfff
	v_mul_f64 v[21:22], v[6:7], v[19:20]
	v_mul_f64 v[19:20], v[19:20], 0.5
	v_fma_f64 v[16:17], v[10:11], v[14:15], s[8:9]
	s_delay_alu instid0(VALU_DEP_2) | instskip(NEXT) | instid1(VALU_DEP_2)
	v_fma_f64 v[23:24], -v[19:20], v[21:22], 0.5
	v_add_f64 v[16:17], v[16:17], s[6:7]
	s_mov_b32 s6, 0x44ee2c0b
	s_mov_b32 s7, 0x3caa7d5e
	s_delay_alu instid0(VALU_DEP_2) | instskip(SKIP_1) | instid1(VALU_DEP_3)
	v_fma_f64 v[21:22], v[21:22], v[23:24], v[21:22]
	v_fma_f64 v[19:20], v[19:20], v[23:24], v[19:20]
	v_fma_f64 v[14:15], v[10:11], v[16:17], -v[14:15]
	s_delay_alu instid0(VALU_DEP_3) | instskip(NEXT) | instid1(VALU_DEP_2)
	v_fma_f64 v[23:24], -v[21:22], v[21:22], v[6:7]
	v_add_f64 v[14:15], v[14:15], s[6:7]
	s_mov_b32 s6, 0xd8758ef2
	s_mov_b32 s7, 0xbcc5d2a3
	s_delay_alu instid0(VALU_DEP_2) | instskip(NEXT) | instid1(VALU_DEP_2)
	v_fma_f64 v[21:22], v[23:24], v[19:20], v[21:22]
	v_fma_f64 v[16:17], v[10:11], v[14:15], -v[16:17]
	s_delay_alu instid0(VALU_DEP_1) | instskip(SKIP_2) | instid1(VALU_DEP_1)
	v_add_f64 v[16:17], v[16:17], s[6:7]
	s_mov_b32 s6, 0xefee81bd
	s_mov_b32 s7, 0x3ce25ced
	v_fma_f64 v[14:15], v[10:11], v[16:17], -v[14:15]
	s_delay_alu instid0(VALU_DEP_1) | instskip(SKIP_2) | instid1(VALU_DEP_1)
	v_add_f64 v[14:15], v[14:15], s[6:7]
	s_mov_b32 s6, 0x364185ab
	s_mov_b32 s7, 0xbcff9d52
	;; [unrolled: 5-line block ×20, first 2 shown]
	v_fma_f64 v[10:11], v[10:11], v[14:15], -v[16:17]
	v_fma_f64 v[14:15], -v[21:22], v[21:22], v[6:7]
	s_delay_alu instid0(VALU_DEP_2) | instskip(NEXT) | instid1(VALU_DEP_2)
	v_add_f64 v[10:11], v[10:11], s[6:7]
	v_fma_f64 v[14:15], v[14:15], v[19:20], v[21:22]
	s_delay_alu instid0(VALU_DEP_2) | instskip(SKIP_2) | instid1(VALU_DEP_2)
	v_add_f64 v[10:11], v[10:11], -v[16:17]
	v_cndmask_b32_e64 v16, 0, 0xffffff80, vcc_lo
	v_cmp_class_f64_e64 vcc_lo, v[6:7], 0x260
	v_ldexp_f64 v[14:15], v[14:15], v16
	s_delay_alu instid0(VALU_DEP_4) | instskip(NEXT) | instid1(VALU_DEP_2)
	v_mul_f64 v[10:11], v[10:11], 0.5
	v_dual_cndmask_b32 v6, v14, v6 :: v_dual_cndmask_b32 v7, v15, v7
	s_delay_alu instid0(VALU_DEP_1) | instskip(NEXT) | instid1(VALU_DEP_1)
	v_div_scale_f64 v[14:15], null, v[6:7], v[6:7], v[10:11]
	v_rcp_f64_e32 v[16:17], v[14:15]
	s_waitcnt_depctr 0xfff
	v_fma_f64 v[19:20], -v[14:15], v[16:17], 1.0
	s_delay_alu instid0(VALU_DEP_1) | instskip(NEXT) | instid1(VALU_DEP_1)
	v_fma_f64 v[16:17], v[16:17], v[19:20], v[16:17]
	v_fma_f64 v[19:20], -v[14:15], v[16:17], 1.0
	s_delay_alu instid0(VALU_DEP_1) | instskip(SKIP_1) | instid1(VALU_DEP_1)
	v_fma_f64 v[16:17], v[16:17], v[19:20], v[16:17]
	v_div_scale_f64 v[19:20], vcc_lo, v[10:11], v[6:7], v[10:11]
	v_mul_f64 v[21:22], v[19:20], v[16:17]
	s_delay_alu instid0(VALU_DEP_1) | instskip(NEXT) | instid1(VALU_DEP_1)
	v_fma_f64 v[14:15], -v[14:15], v[21:22], v[19:20]
	v_div_fmas_f64 v[14:15], v[14:15], v[16:17], v[21:22]
	s_delay_alu instid0(VALU_DEP_1)
	v_div_fixup_f64 v[10:11], v[14:15], v[6:7], v[10:11]
.LBB1_34:
	s_or_b32 exec_lo, exec_lo, s0
.LBB1_35:
	s_delay_alu instid0(SALU_CYCLE_1)
	s_or_b32 exec_lo, exec_lo, s5
.LBB1_36:
	s_delay_alu instid0(SALU_CYCLE_1) | instskip(NEXT) | instid1(SALU_CYCLE_1)
	s_or_b32 exec_lo, exec_lo, s4
	s_mov_b32 s4, exec_lo
	v_cmpx_neq_f64_e32 0, v[8:9]
	s_cbranch_execz .LBB1_48
; %bb.37:
	v_mov_b32_e32 v12, 0
	v_mov_b32_e32 v13, 0x7ff80000
	s_mov_b32 s5, exec_lo
	v_cmpx_ngt_f64_e32 0, v[8:9]
	s_cbranch_execz .LBB1_47
; %bb.38:
	s_mov_b32 s0, exec_lo
	v_cmpx_ge_f64_e32 2.0, v[8:9]
	s_xor_b32 s6, exec_lo, s0
	s_cbranch_execz .LBB1_44
; %bb.39:
	v_mul_f64 v[6:7], v[8:9], 0.5
	s_mov_b32 s0, exec_lo
                                        ; implicit-def: $vgpr14_vgpr15
                                        ; implicit-def: $vgpr12_vgpr13
	v_cmpx_ge_f64_e32 0x40200000, v[8:9]
	s_xor_b32 s0, exec_lo, s0
	s_cbranch_execz .LBB1_41
; %bb.40:
	s_delay_alu instid0(VALU_DEP_2)
	v_add_f64 v[12:13], v[6:7], -2.0
	s_mov_b32 s8, 0xc38a0576
	s_mov_b32 s9, 0xbc7857d0
	;; [unrolled: 1-line block ×4, first 2 shown]
	v_cmp_nlt_f64_e32 vcc_lo, 0x40900000, v[8:9]
	s_delay_alu instid0(VALU_DEP_2) | instskip(SKIP_3) | instid1(VALU_DEP_1)
	v_fma_f64 v[14:15], v[12:13], s[10:11], s[8:9]
	s_mov_b32 s11, 0xbc499f2a
	s_mov_b32 s8, 0xe593bfac
	;; [unrolled: 1-line block ×3, first 2 shown]
	v_fma_f64 v[16:17], v[12:13], v[14:15], s[10:11]
	s_mov_b32 s10, 0x6a5dcb37
	s_mov_b32 s11, 0x3e5ade15
	s_delay_alu instid0(VALU_DEP_1) | instskip(SKIP_2) | instid1(VALU_DEP_1)
	v_add_f64 v[16:17], v[16:17], s[8:9]
	s_mov_b32 s8, 0x7e0d1573
	s_mov_b32 s9, 0xbcd3eaaa
	v_fma_f64 v[14:15], v[12:13], v[16:17], -v[14:15]
	s_delay_alu instid0(VALU_DEP_1) | instskip(SKIP_2) | instid1(VALU_DEP_1)
	v_add_f64 v[14:15], v[14:15], s[8:9]
	s_mov_b32 s8, 0x615290c
	s_mov_b32 s9, 0x3d011d7f
	v_fma_f64 v[16:17], v[12:13], v[14:15], -v[16:17]
	;; [unrolled: 5-line block ×19, first 2 shown]
	s_delay_alu instid0(VALU_DEP_1) | instskip(SKIP_2) | instid1(SALU_CYCLE_1)
	v_add_f64 v[14:15], v[14:15], s[8:9]
	s_mov_b32 s8, 0x652b82fe
	s_mov_b32 s9, 0x3ff71547
	v_mul_f64 v[19:20], v[8:9], s[8:9]
	s_mov_b32 s8, 0x49d3a1b4
	s_mov_b32 s9, 0x3f710653
	s_delay_alu instid0(VALU_DEP_2) | instskip(NEXT) | instid1(VALU_DEP_2)
	v_fma_f64 v[16:17], v[12:13], v[14:15], -v[16:17]
	v_rndne_f64_e32 v[19:20], v[19:20]
	s_delay_alu instid0(VALU_DEP_2)
	v_add_f64 v[16:17], v[16:17], s[8:9]
	s_mov_b32 s8, 0xfefa39ef
	s_mov_b32 s9, 0xbfe62e42
	s_delay_alu instid0(VALU_DEP_2) | instid1(SALU_CYCLE_1)
	v_fma_f64 v[21:22], v[19:20], s[8:9], v[8:9]
	s_mov_b32 s8, 0x7913a26a
	s_mov_b32 s9, 0xbf85a29f
	s_delay_alu instid0(VALU_DEP_2) | instskip(NEXT) | instid1(VALU_DEP_1)
	v_fma_f64 v[14:15], v[12:13], v[16:17], -v[14:15]
	v_add_f64 v[14:15], v[14:15], s[8:9]
	s_mov_b32 s8, 0x3b39803f
	s_mov_b32 s9, 0xbc7abc9e
	s_delay_alu instid0(VALU_DEP_3) | instid1(SALU_CYCLE_1)
	v_fma_f64 v[21:22], v[19:20], s[8:9], v[21:22]
	s_mov_b32 s8, 0xfca7ab0c
	s_mov_b32 s9, 0x3e928af3
	s_delay_alu instid0(VALU_DEP_2) | instskip(NEXT) | instid1(VALU_DEP_2)
	v_fma_f64 v[16:17], v[12:13], v[14:15], -v[16:17]
	v_fma_f64 v[23:24], v[21:22], s[10:11], s[8:9]
	s_mov_b32 s8, 0xe7bb2349
	s_mov_b32 s9, 0x3f9951e3
	s_delay_alu instid0(VALU_DEP_2) | instid1(SALU_CYCLE_1)
	v_add_f64 v[16:17], v[16:17], s[8:9]
	s_mov_b32 s8, 0x623fde64
	s_mov_b32 s9, 0x3ec71dee
	s_delay_alu instid0(VALU_DEP_2) | instid1(SALU_CYCLE_1)
	v_fma_f64 v[23:24], v[21:22], v[23:24], s[8:9]
	s_mov_b32 s8, 0x7c89e6b0
	s_mov_b32 s9, 0x3efa0199
	s_delay_alu instid0(VALU_DEP_2) | instskip(NEXT) | instid1(VALU_DEP_2)
	v_fma_f64 v[14:15], v[12:13], v[16:17], -v[14:15]
	v_fma_f64 v[23:24], v[21:22], v[23:24], s[8:9]
	s_mov_b32 s8, 0x537c9ebc
	s_mov_b32 s9, 0xbfab1bbc
	s_delay_alu instid0(VALU_DEP_2) | instid1(SALU_CYCLE_1)
	v_add_f64 v[14:15], v[14:15], s[8:9]
	s_mov_b32 s8, 0x14761f6e
	s_mov_b32 s9, 0x3f2a01a0
	s_delay_alu instid0(VALU_DEP_2) | instid1(SALU_CYCLE_1)
	;; [unrolled: 13-line block ×4, first 2 shown]
	v_fma_f64 v[23:24], v[21:22], v[23:24], s[8:9]
	s_mov_b32 s8, 11
	s_mov_b32 s9, 0x3fe00000
	s_delay_alu instid0(VALU_DEP_2) | instskip(NEXT) | instid1(VALU_DEP_2)
	v_fma_f64 v[12:13], v[12:13], v[14:15], -v[16:17]
	v_fma_f64 v[14:15], v[21:22], v[23:24], s[8:9]
	s_mov_b32 s8, 0x724a7ffa
	s_mov_b32 s9, 0x3fd02a63
	s_delay_alu instid0(VALU_DEP_2) | instid1(SALU_CYCLE_1)
	v_add_f64 v[12:13], v[12:13], s[8:9]
	s_delay_alu instid0(VALU_DEP_2) | instskip(NEXT) | instid1(VALU_DEP_2)
	v_fma_f64 v[14:15], v[21:22], v[14:15], 1.0
	v_add_f64 v[12:13], v[12:13], -v[16:17]
	v_cvt_i32_f64_e32 v16, v[19:20]
	s_delay_alu instid0(VALU_DEP_3) | instskip(NEXT) | instid1(VALU_DEP_3)
	v_fma_f64 v[14:15], v[21:22], v[14:15], 1.0
	v_mul_f64 v[12:13], v[12:13], 0.5
	s_delay_alu instid0(VALU_DEP_2) | instskip(NEXT) | instid1(VALU_DEP_2)
	v_ldexp_f64 v[14:15], v[14:15], v16
	v_mul_f64 v[16:17], v[8:9], v[12:13]
	s_delay_alu instid0(VALU_DEP_2) | instskip(NEXT) | instid1(VALU_DEP_3)
	v_cndmask_b32_e32 v13, 0x7ff00000, v15, vcc_lo
	v_cndmask_b32_e32 v12, 0, v14, vcc_lo
	s_delay_alu instid0(VALU_DEP_1)
	v_mul_f64 v[14:15], v[12:13], v[16:17]
.LBB1_41:
	s_and_not1_saveexec_b32 s1, s0
	s_cbranch_execz .LBB1_43
; %bb.42:
	v_div_scale_f64 v[12:13], null, v[8:9], v[8:9], 0x40400000
	v_div_scale_f64 v[19:20], vcc_lo, 0x40400000, v[8:9], 0x40400000
	s_mov_b32 s8, 0xea87b950
	s_mov_b32 s9, 0x3c545b8a
	;; [unrolled: 1-line block ×4, first 2 shown]
	v_cmp_nlt_f64_e64 s0, 0x40900000, v[8:9]
	s_delay_alu instid0(VALU_DEP_3) | instskip(SKIP_2) | instid1(VALU_DEP_1)
	v_rcp_f64_e32 v[14:15], v[12:13]
	s_waitcnt_depctr 0xfff
	v_fma_f64 v[16:17], -v[12:13], v[14:15], 1.0
	v_fma_f64 v[14:15], v[14:15], v[16:17], v[14:15]
	s_delay_alu instid0(VALU_DEP_1) | instskip(NEXT) | instid1(VALU_DEP_1)
	v_fma_f64 v[16:17], -v[12:13], v[14:15], 1.0
	v_fma_f64 v[14:15], v[14:15], v[16:17], v[14:15]
	s_delay_alu instid0(VALU_DEP_1) | instskip(NEXT) | instid1(VALU_DEP_1)
	v_mul_f64 v[16:17], v[19:20], v[14:15]
	v_fma_f64 v[12:13], -v[12:13], v[16:17], v[19:20]
	s_delay_alu instid0(VALU_DEP_1) | instskip(SKIP_1) | instid1(VALU_DEP_2)
	v_div_fmas_f64 v[12:13], v[12:13], v[14:15], v[16:17]
	v_cmp_gt_f64_e32 vcc_lo, 0x10000000, v[8:9]
	v_div_fixup_f64 v[12:13], v[12:13], v[8:9], 0x40400000
	v_cndmask_b32_e64 v25, 0, 1, vcc_lo
	s_delay_alu instid0(VALU_DEP_1) | instskip(NEXT) | instid1(VALU_DEP_1)
	v_lshlrev_b32_e32 v25, 8, v25
	v_ldexp_f64 v[25:26], v[8:9], v25
	s_delay_alu instid0(VALU_DEP_4) | instskip(NEXT) | instid1(VALU_DEP_2)
	v_add_f64 v[12:13], v[12:13], -2.0
	v_rsq_f64_e32 v[27:28], v[25:26]
	s_delay_alu instid0(VALU_DEP_1)
	v_fma_f64 v[14:15], v[12:13], s[10:11], s[8:9]
	s_mov_b32 s11, 0xbc61556d
	s_mov_b32 s8, 0xb2532277
	;; [unrolled: 1-line block ×3, first 2 shown]
	s_waitcnt_depctr 0xfff
	v_mul_f64 v[29:30], v[25:26], v[27:28]
	v_mul_f64 v[27:28], v[27:28], 0.5
	v_fma_f64 v[16:17], v[12:13], v[14:15], s[10:11]
	s_mov_b32 s10, 0x6a5dcb37
	s_mov_b32 s11, 0x3e5ade15
	s_delay_alu instid0(VALU_DEP_2) | instskip(NEXT) | instid1(VALU_DEP_2)
	v_fma_f64 v[31:32], -v[27:28], v[29:30], 0.5
	v_add_f64 v[16:17], v[16:17], s[8:9]
	s_mov_b32 s8, 0x9c773320
	s_mov_b32 s9, 0xbc82806c
	s_delay_alu instid0(VALU_DEP_2) | instskip(SKIP_1) | instid1(VALU_DEP_3)
	v_fma_f64 v[29:30], v[29:30], v[31:32], v[29:30]
	v_fma_f64 v[27:28], v[27:28], v[31:32], v[27:28]
	v_fma_f64 v[14:15], v[12:13], v[16:17], -v[14:15]
	s_delay_alu instid0(VALU_DEP_3) | instskip(NEXT) | instid1(VALU_DEP_2)
	v_fma_f64 v[31:32], -v[29:30], v[29:30], v[25:26]
	v_add_f64 v[14:15], v[14:15], s[8:9]
	s_mov_b32 s8, 0xfceb588a
	s_mov_b32 s9, 0x3cb55915
	s_delay_alu instid0(VALU_DEP_1) | instskip(NEXT) | instid1(VALU_DEP_1)
	v_fma_f64 v[16:17], v[12:13], v[14:15], -v[16:17]
	v_add_f64 v[16:17], v[16:17], s[8:9]
	s_mov_b32 s8, 0x5f04a2d1
	s_mov_b32 s9, 0x3cb7d68e
	s_delay_alu instid0(VALU_DEP_1) | instskip(NEXT) | instid1(VALU_DEP_1)
	v_fma_f64 v[14:15], v[12:13], v[16:17], -v[14:15]
	;; [unrolled: 5-line block ×14, first 2 shown]
	v_add_f64 v[14:15], v[14:15], s[8:9]
	s_mov_b32 s8, 0x652b82fe
	s_mov_b32 s9, 0x3ff71547
	s_delay_alu instid0(SALU_CYCLE_1) | instskip(SKIP_2) | instid1(VALU_DEP_2)
	v_mul_f64 v[19:20], v[8:9], s[8:9]
	s_mov_b32 s8, 0x9ad53528
	s_mov_b32 s9, 0xbe30790b
	v_fma_f64 v[16:17], v[12:13], v[14:15], -v[16:17]
	s_delay_alu instid0(VALU_DEP_2) | instskip(NEXT) | instid1(VALU_DEP_2)
	v_rndne_f64_e32 v[19:20], v[19:20]
	v_add_f64 v[16:17], v[16:17], s[8:9]
	s_mov_b32 s8, 0xfefa39ef
	s_mov_b32 s9, 0xbfe62e42
	s_delay_alu instid0(VALU_DEP_2) | instid1(SALU_CYCLE_1)
	v_fma_f64 v[21:22], v[19:20], s[8:9], v[8:9]
	s_mov_b32 s8, 0x3b39803f
	s_mov_b32 s9, 0xbc7abc9e
	s_delay_alu instid0(VALU_DEP_2) | instskip(NEXT) | instid1(VALU_DEP_2)
	v_fma_f64 v[14:15], v[12:13], v[16:17], -v[14:15]
	v_fma_f64 v[21:22], v[19:20], s[8:9], v[21:22]
	s_mov_b32 s8, 0x94bb46c1
	s_mov_b32 s9, 0xbe5c4153
	s_delay_alu instid0(VALU_DEP_2) | instid1(SALU_CYCLE_1)
	v_add_f64 v[14:15], v[14:15], s[8:9]
	s_mov_b32 s8, 0xfca7ab0c
	s_mov_b32 s9, 0x3e928af3
	s_delay_alu instid0(VALU_DEP_2) | instid1(SALU_CYCLE_1)
	v_fma_f64 v[23:24], v[21:22], s[10:11], s[8:9]
	s_mov_b32 s8, 0x623fde64
	s_mov_b32 s9, 0x3ec71dee
	s_delay_alu instid0(VALU_DEP_2) | instskip(NEXT) | instid1(VALU_DEP_2)
	v_fma_f64 v[16:17], v[12:13], v[14:15], -v[16:17]
	v_fma_f64 v[23:24], v[21:22], v[23:24], s[8:9]
	s_mov_b32 s8, 0x2e9e5443
	s_mov_b32 s9, 0xbe90dbfd
	s_delay_alu instid0(VALU_DEP_2) | instid1(SALU_CYCLE_1)
	;; [unrolled: 13-line block ×5, first 2 shown]
	v_add_f64 v[14:15], v[14:15], s[8:9]
	s_mov_b32 s8, 11
	s_mov_b32 s9, 0x3fe00000
	s_delay_alu instid0(VALU_DEP_2) | instid1(SALU_CYCLE_1)
	v_fma_f64 v[23:24], v[21:22], v[23:24], s[8:9]
	s_mov_b32 s8, 0xb55b1514
	s_mov_b32 s9, 0x3fe8ea18
	s_delay_alu instid0(VALU_DEP_2) | instskip(SKIP_2) | instid1(VALU_DEP_4)
	v_fma_f64 v[12:13], v[12:13], v[14:15], -v[16:17]
	v_fma_f64 v[14:15], v[31:32], v[27:28], v[29:30]
	v_cvt_i32_f64_e32 v29, v[19:20]
	v_fma_f64 v[23:24], v[21:22], v[23:24], 1.0
	s_delay_alu instid0(VALU_DEP_4) | instskip(NEXT) | instid1(VALU_DEP_4)
	v_add_f64 v[12:13], v[12:13], s[8:9]
	v_fma_f64 v[19:20], -v[14:15], v[14:15], v[25:26]
	s_delay_alu instid0(VALU_DEP_3) | instskip(NEXT) | instid1(VALU_DEP_3)
	v_fma_f64 v[21:22], v[21:22], v[23:24], 1.0
	v_add_f64 v[12:13], v[12:13], -v[16:17]
	s_delay_alu instid0(VALU_DEP_3) | instskip(NEXT) | instid1(VALU_DEP_3)
	v_fma_f64 v[14:15], v[19:20], v[27:28], v[14:15]
	v_ldexp_f64 v[16:17], v[21:22], v29
	s_delay_alu instid0(VALU_DEP_3) | instskip(SKIP_2) | instid1(VALU_DEP_4)
	v_mul_f64 v[19:20], v[12:13], 0.5
	v_cndmask_b32_e64 v12, 0, 0xffffff80, vcc_lo
	v_cmp_class_f64_e64 vcc_lo, v[25:26], 0x260
	v_cndmask_b32_e64 v13, 0x7ff00000, v17, s0
	s_delay_alu instid0(VALU_DEP_3) | instskip(SKIP_1) | instid1(VALU_DEP_1)
	v_ldexp_f64 v[14:15], v[14:15], v12
	v_cndmask_b32_e64 v12, 0, v16, s0
	v_mul_f64 v[16:17], v[12:13], v[19:20]
	s_delay_alu instid0(VALU_DEP_3) | instskip(NEXT) | instid1(VALU_DEP_1)
	v_dual_cndmask_b32 v15, v15, v26 :: v_dual_cndmask_b32 v14, v14, v25
	v_div_scale_f64 v[19:20], null, v[14:15], v[14:15], v[16:17]
	s_delay_alu instid0(VALU_DEP_1) | instskip(SKIP_2) | instid1(VALU_DEP_1)
	v_rcp_f64_e32 v[21:22], v[19:20]
	s_waitcnt_depctr 0xfff
	v_fma_f64 v[23:24], -v[19:20], v[21:22], 1.0
	v_fma_f64 v[21:22], v[21:22], v[23:24], v[21:22]
	s_delay_alu instid0(VALU_DEP_1) | instskip(NEXT) | instid1(VALU_DEP_1)
	v_fma_f64 v[23:24], -v[19:20], v[21:22], 1.0
	v_fma_f64 v[21:22], v[21:22], v[23:24], v[21:22]
	v_div_scale_f64 v[23:24], vcc_lo, v[16:17], v[14:15], v[16:17]
	s_delay_alu instid0(VALU_DEP_1) | instskip(NEXT) | instid1(VALU_DEP_1)
	v_mul_f64 v[25:26], v[23:24], v[21:22]
	v_fma_f64 v[19:20], -v[19:20], v[25:26], v[23:24]
	s_delay_alu instid0(VALU_DEP_1) | instskip(NEXT) | instid1(VALU_DEP_1)
	v_div_fmas_f64 v[19:20], v[19:20], v[21:22], v[25:26]
	v_div_fixup_f64 v[14:15], v[19:20], v[14:15], v[16:17]
.LBB1_43:
	s_or_b32 exec_lo, exec_lo, s1
	s_delay_alu instid0(VALU_DEP_2)
	v_frexp_mant_f64_e32 v[16:17], v[6:7]
	s_mov_b32 s1, 0x3fe55555
	s_mov_b32 s0, 0x55555555
	v_mov_b32_e32 v19, 0
	v_fma_f64 v[31:32], v[8:9], v[8:9], -2.0
	s_mov_b32 s8, 0x7a0399e0
	s_mov_b32 s9, 0xbce5dd51
	;; [unrolled: 1-line block ×4, first 2 shown]
	v_frexp_exp_i32_f64_e32 v35, v[6:7]
	s_delay_alu instid0(VALU_DEP_4) | instskip(SKIP_1) | instid1(VALU_DEP_3)
	v_cmp_gt_f64_e32 vcc_lo, s[0:1], v[16:17]
	s_mov_b32 s0, 0x55555780
	v_fma_f64 v[33:34], v[31:32], s[10:11], s[8:9]
	s_mov_b32 s11, 0x3c603228
	s_mov_b32 s8, 0xddd0e045
	;; [unrolled: 1-line block ×3, first 2 shown]
	v_cndmask_b32_e64 v20, 0x3ff00000, 2.0, vcc_lo
	s_delay_alu instid0(VALU_DEP_1) | instskip(NEXT) | instid1(VALU_DEP_1)
	v_mul_f64 v[16:17], v[16:17], v[19:20]
	v_add_f64 v[19:20], v[16:17], 1.0
	v_add_f64 v[25:26], v[16:17], -1.0
	s_delay_alu instid0(VALU_DEP_2) | instskip(SKIP_1) | instid1(VALU_DEP_1)
	v_rcp_f64_e32 v[21:22], v[19:20]
	v_add_f64 v[27:28], v[19:20], -1.0
	v_add_f64 v[16:17], v[16:17], -v[27:28]
	s_waitcnt_depctr 0xfff
	v_fma_f64 v[23:24], -v[19:20], v[21:22], 1.0
	s_delay_alu instid0(VALU_DEP_1) | instskip(NEXT) | instid1(VALU_DEP_1)
	v_fma_f64 v[21:22], v[23:24], v[21:22], v[21:22]
	v_fma_f64 v[23:24], -v[19:20], v[21:22], 1.0
	s_delay_alu instid0(VALU_DEP_1) | instskip(NEXT) | instid1(VALU_DEP_1)
	v_fma_f64 v[21:22], v[23:24], v[21:22], v[21:22]
	v_mul_f64 v[23:24], v[25:26], v[21:22]
	s_delay_alu instid0(VALU_DEP_1) | instskip(NEXT) | instid1(VALU_DEP_1)
	v_mul_f64 v[29:30], v[19:20], v[23:24]
	v_fma_f64 v[19:20], v[23:24], v[19:20], -v[29:30]
	s_delay_alu instid0(VALU_DEP_1) | instskip(NEXT) | instid1(VALU_DEP_1)
	v_fma_f64 v[16:17], v[23:24], v[16:17], v[19:20]
	v_add_f64 v[19:20], v[29:30], v[16:17]
	s_delay_alu instid0(VALU_DEP_1) | instskip(SKIP_1) | instid1(VALU_DEP_2)
	v_add_f64 v[27:28], v[25:26], -v[19:20]
	v_add_f64 v[29:30], v[19:20], -v[29:30]
	;; [unrolled: 1-line block ×3, first 2 shown]
	s_delay_alu instid0(VALU_DEP_2) | instskip(NEXT) | instid1(VALU_DEP_2)
	v_add_f64 v[16:17], v[29:30], -v[16:17]
	v_add_f64 v[19:20], v[25:26], -v[19:20]
	v_fma_f64 v[25:26], v[31:32], v[33:34], s[10:11]
	s_mov_b32 s10, 0xbf559e2b
	s_mov_b32 s11, 0x3fc3ab76
	s_delay_alu instid0(VALU_DEP_2) | instskip(NEXT) | instid1(VALU_DEP_2)
	v_add_f64 v[16:17], v[16:17], v[19:20]
	v_add_f64 v[19:20], v[25:26], s[8:9]
	s_mov_b32 s8, 0xb84626ca
	s_mov_b32 s9, 0xbde3663b
	s_delay_alu instid0(VALU_DEP_2) | instskip(NEXT) | instid1(VALU_DEP_2)
	v_add_f64 v[16:17], v[27:28], v[16:17]
	v_fma_f64 v[25:26], v[31:32], v[19:20], -v[33:34]
	s_delay_alu instid0(VALU_DEP_2) | instskip(NEXT) | instid1(VALU_DEP_2)
	v_mul_f64 v[16:17], v[21:22], v[16:17]
	v_add_f64 v[21:22], v[25:26], s[8:9]
	s_mov_b32 s8, 0x145c31d0
	s_mov_b32 s9, 0xbe57c41d
	s_delay_alu instid0(VALU_DEP_2) | instskip(NEXT) | instid1(VALU_DEP_2)
	v_add_f64 v[25:26], v[23:24], v[16:17]
	v_fma_f64 v[19:20], v[31:32], v[21:22], -v[19:20]
	s_delay_alu instid0(VALU_DEP_2) | instskip(NEXT) | instid1(VALU_DEP_2)
	v_mul_f64 v[27:28], v[25:26], v[25:26]
	v_add_f64 v[19:20], v[19:20], s[8:9]
	s_mov_b32 s8, 0x6b47b09a
	s_mov_b32 s9, 0x3fc38538
	v_add_f64 v[23:24], v[25:26], -v[23:24]
	s_delay_alu instid0(VALU_DEP_3) | instskip(NEXT) | instid1(VALU_DEP_3)
	v_fma_f64 v[29:30], v[27:28], s[10:11], s[8:9]
	v_fma_f64 v[21:22], v[31:32], v[19:20], -v[21:22]
	s_mov_b32 s8, 0xd7f4df2e
	s_mov_b32 s9, 0x3fc7474d
	v_mul_f64 v[33:34], v[25:26], v[27:28]
	s_delay_alu instid0(VALU_DEP_4) | instskip(NEXT) | instid1(VALU_DEP_4)
	v_add_f64 v[16:17], v[16:17], -v[23:24]
	v_fma_f64 v[29:30], v[27:28], v[29:30], s[8:9]
	s_mov_b32 s8, 0x2c832e3a
	s_mov_b32 s9, 0xbec469b3
	s_delay_alu instid0(VALU_DEP_4) | instid1(SALU_CYCLE_1)
	v_add_f64 v[21:22], v[21:22], s[8:9]
	s_mov_b32 s8, 0x16291751
	s_mov_b32 s9, 0x3fcc71c0
	s_delay_alu instid0(VALU_DEP_3) | instskip(NEXT) | instid1(VALU_DEP_3)
	v_ldexp_f64 v[16:17], v[16:17], 1
	v_fma_f64 v[29:30], v[27:28], v[29:30], s[8:9]
	s_mov_b32 s8, 0x9b27acf1
	s_mov_b32 s9, 0x3fd24924
	s_delay_alu instid0(VALU_DEP_3) | instskip(NEXT) | instid1(VALU_DEP_2)
	v_fma_f64 v[19:20], v[31:32], v[21:22], -v[19:20]
	v_fma_f64 v[29:30], v[27:28], v[29:30], s[8:9]
	s_mov_b32 s8, 0xe5a3bd02
	s_mov_b32 s9, 0xbf26ade2
	s_delay_alu instid0(VALU_DEP_2) | instid1(SALU_CYCLE_1)
	v_add_f64 v[19:20], v[19:20], s[8:9]
	s_mov_b32 s8, 0x998ef7b6
	s_mov_b32 s9, 0x3fd99999
	s_delay_alu instid0(VALU_DEP_2) | instid1(SALU_CYCLE_1)
	v_fma_f64 v[29:30], v[27:28], v[29:30], s[8:9]
	s_delay_alu instid0(VALU_DEP_2) | instskip(NEXT) | instid1(VALU_DEP_2)
	v_fma_f64 v[21:22], v[31:32], v[19:20], -v[21:22]
	v_fma_f64 v[27:28], v[27:28], v[29:30], s[0:1]
	s_mov_b32 s0, 0x9d7d4192
	s_mov_b32 s1, 0xbf7c9293
	v_ldexp_f64 v[29:30], v[25:26], 1
	s_delay_alu instid0(VALU_DEP_3) | instskip(SKIP_2) | instid1(VALU_DEP_3)
	v_add_f64 v[21:22], v[21:22], s[0:1]
	s_mov_b32 s0, 0x43c1db74
	s_mov_b32 s1, 0xbfbf6372
	v_mul_f64 v[27:28], v[33:34], v[27:28]
	v_subrev_co_ci_u32_e32 v33, vcc_lo, 0, v35, vcc_lo
	s_delay_alu instid0(VALU_DEP_3) | instskip(NEXT) | instid1(VALU_DEP_2)
	v_fma_f64 v[19:20], v[31:32], v[21:22], -v[19:20]
	v_cvt_f64_i32_e32 v[33:34], v33
	s_delay_alu instid0(VALU_DEP_4) | instskip(NEXT) | instid1(VALU_DEP_3)
	v_add_f64 v[25:26], v[29:30], v[27:28]
	v_add_f64 v[19:20], v[19:20], s[0:1]
	s_mov_b32 s0, 0xfefa39ef
	s_mov_b32 s1, 0x3fe62e42
	s_delay_alu instid0(VALU_DEP_3) | instid1(SALU_CYCLE_1)
	v_mul_f64 v[35:36], v[33:34], s[0:1]
	s_delay_alu instid0(VALU_DEP_3) | instskip(NEXT) | instid1(VALU_DEP_3)
	v_add_f64 v[23:24], v[25:26], -v[29:30]
	v_fma_f64 v[21:22], v[31:32], v[19:20], -v[21:22]
	s_delay_alu instid0(VALU_DEP_3) | instskip(SKIP_2) | instid1(VALU_DEP_3)
	v_fma_f64 v[29:30], v[33:34], s[0:1], -v[35:36]
	s_mov_b32 s0, 0x757b0dd4
	s_mov_b32 s1, 0xbfd69a1b
	v_add_f64 v[23:24], v[27:28], -v[23:24]
	s_delay_alu instid0(VALU_DEP_3)
	v_add_f64 v[21:22], v[21:22], s[0:1]
	s_mov_b32 s0, 0x3b39803f
	s_mov_b32 s1, 0x3c7abc9e
	s_delay_alu instid0(VALU_DEP_3) | instid1(SALU_CYCLE_1)
	v_fma_f64 v[27:28], v[33:34], s[0:1], v[29:30]
	s_mov_b32 s0, 0x361008ca
	s_mov_b32 s1, 0x3ff867a1
	s_delay_alu instid0(VALU_DEP_3) | instskip(NEXT) | instid1(VALU_DEP_3)
	v_add_f64 v[16:17], v[16:17], v[23:24]
	v_fma_f64 v[21:22], v[31:32], v[21:22], -v[19:20]
	s_delay_alu instid0(VALU_DEP_3) | instskip(NEXT) | instid1(VALU_DEP_3)
	v_add_f64 v[23:24], v[35:36], v[27:28]
	v_add_f64 v[29:30], v[25:26], v[16:17]
	s_delay_alu instid0(VALU_DEP_3) | instskip(SKIP_1) | instid1(VALU_DEP_4)
	v_add_f64 v[21:22], v[21:22], s[0:1]
	v_cmp_eq_f64_e64 s0, 0x7ff00000, v[6:7]
	v_add_f64 v[33:34], v[23:24], -v[35:36]
	s_delay_alu instid0(VALU_DEP_4) | instskip(SKIP_2) | instid1(VALU_DEP_4)
	v_add_f64 v[31:32], v[23:24], v[29:30]
	v_add_f64 v[25:26], v[29:30], -v[25:26]
	v_add_f64 v[19:20], v[21:22], -v[19:20]
	;; [unrolled: 1-line block ×3, first 2 shown]
	s_delay_alu instid0(VALU_DEP_4) | instskip(NEXT) | instid1(VALU_DEP_4)
	v_add_f64 v[21:22], v[31:32], -v[23:24]
	v_add_f64 v[16:17], v[16:17], -v[25:26]
	s_delay_alu instid0(VALU_DEP_4) | instskip(NEXT) | instid1(VALU_DEP_3)
	v_mul_f64 v[19:20], v[19:20], 0.5
	v_add_f64 v[35:36], v[31:32], -v[21:22]
	v_add_f64 v[21:22], v[29:30], -v[21:22]
	s_delay_alu instid0(VALU_DEP_4) | instskip(NEXT) | instid1(VALU_DEP_4)
	v_add_f64 v[29:30], v[27:28], v[16:17]
	v_div_scale_f64 v[37:38], null, v[8:9], v[8:9], v[19:20]
	s_delay_alu instid0(VALU_DEP_4) | instskip(NEXT) | instid1(VALU_DEP_3)
	v_add_f64 v[23:24], v[23:24], -v[35:36]
	v_add_f64 v[33:34], v[29:30], -v[27:28]
	s_delay_alu instid0(VALU_DEP_3) | instskip(NEXT) | instid1(VALU_DEP_2)
	v_rcp_f64_e32 v[25:26], v[37:38]
	v_add_f64 v[21:22], v[21:22], v[23:24]
	s_delay_alu instid0(VALU_DEP_2) | instskip(SKIP_3) | instid1(VALU_DEP_2)
	v_add_f64 v[16:17], v[16:17], -v[33:34]
	s_waitcnt_depctr 0xfff
	v_fma_f64 v[23:24], -v[37:38], v[25:26], 1.0
	v_add_f64 v[21:22], v[29:30], v[21:22]
	v_fma_f64 v[23:24], v[25:26], v[23:24], v[25:26]
	v_add_f64 v[25:26], v[29:30], -v[33:34]
	s_delay_alu instid0(VALU_DEP_3) | instskip(NEXT) | instid1(VALU_DEP_3)
	v_add_f64 v[29:30], v[31:32], v[21:22]
	v_fma_f64 v[35:36], -v[37:38], v[23:24], 1.0
	s_delay_alu instid0(VALU_DEP_3) | instskip(NEXT) | instid1(VALU_DEP_3)
	v_add_f64 v[25:26], v[27:28], -v[25:26]
	v_add_f64 v[27:28], v[29:30], -v[31:32]
	v_div_scale_f64 v[31:32], vcc_lo, v[19:20], v[8:9], v[19:20]
	s_delay_alu instid0(VALU_DEP_4) | instskip(NEXT) | instid1(VALU_DEP_4)
	v_fma_f64 v[23:24], v[23:24], v[35:36], v[23:24]
	v_add_f64 v[16:17], v[16:17], v[25:26]
	s_delay_alu instid0(VALU_DEP_4) | instskip(NEXT) | instid1(VALU_DEP_3)
	v_add_f64 v[21:22], v[21:22], -v[27:28]
	v_mul_f64 v[25:26], v[31:32], v[23:24]
	s_delay_alu instid0(VALU_DEP_2) | instskip(NEXT) | instid1(VALU_DEP_2)
	v_add_f64 v[16:17], v[16:17], v[21:22]
	v_fma_f64 v[21:22], -v[37:38], v[25:26], v[31:32]
	s_delay_alu instid0(VALU_DEP_2) | instskip(NEXT) | instid1(VALU_DEP_2)
	v_add_f64 v[16:17], v[29:30], v[16:17]
	v_div_fmas_f64 v[21:22], v[21:22], v[23:24], v[25:26]
	v_cmp_neq_f64_e32 vcc_lo, 0, v[6:7]
	s_delay_alu instid0(VALU_DEP_3) | instskip(NEXT) | instid1(VALU_DEP_4)
	v_cndmask_b32_e64 v16, v16, v6, s0
	v_cndmask_b32_e64 v17, v17, v7, s0
	s_delay_alu instid0(VALU_DEP_4) | instskip(NEXT) | instid1(VALU_DEP_3)
	v_div_fixup_f64 v[6:7], v[21:22], v[8:9], v[19:20]
	v_cndmask_b32_e32 v8, 0, v16, vcc_lo
	s_delay_alu instid0(VALU_DEP_3) | instskip(NEXT) | instid1(VALU_DEP_1)
	v_cndmask_b32_e32 v9, 0xfff00000, v17, vcc_lo
	v_fma_f64 v[6:7], v[8:9], v[14:15], v[6:7]
                                        ; implicit-def: $vgpr8_vgpr9
	s_delay_alu instid0(VALU_DEP_1)
	v_mul_f64 v[12:13], v[12:13], v[6:7]
.LBB1_44:
	s_and_not1_saveexec_b32 s0, s6
	s_cbranch_execz .LBB1_46
; %bb.45:
	v_div_scale_f64 v[6:7], null, v[8:9], v[8:9], 0x40200000
	v_div_scale_f64 v[16:17], vcc_lo, 0x40200000, v[8:9], 0x40200000
	s_mov_b32 s6, 0x838f5ed3
	s_mov_b32 s7, 0x3c74af1a
	;; [unrolled: 1-line block ×4, first 2 shown]
	s_delay_alu instid0(VALU_DEP_2) | instskip(SKIP_2) | instid1(VALU_DEP_1)
	v_rcp_f64_e32 v[12:13], v[6:7]
	s_waitcnt_depctr 0xfff
	v_fma_f64 v[14:15], -v[6:7], v[12:13], 1.0
	v_fma_f64 v[12:13], v[12:13], v[14:15], v[12:13]
	s_delay_alu instid0(VALU_DEP_1) | instskip(NEXT) | instid1(VALU_DEP_1)
	v_fma_f64 v[14:15], -v[6:7], v[12:13], 1.0
	v_fma_f64 v[12:13], v[12:13], v[14:15], v[12:13]
	s_delay_alu instid0(VALU_DEP_1) | instskip(NEXT) | instid1(VALU_DEP_1)
	v_mul_f64 v[14:15], v[16:17], v[12:13]
	v_fma_f64 v[6:7], -v[6:7], v[14:15], v[16:17]
	s_delay_alu instid0(VALU_DEP_1) | instskip(SKIP_1) | instid1(VALU_DEP_2)
	v_div_fmas_f64 v[6:7], v[6:7], v[12:13], v[14:15]
	v_cmp_gt_f64_e32 vcc_lo, 0x10000000, v[8:9]
	v_div_fixup_f64 v[6:7], v[6:7], v[8:9], 0x40200000
	v_cndmask_b32_e64 v16, 0, 1, vcc_lo
	s_delay_alu instid0(VALU_DEP_1) | instskip(NEXT) | instid1(VALU_DEP_1)
	v_lshlrev_b32_e32 v16, 8, v16
	v_ldexp_f64 v[8:9], v[8:9], v16
	s_delay_alu instid0(VALU_DEP_4) | instskip(NEXT) | instid1(VALU_DEP_2)
	v_add_f64 v[6:7], v[6:7], -2.0
	v_rsq_f64_e32 v[16:17], v[8:9]
	s_delay_alu instid0(VALU_DEP_1)
	v_fma_f64 v[12:13], v[6:7], s[8:9], s[6:7]
	s_mov_b32 s9, 0x3c5a8c5d
	s_mov_b32 s6, 0x17771d52
	;; [unrolled: 1-line block ×3, first 2 shown]
	s_waitcnt_depctr 0xfff
	v_mul_f64 v[19:20], v[8:9], v[16:17]
	v_mul_f64 v[16:17], v[16:17], 0.5
	v_fma_f64 v[14:15], v[6:7], v[12:13], s[8:9]
	s_delay_alu instid0(VALU_DEP_2) | instskip(NEXT) | instid1(VALU_DEP_2)
	v_fma_f64 v[21:22], -v[16:17], v[19:20], 0.5
	v_add_f64 v[14:15], v[14:15], s[6:7]
	s_mov_b32 s6, 0x44ee2c0b
	s_mov_b32 s7, 0x3caa7d5e
	s_delay_alu instid0(VALU_DEP_2) | instskip(SKIP_1) | instid1(VALU_DEP_3)
	v_fma_f64 v[19:20], v[19:20], v[21:22], v[19:20]
	v_fma_f64 v[16:17], v[16:17], v[21:22], v[16:17]
	v_fma_f64 v[12:13], v[6:7], v[14:15], -v[12:13]
	s_delay_alu instid0(VALU_DEP_3) | instskip(NEXT) | instid1(VALU_DEP_2)
	v_fma_f64 v[21:22], -v[19:20], v[19:20], v[8:9]
	v_add_f64 v[12:13], v[12:13], s[6:7]
	s_mov_b32 s6, 0xd8758ef2
	s_mov_b32 s7, 0xbcc5d2a3
	s_delay_alu instid0(VALU_DEP_2) | instskip(NEXT) | instid1(VALU_DEP_2)
	v_fma_f64 v[19:20], v[21:22], v[16:17], v[19:20]
	v_fma_f64 v[14:15], v[6:7], v[12:13], -v[14:15]
	s_delay_alu instid0(VALU_DEP_1) | instskip(SKIP_2) | instid1(VALU_DEP_1)
	v_add_f64 v[14:15], v[14:15], s[6:7]
	s_mov_b32 s6, 0xefee81bd
	s_mov_b32 s7, 0x3ce25ced
	v_fma_f64 v[12:13], v[6:7], v[14:15], -v[12:13]
	s_delay_alu instid0(VALU_DEP_1) | instskip(SKIP_2) | instid1(VALU_DEP_1)
	v_add_f64 v[12:13], v[12:13], s[6:7]
	s_mov_b32 s6, 0x364185ab
	s_mov_b32 s7, 0xbcff9d52
	;; [unrolled: 5-line block ×20, first 2 shown]
	v_fma_f64 v[6:7], v[6:7], v[12:13], -v[14:15]
	v_fma_f64 v[12:13], -v[19:20], v[19:20], v[8:9]
	s_delay_alu instid0(VALU_DEP_2) | instskip(NEXT) | instid1(VALU_DEP_2)
	v_add_f64 v[6:7], v[6:7], s[6:7]
	v_fma_f64 v[12:13], v[12:13], v[16:17], v[19:20]
	s_delay_alu instid0(VALU_DEP_2) | instskip(SKIP_2) | instid1(VALU_DEP_2)
	v_add_f64 v[6:7], v[6:7], -v[14:15]
	v_cndmask_b32_e64 v14, 0, 0xffffff80, vcc_lo
	v_cmp_class_f64_e64 vcc_lo, v[8:9], 0x260
	v_ldexp_f64 v[12:13], v[12:13], v14
	s_delay_alu instid0(VALU_DEP_4) | instskip(NEXT) | instid1(VALU_DEP_2)
	v_mul_f64 v[6:7], v[6:7], 0.5
	v_dual_cndmask_b32 v9, v13, v9 :: v_dual_cndmask_b32 v8, v12, v8
	s_delay_alu instid0(VALU_DEP_1) | instskip(NEXT) | instid1(VALU_DEP_1)
	v_div_scale_f64 v[12:13], null, v[8:9], v[8:9], v[6:7]
	v_rcp_f64_e32 v[14:15], v[12:13]
	s_waitcnt_depctr 0xfff
	v_fma_f64 v[16:17], -v[12:13], v[14:15], 1.0
	s_delay_alu instid0(VALU_DEP_1) | instskip(NEXT) | instid1(VALU_DEP_1)
	v_fma_f64 v[14:15], v[14:15], v[16:17], v[14:15]
	v_fma_f64 v[16:17], -v[12:13], v[14:15], 1.0
	s_delay_alu instid0(VALU_DEP_1) | instskip(SKIP_1) | instid1(VALU_DEP_1)
	v_fma_f64 v[14:15], v[14:15], v[16:17], v[14:15]
	v_div_scale_f64 v[16:17], vcc_lo, v[6:7], v[8:9], v[6:7]
	v_mul_f64 v[19:20], v[16:17], v[14:15]
	s_delay_alu instid0(VALU_DEP_1) | instskip(NEXT) | instid1(VALU_DEP_1)
	v_fma_f64 v[12:13], -v[12:13], v[19:20], v[16:17]
	v_div_fmas_f64 v[12:13], v[12:13], v[14:15], v[19:20]
	s_delay_alu instid0(VALU_DEP_1)
	v_div_fixup_f64 v[12:13], v[12:13], v[8:9], v[6:7]
.LBB1_46:
	s_or_b32 exec_lo, exec_lo, s0
.LBB1_47:
	s_delay_alu instid0(SALU_CYCLE_1)
	s_or_b32 exec_lo, exec_lo, s5
.LBB1_48:
	s_delay_alu instid0(SALU_CYCLE_1) | instskip(SKIP_2) | instid1(VALU_DEP_2)
	s_or_b32 exec_lo, exec_lo, s4
	v_add_co_u32 v0, vcc_lo, v0, s2
	v_add_co_ci_u32_e32 v1, vcc_lo, s3, v1, vcc_lo
	v_add_co_u32 v0, vcc_lo, v0, v18
	s_delay_alu instid0(VALU_DEP_2)
	v_add_co_ci_u32_e32 v1, vcc_lo, 0, v1, vcc_lo
	s_clause 0x1
	flat_store_b128 v[0:1], v[2:5]
	flat_store_b128 v[0:1], v[10:13] offset:16
	s_waitcnt lgkmcnt(0)
	s_setpc_b64 s[30:31]
.Lfunc_end1:
	.size	_ZN2at6native25elementwise_kernel_helperILb0EZZZNS0_12_GLOBAL__N_137scaled_modified_bessel_k1_kernel_cudaERNS_18TensorIteratorBaseEENKUlvE_clEvENKUlvE_clEvEUldE_NS0_6memory8policies10vectorizedILi4ESt5arrayIPcLm2EELi4EEEEEvT0_T1_, .Lfunc_end1-_ZN2at6native25elementwise_kernel_helperILb0EZZZNS0_12_GLOBAL__N_137scaled_modified_bessel_k1_kernel_cudaERNS_18TensorIteratorBaseEENKUlvE_clEvENKUlvE_clEvEUldE_NS0_6memory8policies10vectorizedILi4ESt5arrayIPcLm2EELi4EEEEEvT0_T1_
                                        ; -- End function
	.section	.AMDGPU.csdata,"",@progbits
; Function info:
; codeLenInByte = 24508
; NumSgprs: 34
; NumVgprs: 50
; ScratchSize: 0
; MemoryBound: 0
	.section	.text._ZN2at6native29vectorized_elementwise_kernelILi16EZZZNS0_12_GLOBAL__N_137scaled_modified_bessel_k1_kernel_cudaERNS_18TensorIteratorBaseEENKUlvE_clEvENKUlvE_clEvEUldE_St5arrayIPcLm2EEEEviT0_T1_,"axG",@progbits,_ZN2at6native29vectorized_elementwise_kernelILi16EZZZNS0_12_GLOBAL__N_137scaled_modified_bessel_k1_kernel_cudaERNS_18TensorIteratorBaseEENKUlvE_clEvENKUlvE_clEvEUldE_St5arrayIPcLm2EEEEviT0_T1_,comdat
	.globl	_ZN2at6native29vectorized_elementwise_kernelILi16EZZZNS0_12_GLOBAL__N_137scaled_modified_bessel_k1_kernel_cudaERNS_18TensorIteratorBaseEENKUlvE_clEvENKUlvE_clEvEUldE_St5arrayIPcLm2EEEEviT0_T1_ ; -- Begin function _ZN2at6native29vectorized_elementwise_kernelILi16EZZZNS0_12_GLOBAL__N_137scaled_modified_bessel_k1_kernel_cudaERNS_18TensorIteratorBaseEENKUlvE_clEvENKUlvE_clEvEUldE_St5arrayIPcLm2EEEEviT0_T1_
	.p2align	8
	.type	_ZN2at6native29vectorized_elementwise_kernelILi16EZZZNS0_12_GLOBAL__N_137scaled_modified_bessel_k1_kernel_cudaERNS_18TensorIteratorBaseEENKUlvE_clEvENKUlvE_clEvEUldE_St5arrayIPcLm2EEEEviT0_T1_,@function
_ZN2at6native29vectorized_elementwise_kernelILi16EZZZNS0_12_GLOBAL__N_137scaled_modified_bessel_k1_kernel_cudaERNS_18TensorIteratorBaseEENKUlvE_clEvENKUlvE_clEvEUldE_St5arrayIPcLm2EEEEviT0_T1_: ; @_ZN2at6native29vectorized_elementwise_kernelILi16EZZZNS0_12_GLOBAL__N_137scaled_modified_bessel_k1_kernel_cudaERNS_18TensorIteratorBaseEENKUlvE_clEvENKUlvE_clEvEUldE_St5arrayIPcLm2EEEEviT0_T1_
; %bb.0:
	s_clause 0x1
	s_load_b32 s2, s[0:1], 0x0
	s_load_b128 s[16:19], s[0:1], 0x8
	s_lshl_b32 s0, s15, 10
	v_mov_b32_e32 v39, v0
	s_mov_b32 s12, s15
	s_mov_b32 s32, 0
	s_waitcnt lgkmcnt(0)
	s_sub_i32 s13, s2, s0
	s_mov_b32 s0, -1
	s_cmpk_gt_i32 s13, 0x3ff
	s_cbranch_scc1 .LBB2_3
; %bb.1:
	s_and_not1_b32 vcc_lo, exec_lo, s0
	s_cbranch_vccz .LBB2_4
.LBB2_2:
	s_endpgm
.LBB2_3:
	v_dual_mov_b32 v31, v39 :: v_dual_mov_b32 v0, s16
	v_dual_mov_b32 v1, s17 :: v_dual_mov_b32 v2, s18
	v_mov_b32_e32 v3, s19
	s_getpc_b64 s[0:1]
	s_add_u32 s0, s0, _ZN2at6native25elementwise_kernel_helperILb0EZZZNS0_12_GLOBAL__N_137scaled_modified_bessel_k1_kernel_cudaERNS_18TensorIteratorBaseEENKUlvE_clEvENKUlvE_clEvEUldE_NS0_6memory8policies10vectorizedILi4ESt5arrayIPcLm2EELi4EEEEEvT0_T1_@rel32@lo+4
	s_addc_u32 s1, s1, _ZN2at6native25elementwise_kernel_helperILb0EZZZNS0_12_GLOBAL__N_137scaled_modified_bessel_k1_kernel_cudaERNS_18TensorIteratorBaseEENKUlvE_clEvENKUlvE_clEvEUldE_NS0_6memory8policies10vectorizedILi4ESt5arrayIPcLm2EELi4EEEEEvT0_T1_@rel32@hi+12
	s_delay_alu instid0(SALU_CYCLE_1)
	s_swappc_b64 s[30:31], s[0:1]
	s_cbranch_execnz .LBB2_2
.LBB2_4:
	v_dual_mov_b32 v31, v39 :: v_dual_mov_b32 v0, s16
	v_dual_mov_b32 v1, s17 :: v_dual_mov_b32 v2, s18
	;; [unrolled: 1-line block ×3, first 2 shown]
	s_getpc_b64 s[0:1]
	s_add_u32 s0, s0, _ZN2at6native25elementwise_kernel_helperILb0EZZZNS0_12_GLOBAL__N_137scaled_modified_bessel_k1_kernel_cudaERNS_18TensorIteratorBaseEENKUlvE_clEvENKUlvE_clEvEUldE_NS0_6memory8policies11unroll_baseILi256ESt5arrayIPcLm2EE23TrivialOffsetCalculatorILi1EjESF_NS8_15LoadWithoutCastENS8_16StoreWithoutCastELi4ELi1EEEEEvT0_T1_@rel32@lo+4
	s_addc_u32 s1, s1, _ZN2at6native25elementwise_kernel_helperILb0EZZZNS0_12_GLOBAL__N_137scaled_modified_bessel_k1_kernel_cudaERNS_18TensorIteratorBaseEENKUlvE_clEvENKUlvE_clEvEUldE_NS0_6memory8policies11unroll_baseILi256ESt5arrayIPcLm2EE23TrivialOffsetCalculatorILi1EjESF_NS8_15LoadWithoutCastENS8_16StoreWithoutCastELi4ELi1EEEEEvT0_T1_@rel32@hi+12
	s_delay_alu instid0(SALU_CYCLE_1)
	s_swappc_b64 s[30:31], s[0:1]
	s_endpgm
	.section	.rodata,"a",@progbits
	.p2align	6, 0x0
	.amdhsa_kernel _ZN2at6native29vectorized_elementwise_kernelILi16EZZZNS0_12_GLOBAL__N_137scaled_modified_bessel_k1_kernel_cudaERNS_18TensorIteratorBaseEENKUlvE_clEvENKUlvE_clEvEUldE_St5arrayIPcLm2EEEEviT0_T1_
		.amdhsa_group_segment_fixed_size 0
		.amdhsa_private_segment_fixed_size 0
		.amdhsa_kernarg_size 24
		.amdhsa_user_sgpr_count 15
		.amdhsa_user_sgpr_dispatch_ptr 0
		.amdhsa_user_sgpr_queue_ptr 0
		.amdhsa_user_sgpr_kernarg_segment_ptr 1
		.amdhsa_user_sgpr_dispatch_id 0
		.amdhsa_user_sgpr_private_segment_size 0
		.amdhsa_wavefront_size32 1
		.amdhsa_uses_dynamic_stack 0
		.amdhsa_enable_private_segment 0
		.amdhsa_system_sgpr_workgroup_id_x 1
		.amdhsa_system_sgpr_workgroup_id_y 0
		.amdhsa_system_sgpr_workgroup_id_z 0
		.amdhsa_system_sgpr_workgroup_info 0
		.amdhsa_system_vgpr_workitem_id 0
		.amdhsa_next_free_vgpr 54
		.amdhsa_next_free_sgpr 33
		.amdhsa_reserve_vcc 1
		.amdhsa_float_round_mode_32 0
		.amdhsa_float_round_mode_16_64 0
		.amdhsa_float_denorm_mode_32 3
		.amdhsa_float_denorm_mode_16_64 3
		.amdhsa_dx10_clamp 1
		.amdhsa_ieee_mode 1
		.amdhsa_fp16_overflow 0
		.amdhsa_workgroup_processor_mode 1
		.amdhsa_memory_ordered 1
		.amdhsa_forward_progress 0
		.amdhsa_shared_vgpr_count 0
		.amdhsa_exception_fp_ieee_invalid_op 0
		.amdhsa_exception_fp_denorm_src 0
		.amdhsa_exception_fp_ieee_div_zero 0
		.amdhsa_exception_fp_ieee_overflow 0
		.amdhsa_exception_fp_ieee_underflow 0
		.amdhsa_exception_fp_ieee_inexact 0
		.amdhsa_exception_int_div_zero 0
	.end_amdhsa_kernel
	.section	.text._ZN2at6native29vectorized_elementwise_kernelILi16EZZZNS0_12_GLOBAL__N_137scaled_modified_bessel_k1_kernel_cudaERNS_18TensorIteratorBaseEENKUlvE_clEvENKUlvE_clEvEUldE_St5arrayIPcLm2EEEEviT0_T1_,"axG",@progbits,_ZN2at6native29vectorized_elementwise_kernelILi16EZZZNS0_12_GLOBAL__N_137scaled_modified_bessel_k1_kernel_cudaERNS_18TensorIteratorBaseEENKUlvE_clEvENKUlvE_clEvEUldE_St5arrayIPcLm2EEEEviT0_T1_,comdat
.Lfunc_end2:
	.size	_ZN2at6native29vectorized_elementwise_kernelILi16EZZZNS0_12_GLOBAL__N_137scaled_modified_bessel_k1_kernel_cudaERNS_18TensorIteratorBaseEENKUlvE_clEvENKUlvE_clEvEUldE_St5arrayIPcLm2EEEEviT0_T1_, .Lfunc_end2-_ZN2at6native29vectorized_elementwise_kernelILi16EZZZNS0_12_GLOBAL__N_137scaled_modified_bessel_k1_kernel_cudaERNS_18TensorIteratorBaseEENKUlvE_clEvENKUlvE_clEvEUldE_St5arrayIPcLm2EEEEviT0_T1_
                                        ; -- End function
	.section	.AMDGPU.csdata,"",@progbits
; Kernel info:
; codeLenInByte = 176
; NumSgprs: 35
; NumVgprs: 54
; ScratchSize: 0
; MemoryBound: 0
; FloatMode: 240
; IeeeMode: 1
; LDSByteSize: 0 bytes/workgroup (compile time only)
; SGPRBlocks: 4
; VGPRBlocks: 6
; NumSGPRsForWavesPerEU: 35
; NumVGPRsForWavesPerEU: 54
; Occupancy: 16
; WaveLimiterHint : 0
; COMPUTE_PGM_RSRC2:SCRATCH_EN: 0
; COMPUTE_PGM_RSRC2:USER_SGPR: 15
; COMPUTE_PGM_RSRC2:TRAP_HANDLER: 0
; COMPUTE_PGM_RSRC2:TGID_X_EN: 1
; COMPUTE_PGM_RSRC2:TGID_Y_EN: 0
; COMPUTE_PGM_RSRC2:TGID_Z_EN: 0
; COMPUTE_PGM_RSRC2:TIDIG_COMP_CNT: 0
	.section	.text._ZN2at6native29vectorized_elementwise_kernelILi8EZZZNS0_12_GLOBAL__N_137scaled_modified_bessel_k1_kernel_cudaERNS_18TensorIteratorBaseEENKUlvE_clEvENKUlvE_clEvEUldE_St5arrayIPcLm2EEEEviT0_T1_,"axG",@progbits,_ZN2at6native29vectorized_elementwise_kernelILi8EZZZNS0_12_GLOBAL__N_137scaled_modified_bessel_k1_kernel_cudaERNS_18TensorIteratorBaseEENKUlvE_clEvENKUlvE_clEvEUldE_St5arrayIPcLm2EEEEviT0_T1_,comdat
	.globl	_ZN2at6native29vectorized_elementwise_kernelILi8EZZZNS0_12_GLOBAL__N_137scaled_modified_bessel_k1_kernel_cudaERNS_18TensorIteratorBaseEENKUlvE_clEvENKUlvE_clEvEUldE_St5arrayIPcLm2EEEEviT0_T1_ ; -- Begin function _ZN2at6native29vectorized_elementwise_kernelILi8EZZZNS0_12_GLOBAL__N_137scaled_modified_bessel_k1_kernel_cudaERNS_18TensorIteratorBaseEENKUlvE_clEvENKUlvE_clEvEUldE_St5arrayIPcLm2EEEEviT0_T1_
	.p2align	8
	.type	_ZN2at6native29vectorized_elementwise_kernelILi8EZZZNS0_12_GLOBAL__N_137scaled_modified_bessel_k1_kernel_cudaERNS_18TensorIteratorBaseEENKUlvE_clEvENKUlvE_clEvEUldE_St5arrayIPcLm2EEEEviT0_T1_,@function
_ZN2at6native29vectorized_elementwise_kernelILi8EZZZNS0_12_GLOBAL__N_137scaled_modified_bessel_k1_kernel_cudaERNS_18TensorIteratorBaseEENKUlvE_clEvENKUlvE_clEvEUldE_St5arrayIPcLm2EEEEviT0_T1_: ; @_ZN2at6native29vectorized_elementwise_kernelILi8EZZZNS0_12_GLOBAL__N_137scaled_modified_bessel_k1_kernel_cudaERNS_18TensorIteratorBaseEENKUlvE_clEvENKUlvE_clEvEUldE_St5arrayIPcLm2EEEEviT0_T1_
; %bb.0:
	s_clause 0x1
	s_load_b32 s2, s[0:1], 0x0
	s_load_b128 s[16:19], s[0:1], 0x8
	s_lshl_b32 s0, s15, 10
	v_mov_b32_e32 v39, v0
	s_mov_b32 s12, s15
	s_mov_b32 s32, 0
	s_waitcnt lgkmcnt(0)
	s_sub_i32 s13, s2, s0
	s_mov_b32 s0, -1
	s_cmpk_gt_i32 s13, 0x3ff
	s_cbranch_scc1 .LBB3_3
; %bb.1:
	s_and_not1_b32 vcc_lo, exec_lo, s0
	s_cbranch_vccz .LBB3_4
.LBB3_2:
	s_endpgm
.LBB3_3:
	v_dual_mov_b32 v31, v39 :: v_dual_mov_b32 v0, s16
	v_dual_mov_b32 v1, s17 :: v_dual_mov_b32 v2, s18
	v_mov_b32_e32 v3, s19
	s_getpc_b64 s[0:1]
	s_add_u32 s0, s0, _ZN2at6native25elementwise_kernel_helperILb0EZZZNS0_12_GLOBAL__N_137scaled_modified_bessel_k1_kernel_cudaERNS_18TensorIteratorBaseEENKUlvE_clEvENKUlvE_clEvEUldE_NS0_6memory8policies10vectorizedILi4ESt5arrayIPcLm2EELi4EEEEEvT0_T1_@rel32@lo+4
	s_addc_u32 s1, s1, _ZN2at6native25elementwise_kernel_helperILb0EZZZNS0_12_GLOBAL__N_137scaled_modified_bessel_k1_kernel_cudaERNS_18TensorIteratorBaseEENKUlvE_clEvENKUlvE_clEvEUldE_NS0_6memory8policies10vectorizedILi4ESt5arrayIPcLm2EELi4EEEEEvT0_T1_@rel32@hi+12
	s_delay_alu instid0(SALU_CYCLE_1)
	s_swappc_b64 s[30:31], s[0:1]
	s_cbranch_execnz .LBB3_2
.LBB3_4:
	v_dual_mov_b32 v31, v39 :: v_dual_mov_b32 v0, s16
	v_dual_mov_b32 v1, s17 :: v_dual_mov_b32 v2, s18
	;; [unrolled: 1-line block ×3, first 2 shown]
	s_getpc_b64 s[0:1]
	s_add_u32 s0, s0, _ZN2at6native25elementwise_kernel_helperILb0EZZZNS0_12_GLOBAL__N_137scaled_modified_bessel_k1_kernel_cudaERNS_18TensorIteratorBaseEENKUlvE_clEvENKUlvE_clEvEUldE_NS0_6memory8policies11unroll_baseILi256ESt5arrayIPcLm2EE23TrivialOffsetCalculatorILi1EjESF_NS8_15LoadWithoutCastENS8_16StoreWithoutCastELi4ELi1EEEEEvT0_T1_@rel32@lo+4
	s_addc_u32 s1, s1, _ZN2at6native25elementwise_kernel_helperILb0EZZZNS0_12_GLOBAL__N_137scaled_modified_bessel_k1_kernel_cudaERNS_18TensorIteratorBaseEENKUlvE_clEvENKUlvE_clEvEUldE_NS0_6memory8policies11unroll_baseILi256ESt5arrayIPcLm2EE23TrivialOffsetCalculatorILi1EjESF_NS8_15LoadWithoutCastENS8_16StoreWithoutCastELi4ELi1EEEEEvT0_T1_@rel32@hi+12
	s_delay_alu instid0(SALU_CYCLE_1)
	s_swappc_b64 s[30:31], s[0:1]
	s_endpgm
	.section	.rodata,"a",@progbits
	.p2align	6, 0x0
	.amdhsa_kernel _ZN2at6native29vectorized_elementwise_kernelILi8EZZZNS0_12_GLOBAL__N_137scaled_modified_bessel_k1_kernel_cudaERNS_18TensorIteratorBaseEENKUlvE_clEvENKUlvE_clEvEUldE_St5arrayIPcLm2EEEEviT0_T1_
		.amdhsa_group_segment_fixed_size 0
		.amdhsa_private_segment_fixed_size 0
		.amdhsa_kernarg_size 24
		.amdhsa_user_sgpr_count 15
		.amdhsa_user_sgpr_dispatch_ptr 0
		.amdhsa_user_sgpr_queue_ptr 0
		.amdhsa_user_sgpr_kernarg_segment_ptr 1
		.amdhsa_user_sgpr_dispatch_id 0
		.amdhsa_user_sgpr_private_segment_size 0
		.amdhsa_wavefront_size32 1
		.amdhsa_uses_dynamic_stack 0
		.amdhsa_enable_private_segment 0
		.amdhsa_system_sgpr_workgroup_id_x 1
		.amdhsa_system_sgpr_workgroup_id_y 0
		.amdhsa_system_sgpr_workgroup_id_z 0
		.amdhsa_system_sgpr_workgroup_info 0
		.amdhsa_system_vgpr_workitem_id 0
		.amdhsa_next_free_vgpr 54
		.amdhsa_next_free_sgpr 33
		.amdhsa_reserve_vcc 1
		.amdhsa_float_round_mode_32 0
		.amdhsa_float_round_mode_16_64 0
		.amdhsa_float_denorm_mode_32 3
		.amdhsa_float_denorm_mode_16_64 3
		.amdhsa_dx10_clamp 1
		.amdhsa_ieee_mode 1
		.amdhsa_fp16_overflow 0
		.amdhsa_workgroup_processor_mode 1
		.amdhsa_memory_ordered 1
		.amdhsa_forward_progress 0
		.amdhsa_shared_vgpr_count 0
		.amdhsa_exception_fp_ieee_invalid_op 0
		.amdhsa_exception_fp_denorm_src 0
		.amdhsa_exception_fp_ieee_div_zero 0
		.amdhsa_exception_fp_ieee_overflow 0
		.amdhsa_exception_fp_ieee_underflow 0
		.amdhsa_exception_fp_ieee_inexact 0
		.amdhsa_exception_int_div_zero 0
	.end_amdhsa_kernel
	.section	.text._ZN2at6native29vectorized_elementwise_kernelILi8EZZZNS0_12_GLOBAL__N_137scaled_modified_bessel_k1_kernel_cudaERNS_18TensorIteratorBaseEENKUlvE_clEvENKUlvE_clEvEUldE_St5arrayIPcLm2EEEEviT0_T1_,"axG",@progbits,_ZN2at6native29vectorized_elementwise_kernelILi8EZZZNS0_12_GLOBAL__N_137scaled_modified_bessel_k1_kernel_cudaERNS_18TensorIteratorBaseEENKUlvE_clEvENKUlvE_clEvEUldE_St5arrayIPcLm2EEEEviT0_T1_,comdat
.Lfunc_end3:
	.size	_ZN2at6native29vectorized_elementwise_kernelILi8EZZZNS0_12_GLOBAL__N_137scaled_modified_bessel_k1_kernel_cudaERNS_18TensorIteratorBaseEENKUlvE_clEvENKUlvE_clEvEUldE_St5arrayIPcLm2EEEEviT0_T1_, .Lfunc_end3-_ZN2at6native29vectorized_elementwise_kernelILi8EZZZNS0_12_GLOBAL__N_137scaled_modified_bessel_k1_kernel_cudaERNS_18TensorIteratorBaseEENKUlvE_clEvENKUlvE_clEvEUldE_St5arrayIPcLm2EEEEviT0_T1_
                                        ; -- End function
	.section	.AMDGPU.csdata,"",@progbits
; Kernel info:
; codeLenInByte = 176
; NumSgprs: 35
; NumVgprs: 54
; ScratchSize: 0
; MemoryBound: 0
; FloatMode: 240
; IeeeMode: 1
; LDSByteSize: 0 bytes/workgroup (compile time only)
; SGPRBlocks: 4
; VGPRBlocks: 6
; NumSGPRsForWavesPerEU: 35
; NumVGPRsForWavesPerEU: 54
; Occupancy: 16
; WaveLimiterHint : 0
; COMPUTE_PGM_RSRC2:SCRATCH_EN: 0
; COMPUTE_PGM_RSRC2:USER_SGPR: 15
; COMPUTE_PGM_RSRC2:TRAP_HANDLER: 0
; COMPUTE_PGM_RSRC2:TGID_X_EN: 1
; COMPUTE_PGM_RSRC2:TGID_Y_EN: 0
; COMPUTE_PGM_RSRC2:TGID_Z_EN: 0
; COMPUTE_PGM_RSRC2:TIDIG_COMP_CNT: 0
	.section	.text._ZN2at6native29vectorized_elementwise_kernelILi4EZZZNS0_12_GLOBAL__N_137scaled_modified_bessel_k1_kernel_cudaERNS_18TensorIteratorBaseEENKUlvE_clEvENKUlvE_clEvEUldE_St5arrayIPcLm2EEEEviT0_T1_,"axG",@progbits,_ZN2at6native29vectorized_elementwise_kernelILi4EZZZNS0_12_GLOBAL__N_137scaled_modified_bessel_k1_kernel_cudaERNS_18TensorIteratorBaseEENKUlvE_clEvENKUlvE_clEvEUldE_St5arrayIPcLm2EEEEviT0_T1_,comdat
	.globl	_ZN2at6native29vectorized_elementwise_kernelILi4EZZZNS0_12_GLOBAL__N_137scaled_modified_bessel_k1_kernel_cudaERNS_18TensorIteratorBaseEENKUlvE_clEvENKUlvE_clEvEUldE_St5arrayIPcLm2EEEEviT0_T1_ ; -- Begin function _ZN2at6native29vectorized_elementwise_kernelILi4EZZZNS0_12_GLOBAL__N_137scaled_modified_bessel_k1_kernel_cudaERNS_18TensorIteratorBaseEENKUlvE_clEvENKUlvE_clEvEUldE_St5arrayIPcLm2EEEEviT0_T1_
	.p2align	8
	.type	_ZN2at6native29vectorized_elementwise_kernelILi4EZZZNS0_12_GLOBAL__N_137scaled_modified_bessel_k1_kernel_cudaERNS_18TensorIteratorBaseEENKUlvE_clEvENKUlvE_clEvEUldE_St5arrayIPcLm2EEEEviT0_T1_,@function
_ZN2at6native29vectorized_elementwise_kernelILi4EZZZNS0_12_GLOBAL__N_137scaled_modified_bessel_k1_kernel_cudaERNS_18TensorIteratorBaseEENKUlvE_clEvENKUlvE_clEvEUldE_St5arrayIPcLm2EEEEviT0_T1_: ; @_ZN2at6native29vectorized_elementwise_kernelILi4EZZZNS0_12_GLOBAL__N_137scaled_modified_bessel_k1_kernel_cudaERNS_18TensorIteratorBaseEENKUlvE_clEvENKUlvE_clEvEUldE_St5arrayIPcLm2EEEEviT0_T1_
; %bb.0:
	s_clause 0x1
	s_load_b32 s2, s[0:1], 0x0
	s_load_b128 s[16:19], s[0:1], 0x8
	s_lshl_b32 s0, s15, 10
	v_mov_b32_e32 v39, v0
	s_mov_b32 s12, s15
	s_mov_b32 s32, 0
	s_waitcnt lgkmcnt(0)
	s_sub_i32 s13, s2, s0
	s_mov_b32 s0, -1
	s_cmpk_gt_i32 s13, 0x3ff
	s_cbranch_scc1 .LBB4_3
; %bb.1:
	s_and_not1_b32 vcc_lo, exec_lo, s0
	s_cbranch_vccz .LBB4_4
.LBB4_2:
	s_endpgm
.LBB4_3:
	v_dual_mov_b32 v31, v39 :: v_dual_mov_b32 v0, s16
	v_dual_mov_b32 v1, s17 :: v_dual_mov_b32 v2, s18
	v_mov_b32_e32 v3, s19
	s_getpc_b64 s[0:1]
	s_add_u32 s0, s0, _ZN2at6native25elementwise_kernel_helperILb0EZZZNS0_12_GLOBAL__N_137scaled_modified_bessel_k1_kernel_cudaERNS_18TensorIteratorBaseEENKUlvE_clEvENKUlvE_clEvEUldE_NS0_6memory8policies10vectorizedILi4ESt5arrayIPcLm2EELi4EEEEEvT0_T1_@rel32@lo+4
	s_addc_u32 s1, s1, _ZN2at6native25elementwise_kernel_helperILb0EZZZNS0_12_GLOBAL__N_137scaled_modified_bessel_k1_kernel_cudaERNS_18TensorIteratorBaseEENKUlvE_clEvENKUlvE_clEvEUldE_NS0_6memory8policies10vectorizedILi4ESt5arrayIPcLm2EELi4EEEEEvT0_T1_@rel32@hi+12
	s_delay_alu instid0(SALU_CYCLE_1)
	s_swappc_b64 s[30:31], s[0:1]
	s_cbranch_execnz .LBB4_2
.LBB4_4:
	v_dual_mov_b32 v31, v39 :: v_dual_mov_b32 v0, s16
	v_dual_mov_b32 v1, s17 :: v_dual_mov_b32 v2, s18
	;; [unrolled: 1-line block ×3, first 2 shown]
	s_getpc_b64 s[0:1]
	s_add_u32 s0, s0, _ZN2at6native25elementwise_kernel_helperILb0EZZZNS0_12_GLOBAL__N_137scaled_modified_bessel_k1_kernel_cudaERNS_18TensorIteratorBaseEENKUlvE_clEvENKUlvE_clEvEUldE_NS0_6memory8policies11unroll_baseILi256ESt5arrayIPcLm2EE23TrivialOffsetCalculatorILi1EjESF_NS8_15LoadWithoutCastENS8_16StoreWithoutCastELi4ELi1EEEEEvT0_T1_@rel32@lo+4
	s_addc_u32 s1, s1, _ZN2at6native25elementwise_kernel_helperILb0EZZZNS0_12_GLOBAL__N_137scaled_modified_bessel_k1_kernel_cudaERNS_18TensorIteratorBaseEENKUlvE_clEvENKUlvE_clEvEUldE_NS0_6memory8policies11unroll_baseILi256ESt5arrayIPcLm2EE23TrivialOffsetCalculatorILi1EjESF_NS8_15LoadWithoutCastENS8_16StoreWithoutCastELi4ELi1EEEEEvT0_T1_@rel32@hi+12
	s_delay_alu instid0(SALU_CYCLE_1)
	s_swappc_b64 s[30:31], s[0:1]
	s_endpgm
	.section	.rodata,"a",@progbits
	.p2align	6, 0x0
	.amdhsa_kernel _ZN2at6native29vectorized_elementwise_kernelILi4EZZZNS0_12_GLOBAL__N_137scaled_modified_bessel_k1_kernel_cudaERNS_18TensorIteratorBaseEENKUlvE_clEvENKUlvE_clEvEUldE_St5arrayIPcLm2EEEEviT0_T1_
		.amdhsa_group_segment_fixed_size 0
		.amdhsa_private_segment_fixed_size 0
		.amdhsa_kernarg_size 24
		.amdhsa_user_sgpr_count 15
		.amdhsa_user_sgpr_dispatch_ptr 0
		.amdhsa_user_sgpr_queue_ptr 0
		.amdhsa_user_sgpr_kernarg_segment_ptr 1
		.amdhsa_user_sgpr_dispatch_id 0
		.amdhsa_user_sgpr_private_segment_size 0
		.amdhsa_wavefront_size32 1
		.amdhsa_uses_dynamic_stack 0
		.amdhsa_enable_private_segment 0
		.amdhsa_system_sgpr_workgroup_id_x 1
		.amdhsa_system_sgpr_workgroup_id_y 0
		.amdhsa_system_sgpr_workgroup_id_z 0
		.amdhsa_system_sgpr_workgroup_info 0
		.amdhsa_system_vgpr_workitem_id 0
		.amdhsa_next_free_vgpr 54
		.amdhsa_next_free_sgpr 33
		.amdhsa_reserve_vcc 1
		.amdhsa_float_round_mode_32 0
		.amdhsa_float_round_mode_16_64 0
		.amdhsa_float_denorm_mode_32 3
		.amdhsa_float_denorm_mode_16_64 3
		.amdhsa_dx10_clamp 1
		.amdhsa_ieee_mode 1
		.amdhsa_fp16_overflow 0
		.amdhsa_workgroup_processor_mode 1
		.amdhsa_memory_ordered 1
		.amdhsa_forward_progress 0
		.amdhsa_shared_vgpr_count 0
		.amdhsa_exception_fp_ieee_invalid_op 0
		.amdhsa_exception_fp_denorm_src 0
		.amdhsa_exception_fp_ieee_div_zero 0
		.amdhsa_exception_fp_ieee_overflow 0
		.amdhsa_exception_fp_ieee_underflow 0
		.amdhsa_exception_fp_ieee_inexact 0
		.amdhsa_exception_int_div_zero 0
	.end_amdhsa_kernel
	.section	.text._ZN2at6native29vectorized_elementwise_kernelILi4EZZZNS0_12_GLOBAL__N_137scaled_modified_bessel_k1_kernel_cudaERNS_18TensorIteratorBaseEENKUlvE_clEvENKUlvE_clEvEUldE_St5arrayIPcLm2EEEEviT0_T1_,"axG",@progbits,_ZN2at6native29vectorized_elementwise_kernelILi4EZZZNS0_12_GLOBAL__N_137scaled_modified_bessel_k1_kernel_cudaERNS_18TensorIteratorBaseEENKUlvE_clEvENKUlvE_clEvEUldE_St5arrayIPcLm2EEEEviT0_T1_,comdat
.Lfunc_end4:
	.size	_ZN2at6native29vectorized_elementwise_kernelILi4EZZZNS0_12_GLOBAL__N_137scaled_modified_bessel_k1_kernel_cudaERNS_18TensorIteratorBaseEENKUlvE_clEvENKUlvE_clEvEUldE_St5arrayIPcLm2EEEEviT0_T1_, .Lfunc_end4-_ZN2at6native29vectorized_elementwise_kernelILi4EZZZNS0_12_GLOBAL__N_137scaled_modified_bessel_k1_kernel_cudaERNS_18TensorIteratorBaseEENKUlvE_clEvENKUlvE_clEvEUldE_St5arrayIPcLm2EEEEviT0_T1_
                                        ; -- End function
	.section	.AMDGPU.csdata,"",@progbits
; Kernel info:
; codeLenInByte = 176
; NumSgprs: 35
; NumVgprs: 54
; ScratchSize: 0
; MemoryBound: 0
; FloatMode: 240
; IeeeMode: 1
; LDSByteSize: 0 bytes/workgroup (compile time only)
; SGPRBlocks: 4
; VGPRBlocks: 6
; NumSGPRsForWavesPerEU: 35
; NumVGPRsForWavesPerEU: 54
; Occupancy: 16
; WaveLimiterHint : 0
; COMPUTE_PGM_RSRC2:SCRATCH_EN: 0
; COMPUTE_PGM_RSRC2:USER_SGPR: 15
; COMPUTE_PGM_RSRC2:TRAP_HANDLER: 0
; COMPUTE_PGM_RSRC2:TGID_X_EN: 1
; COMPUTE_PGM_RSRC2:TGID_Y_EN: 0
; COMPUTE_PGM_RSRC2:TGID_Z_EN: 0
; COMPUTE_PGM_RSRC2:TIDIG_COMP_CNT: 0
	.section	.text._ZN2at6native29vectorized_elementwise_kernelILi2EZZZNS0_12_GLOBAL__N_137scaled_modified_bessel_k1_kernel_cudaERNS_18TensorIteratorBaseEENKUlvE_clEvENKUlvE_clEvEUldE_St5arrayIPcLm2EEEEviT0_T1_,"axG",@progbits,_ZN2at6native29vectorized_elementwise_kernelILi2EZZZNS0_12_GLOBAL__N_137scaled_modified_bessel_k1_kernel_cudaERNS_18TensorIteratorBaseEENKUlvE_clEvENKUlvE_clEvEUldE_St5arrayIPcLm2EEEEviT0_T1_,comdat
	.globl	_ZN2at6native29vectorized_elementwise_kernelILi2EZZZNS0_12_GLOBAL__N_137scaled_modified_bessel_k1_kernel_cudaERNS_18TensorIteratorBaseEENKUlvE_clEvENKUlvE_clEvEUldE_St5arrayIPcLm2EEEEviT0_T1_ ; -- Begin function _ZN2at6native29vectorized_elementwise_kernelILi2EZZZNS0_12_GLOBAL__N_137scaled_modified_bessel_k1_kernel_cudaERNS_18TensorIteratorBaseEENKUlvE_clEvENKUlvE_clEvEUldE_St5arrayIPcLm2EEEEviT0_T1_
	.p2align	8
	.type	_ZN2at6native29vectorized_elementwise_kernelILi2EZZZNS0_12_GLOBAL__N_137scaled_modified_bessel_k1_kernel_cudaERNS_18TensorIteratorBaseEENKUlvE_clEvENKUlvE_clEvEUldE_St5arrayIPcLm2EEEEviT0_T1_,@function
_ZN2at6native29vectorized_elementwise_kernelILi2EZZZNS0_12_GLOBAL__N_137scaled_modified_bessel_k1_kernel_cudaERNS_18TensorIteratorBaseEENKUlvE_clEvENKUlvE_clEvEUldE_St5arrayIPcLm2EEEEviT0_T1_: ; @_ZN2at6native29vectorized_elementwise_kernelILi2EZZZNS0_12_GLOBAL__N_137scaled_modified_bessel_k1_kernel_cudaERNS_18TensorIteratorBaseEENKUlvE_clEvENKUlvE_clEvEUldE_St5arrayIPcLm2EEEEviT0_T1_
; %bb.0:
	s_clause 0x1
	s_load_b32 s2, s[0:1], 0x0
	s_load_b128 s[4:7], s[0:1], 0x8
	s_lshl_b32 s0, s15, 10
	s_mov_b32 s1, -1
	s_mov_b32 s32, 0
	s_waitcnt lgkmcnt(0)
	s_sub_i32 s8, s2, s0
	s_delay_alu instid0(SALU_CYCLE_1)
	s_cmpk_gt_i32 s8, 0x3ff
	s_cbranch_scc1 .LBB5_3
; %bb.1:
	s_and_b32 vcc_lo, exec_lo, s1
	s_cbranch_vccnz .LBB5_52
.LBB5_2:
	s_nop 0
	s_sendmsg sendmsg(MSG_DEALLOC_VGPRS)
	s_endpgm
.LBB5_3:
	s_ashr_i32 s1, s0, 31
	v_lshlrev_b32_e32 v17, 4, v0
	s_lshl_b64 s[2:3], s[0:1], 3
	v_mov_b32_e32 v3, 0
	v_mov_b32_e32 v4, 0x7ff00000
	s_add_u32 s0, s6, s2
	s_addc_u32 s1, s7, s3
	s_mov_b32 s9, exec_lo
	global_load_b128 v[9:12], v17, s[0:1]
	v_add_co_u32 v1, s0, s0, v17
	s_delay_alu instid0(VALU_DEP_1) | instskip(NEXT) | instid1(VALU_DEP_2)
	v_add_co_ci_u32_e64 v2, null, s1, 0, s0
	v_add_co_u32 v1, vcc_lo, 0x1000, v1
	s_delay_alu instid0(VALU_DEP_2)
	v_add_co_ci_u32_e32 v2, vcc_lo, 0, v2, vcc_lo
	global_load_b128 v[5:8], v[1:2], off
	v_dual_mov_b32 v1, v3 :: v_dual_mov_b32 v2, v4
	s_waitcnt vmcnt(1)
	v_cmpx_neq_f64_e32 0, v[9:10]
	s_cbranch_execz .LBB5_15
; %bb.4:
	v_mov_b32_e32 v1, 0
	v_mov_b32_e32 v2, 0x7ff80000
	s_mov_b32 s10, exec_lo
	v_cmpx_ngt_f64_e32 0, v[9:10]
	s_cbranch_execz .LBB5_14
; %bb.5:
	s_mov_b32 s0, exec_lo
	v_cmpx_ge_f64_e32 2.0, v[9:10]
	s_xor_b32 s11, exec_lo, s0
	s_cbranch_execz .LBB5_11
; %bb.6:
	v_mul_f64 v[1:2], v[9:10], 0.5
	s_mov_b32 s0, exec_lo
                                        ; implicit-def: $vgpr15_vgpr16
                                        ; implicit-def: $vgpr13_vgpr14
	v_cmpx_ge_f64_e32 0x40200000, v[9:10]
	s_xor_b32 s0, exec_lo, s0
	s_cbranch_execz .LBB5_8
; %bb.7:
	s_delay_alu instid0(VALU_DEP_2)
	v_add_f64 v[13:14], v[1:2], -2.0
	s_mov_b32 s12, 0xc38a0576
	s_mov_b32 s13, 0xbc7857d0
	;; [unrolled: 1-line block ×4, first 2 shown]
	v_cmp_nlt_f64_e32 vcc_lo, 0x40900000, v[9:10]
	s_delay_alu instid0(VALU_DEP_2) | instskip(SKIP_3) | instid1(VALU_DEP_1)
	v_fma_f64 v[15:16], v[13:14], s[16:17], s[12:13]
	s_mov_b32 s17, 0xbc499f2a
	s_mov_b32 s12, 0xe593bfac
	;; [unrolled: 1-line block ×3, first 2 shown]
	v_fma_f64 v[18:19], v[13:14], v[15:16], s[16:17]
	s_mov_b32 s16, 0x6a5dcb37
	s_mov_b32 s17, 0x3e5ade15
	s_delay_alu instid0(VALU_DEP_1) | instskip(SKIP_2) | instid1(VALU_DEP_1)
	v_add_f64 v[18:19], v[18:19], s[12:13]
	s_mov_b32 s12, 0x7e0d1573
	s_mov_b32 s13, 0xbcd3eaaa
	v_fma_f64 v[15:16], v[13:14], v[18:19], -v[15:16]
	s_delay_alu instid0(VALU_DEP_1) | instskip(SKIP_2) | instid1(VALU_DEP_1)
	v_add_f64 v[15:16], v[15:16], s[12:13]
	s_mov_b32 s12, 0x615290c
	s_mov_b32 s13, 0x3d011d7f
	v_fma_f64 v[18:19], v[13:14], v[15:16], -v[18:19]
	;; [unrolled: 5-line block ×19, first 2 shown]
	s_delay_alu instid0(VALU_DEP_1) | instskip(SKIP_2) | instid1(SALU_CYCLE_1)
	v_add_f64 v[15:16], v[15:16], s[12:13]
	s_mov_b32 s12, 0x652b82fe
	s_mov_b32 s13, 0x3ff71547
	v_mul_f64 v[20:21], v[9:10], s[12:13]
	s_mov_b32 s12, 0x49d3a1b4
	s_mov_b32 s13, 0x3f710653
	s_delay_alu instid0(VALU_DEP_2) | instskip(NEXT) | instid1(VALU_DEP_2)
	v_fma_f64 v[18:19], v[13:14], v[15:16], -v[18:19]
	v_rndne_f64_e32 v[20:21], v[20:21]
	s_delay_alu instid0(VALU_DEP_2)
	v_add_f64 v[18:19], v[18:19], s[12:13]
	s_mov_b32 s12, 0xfefa39ef
	s_mov_b32 s13, 0xbfe62e42
	s_delay_alu instid0(VALU_DEP_2) | instid1(SALU_CYCLE_1)
	v_fma_f64 v[22:23], v[20:21], s[12:13], v[9:10]
	s_mov_b32 s12, 0x7913a26a
	s_mov_b32 s13, 0xbf85a29f
	s_delay_alu instid0(VALU_DEP_2) | instskip(NEXT) | instid1(VALU_DEP_1)
	v_fma_f64 v[15:16], v[13:14], v[18:19], -v[15:16]
	v_add_f64 v[15:16], v[15:16], s[12:13]
	s_mov_b32 s12, 0x3b39803f
	s_mov_b32 s13, 0xbc7abc9e
	s_delay_alu instid0(VALU_DEP_3) | instid1(SALU_CYCLE_1)
	v_fma_f64 v[22:23], v[20:21], s[12:13], v[22:23]
	s_mov_b32 s12, 0xfca7ab0c
	s_mov_b32 s13, 0x3e928af3
	s_delay_alu instid0(VALU_DEP_2) | instskip(NEXT) | instid1(VALU_DEP_2)
	v_fma_f64 v[18:19], v[13:14], v[15:16], -v[18:19]
	v_fma_f64 v[24:25], v[22:23], s[16:17], s[12:13]
	s_mov_b32 s12, 0xe7bb2349
	s_mov_b32 s13, 0x3f9951e3
	s_delay_alu instid0(VALU_DEP_2) | instid1(SALU_CYCLE_1)
	v_add_f64 v[18:19], v[18:19], s[12:13]
	s_mov_b32 s12, 0x623fde64
	s_mov_b32 s13, 0x3ec71dee
	s_delay_alu instid0(VALU_DEP_2) | instid1(SALU_CYCLE_1)
	v_fma_f64 v[24:25], v[22:23], v[24:25], s[12:13]
	s_mov_b32 s12, 0x7c89e6b0
	s_mov_b32 s13, 0x3efa0199
	s_delay_alu instid0(VALU_DEP_2) | instskip(NEXT) | instid1(VALU_DEP_2)
	v_fma_f64 v[15:16], v[13:14], v[18:19], -v[15:16]
	v_fma_f64 v[24:25], v[22:23], v[24:25], s[12:13]
	s_mov_b32 s12, 0x537c9ebc
	s_mov_b32 s13, 0xbfab1bbc
	s_delay_alu instid0(VALU_DEP_2) | instid1(SALU_CYCLE_1)
	v_add_f64 v[15:16], v[15:16], s[12:13]
	s_mov_b32 s12, 0x14761f6e
	s_mov_b32 s13, 0x3f2a01a0
	s_delay_alu instid0(VALU_DEP_2) | instid1(SALU_CYCLE_1)
	;; [unrolled: 13-line block ×4, first 2 shown]
	v_fma_f64 v[24:25], v[22:23], v[24:25], s[12:13]
	s_mov_b32 s12, 11
	s_mov_b32 s13, 0x3fe00000
	s_delay_alu instid0(VALU_DEP_2) | instskip(NEXT) | instid1(VALU_DEP_2)
	v_fma_f64 v[13:14], v[13:14], v[15:16], -v[18:19]
	v_fma_f64 v[15:16], v[22:23], v[24:25], s[12:13]
	s_mov_b32 s12, 0x724a7ffa
	s_mov_b32 s13, 0x3fd02a63
	s_delay_alu instid0(VALU_DEP_2) | instid1(SALU_CYCLE_1)
	v_add_f64 v[13:14], v[13:14], s[12:13]
	s_delay_alu instid0(VALU_DEP_2) | instskip(NEXT) | instid1(VALU_DEP_2)
	v_fma_f64 v[15:16], v[22:23], v[15:16], 1.0
	v_add_f64 v[13:14], v[13:14], -v[18:19]
	v_cvt_i32_f64_e32 v18, v[20:21]
	s_delay_alu instid0(VALU_DEP_3) | instskip(NEXT) | instid1(VALU_DEP_3)
	v_fma_f64 v[15:16], v[22:23], v[15:16], 1.0
	v_mul_f64 v[13:14], v[13:14], 0.5
	s_delay_alu instid0(VALU_DEP_2) | instskip(NEXT) | instid1(VALU_DEP_2)
	v_ldexp_f64 v[15:16], v[15:16], v18
	v_mul_f64 v[18:19], v[9:10], v[13:14]
	s_delay_alu instid0(VALU_DEP_2) | instskip(NEXT) | instid1(VALU_DEP_3)
	v_cndmask_b32_e32 v14, 0x7ff00000, v16, vcc_lo
	v_cndmask_b32_e32 v13, 0, v15, vcc_lo
	s_delay_alu instid0(VALU_DEP_1)
	v_mul_f64 v[15:16], v[13:14], v[18:19]
.LBB5_8:
	s_and_not1_saveexec_b32 s1, s0
	s_cbranch_execz .LBB5_10
; %bb.9:
	v_div_scale_f64 v[13:14], null, v[9:10], v[9:10], 0x40400000
	v_div_scale_f64 v[20:21], vcc_lo, 0x40400000, v[9:10], 0x40400000
	s_mov_b32 s12, 0xea87b950
	s_mov_b32 s13, 0x3c545b8a
	;; [unrolled: 1-line block ×4, first 2 shown]
	v_cmp_nlt_f64_e64 s0, 0x40900000, v[9:10]
	s_delay_alu instid0(VALU_DEP_3) | instskip(SKIP_2) | instid1(VALU_DEP_1)
	v_rcp_f64_e32 v[15:16], v[13:14]
	s_waitcnt_depctr 0xfff
	v_fma_f64 v[18:19], -v[13:14], v[15:16], 1.0
	v_fma_f64 v[15:16], v[15:16], v[18:19], v[15:16]
	s_delay_alu instid0(VALU_DEP_1) | instskip(NEXT) | instid1(VALU_DEP_1)
	v_fma_f64 v[18:19], -v[13:14], v[15:16], 1.0
	v_fma_f64 v[15:16], v[15:16], v[18:19], v[15:16]
	s_delay_alu instid0(VALU_DEP_1) | instskip(NEXT) | instid1(VALU_DEP_1)
	v_mul_f64 v[18:19], v[20:21], v[15:16]
	v_fma_f64 v[13:14], -v[13:14], v[18:19], v[20:21]
	s_delay_alu instid0(VALU_DEP_1) | instskip(SKIP_1) | instid1(VALU_DEP_2)
	v_div_fmas_f64 v[13:14], v[13:14], v[15:16], v[18:19]
	v_cmp_gt_f64_e32 vcc_lo, 0x10000000, v[9:10]
	v_div_fixup_f64 v[13:14], v[13:14], v[9:10], 0x40400000
	v_cndmask_b32_e64 v26, 0, 1, vcc_lo
	s_delay_alu instid0(VALU_DEP_1) | instskip(NEXT) | instid1(VALU_DEP_1)
	v_lshlrev_b32_e32 v26, 8, v26
	v_ldexp_f64 v[26:27], v[9:10], v26
	s_delay_alu instid0(VALU_DEP_4) | instskip(NEXT) | instid1(VALU_DEP_2)
	v_add_f64 v[13:14], v[13:14], -2.0
	v_rsq_f64_e32 v[28:29], v[26:27]
	s_delay_alu instid0(VALU_DEP_1)
	v_fma_f64 v[15:16], v[13:14], s[16:17], s[12:13]
	s_mov_b32 s17, 0xbc61556d
	s_mov_b32 s12, 0xb2532277
	;; [unrolled: 1-line block ×3, first 2 shown]
	s_waitcnt_depctr 0xfff
	v_mul_f64 v[30:31], v[26:27], v[28:29]
	v_mul_f64 v[28:29], v[28:29], 0.5
	v_fma_f64 v[18:19], v[13:14], v[15:16], s[16:17]
	s_mov_b32 s16, 0x6a5dcb37
	s_mov_b32 s17, 0x3e5ade15
	s_delay_alu instid0(VALU_DEP_2) | instskip(NEXT) | instid1(VALU_DEP_2)
	v_fma_f64 v[32:33], -v[28:29], v[30:31], 0.5
	v_add_f64 v[18:19], v[18:19], s[12:13]
	s_mov_b32 s12, 0x9c773320
	s_mov_b32 s13, 0xbc82806c
	s_delay_alu instid0(VALU_DEP_2) | instskip(SKIP_1) | instid1(VALU_DEP_3)
	v_fma_f64 v[30:31], v[30:31], v[32:33], v[30:31]
	v_fma_f64 v[28:29], v[28:29], v[32:33], v[28:29]
	v_fma_f64 v[15:16], v[13:14], v[18:19], -v[15:16]
	s_delay_alu instid0(VALU_DEP_3) | instskip(NEXT) | instid1(VALU_DEP_2)
	v_fma_f64 v[32:33], -v[30:31], v[30:31], v[26:27]
	v_add_f64 v[15:16], v[15:16], s[12:13]
	s_mov_b32 s12, 0xfceb588a
	s_mov_b32 s13, 0x3cb55915
	s_delay_alu instid0(VALU_DEP_1) | instskip(NEXT) | instid1(VALU_DEP_1)
	v_fma_f64 v[18:19], v[13:14], v[15:16], -v[18:19]
	v_add_f64 v[18:19], v[18:19], s[12:13]
	s_mov_b32 s12, 0x5f04a2d1
	s_mov_b32 s13, 0x3cb7d68e
	s_delay_alu instid0(VALU_DEP_1) | instskip(NEXT) | instid1(VALU_DEP_1)
	v_fma_f64 v[15:16], v[13:14], v[18:19], -v[15:16]
	;; [unrolled: 5-line block ×14, first 2 shown]
	v_add_f64 v[15:16], v[15:16], s[12:13]
	s_mov_b32 s12, 0x652b82fe
	s_mov_b32 s13, 0x3ff71547
	s_delay_alu instid0(SALU_CYCLE_1) | instskip(SKIP_2) | instid1(VALU_DEP_2)
	v_mul_f64 v[20:21], v[9:10], s[12:13]
	s_mov_b32 s12, 0x9ad53528
	s_mov_b32 s13, 0xbe30790b
	v_fma_f64 v[18:19], v[13:14], v[15:16], -v[18:19]
	s_delay_alu instid0(VALU_DEP_2) | instskip(NEXT) | instid1(VALU_DEP_2)
	v_rndne_f64_e32 v[20:21], v[20:21]
	v_add_f64 v[18:19], v[18:19], s[12:13]
	s_mov_b32 s12, 0xfefa39ef
	s_mov_b32 s13, 0xbfe62e42
	s_delay_alu instid0(VALU_DEP_2) | instid1(SALU_CYCLE_1)
	v_fma_f64 v[22:23], v[20:21], s[12:13], v[9:10]
	s_mov_b32 s12, 0x3b39803f
	s_mov_b32 s13, 0xbc7abc9e
	s_delay_alu instid0(VALU_DEP_2) | instskip(NEXT) | instid1(VALU_DEP_2)
	v_fma_f64 v[15:16], v[13:14], v[18:19], -v[15:16]
	v_fma_f64 v[22:23], v[20:21], s[12:13], v[22:23]
	s_mov_b32 s12, 0x94bb46c1
	s_mov_b32 s13, 0xbe5c4153
	s_delay_alu instid0(VALU_DEP_2) | instid1(SALU_CYCLE_1)
	v_add_f64 v[15:16], v[15:16], s[12:13]
	s_mov_b32 s12, 0xfca7ab0c
	s_mov_b32 s13, 0x3e928af3
	s_delay_alu instid0(VALU_DEP_2) | instid1(SALU_CYCLE_1)
	v_fma_f64 v[24:25], v[22:23], s[16:17], s[12:13]
	s_mov_b32 s12, 0x623fde64
	s_mov_b32 s13, 0x3ec71dee
	s_delay_alu instid0(VALU_DEP_2) | instskip(NEXT) | instid1(VALU_DEP_2)
	v_fma_f64 v[18:19], v[13:14], v[15:16], -v[18:19]
	v_fma_f64 v[24:25], v[22:23], v[24:25], s[12:13]
	s_mov_b32 s12, 0x2e9e5443
	s_mov_b32 s13, 0xbe90dbfd
	s_delay_alu instid0(VALU_DEP_2) | instid1(SALU_CYCLE_1)
	;; [unrolled: 13-line block ×5, first 2 shown]
	v_add_f64 v[15:16], v[15:16], s[12:13]
	s_mov_b32 s12, 11
	s_mov_b32 s13, 0x3fe00000
	s_delay_alu instid0(VALU_DEP_2) | instid1(SALU_CYCLE_1)
	v_fma_f64 v[24:25], v[22:23], v[24:25], s[12:13]
	s_mov_b32 s12, 0xb55b1514
	s_mov_b32 s13, 0x3fe8ea18
	s_delay_alu instid0(VALU_DEP_2) | instskip(SKIP_2) | instid1(VALU_DEP_4)
	v_fma_f64 v[13:14], v[13:14], v[15:16], -v[18:19]
	v_fma_f64 v[15:16], v[32:33], v[28:29], v[30:31]
	v_cvt_i32_f64_e32 v30, v[20:21]
	v_fma_f64 v[24:25], v[22:23], v[24:25], 1.0
	s_delay_alu instid0(VALU_DEP_4) | instskip(NEXT) | instid1(VALU_DEP_4)
	v_add_f64 v[13:14], v[13:14], s[12:13]
	v_fma_f64 v[20:21], -v[15:16], v[15:16], v[26:27]
	s_delay_alu instid0(VALU_DEP_3) | instskip(NEXT) | instid1(VALU_DEP_3)
	v_fma_f64 v[22:23], v[22:23], v[24:25], 1.0
	v_add_f64 v[13:14], v[13:14], -v[18:19]
	s_delay_alu instid0(VALU_DEP_3) | instskip(NEXT) | instid1(VALU_DEP_3)
	v_fma_f64 v[15:16], v[20:21], v[28:29], v[15:16]
	v_ldexp_f64 v[18:19], v[22:23], v30
	s_delay_alu instid0(VALU_DEP_3) | instskip(SKIP_2) | instid1(VALU_DEP_4)
	v_mul_f64 v[20:21], v[13:14], 0.5
	v_cndmask_b32_e64 v13, 0, 0xffffff80, vcc_lo
	v_cmp_class_f64_e64 vcc_lo, v[26:27], 0x260
	v_cndmask_b32_e64 v14, 0x7ff00000, v19, s0
	s_delay_alu instid0(VALU_DEP_3) | instskip(SKIP_1) | instid1(VALU_DEP_1)
	v_ldexp_f64 v[15:16], v[15:16], v13
	v_cndmask_b32_e64 v13, 0, v18, s0
	v_mul_f64 v[18:19], v[13:14], v[20:21]
	s_delay_alu instid0(VALU_DEP_3) | instskip(NEXT) | instid1(VALU_DEP_1)
	v_dual_cndmask_b32 v16, v16, v27 :: v_dual_cndmask_b32 v15, v15, v26
	v_div_scale_f64 v[20:21], null, v[15:16], v[15:16], v[18:19]
	s_delay_alu instid0(VALU_DEP_1) | instskip(SKIP_2) | instid1(VALU_DEP_1)
	v_rcp_f64_e32 v[22:23], v[20:21]
	s_waitcnt_depctr 0xfff
	v_fma_f64 v[24:25], -v[20:21], v[22:23], 1.0
	v_fma_f64 v[22:23], v[22:23], v[24:25], v[22:23]
	s_delay_alu instid0(VALU_DEP_1) | instskip(NEXT) | instid1(VALU_DEP_1)
	v_fma_f64 v[24:25], -v[20:21], v[22:23], 1.0
	v_fma_f64 v[22:23], v[22:23], v[24:25], v[22:23]
	v_div_scale_f64 v[24:25], vcc_lo, v[18:19], v[15:16], v[18:19]
	s_delay_alu instid0(VALU_DEP_1) | instskip(NEXT) | instid1(VALU_DEP_1)
	v_mul_f64 v[26:27], v[24:25], v[22:23]
	v_fma_f64 v[20:21], -v[20:21], v[26:27], v[24:25]
	s_delay_alu instid0(VALU_DEP_1) | instskip(NEXT) | instid1(VALU_DEP_1)
	v_div_fmas_f64 v[20:21], v[20:21], v[22:23], v[26:27]
	v_div_fixup_f64 v[15:16], v[20:21], v[15:16], v[18:19]
.LBB5_10:
	s_or_b32 exec_lo, exec_lo, s1
	s_delay_alu instid0(VALU_DEP_2)
	v_frexp_mant_f64_e32 v[18:19], v[1:2]
	s_mov_b32 s1, 0x3fe55555
	s_mov_b32 s0, 0x55555555
	v_mov_b32_e32 v20, 0
	v_fma_f64 v[32:33], v[9:10], v[9:10], -2.0
	s_mov_b32 s12, 0x7a0399e0
	s_mov_b32 s13, 0xbce5dd51
	;; [unrolled: 1-line block ×4, first 2 shown]
	v_frexp_exp_i32_f64_e32 v36, v[1:2]
	s_delay_alu instid0(VALU_DEP_4) | instskip(SKIP_1) | instid1(VALU_DEP_3)
	v_cmp_gt_f64_e32 vcc_lo, s[0:1], v[18:19]
	s_mov_b32 s0, 0x55555780
	v_fma_f64 v[34:35], v[32:33], s[16:17], s[12:13]
	s_mov_b32 s17, 0x3c603228
	s_mov_b32 s12, 0xddd0e045
	s_mov_b32 s13, 0xbd677502
	v_cndmask_b32_e64 v21, 0x3ff00000, 2.0, vcc_lo
	s_delay_alu instid0(VALU_DEP_1) | instskip(NEXT) | instid1(VALU_DEP_1)
	v_mul_f64 v[18:19], v[18:19], v[20:21]
	v_add_f64 v[20:21], v[18:19], 1.0
	v_add_f64 v[26:27], v[18:19], -1.0
	s_delay_alu instid0(VALU_DEP_2) | instskip(SKIP_1) | instid1(VALU_DEP_1)
	v_rcp_f64_e32 v[22:23], v[20:21]
	v_add_f64 v[28:29], v[20:21], -1.0
	v_add_f64 v[18:19], v[18:19], -v[28:29]
	s_waitcnt_depctr 0xfff
	v_fma_f64 v[24:25], -v[20:21], v[22:23], 1.0
	s_delay_alu instid0(VALU_DEP_1) | instskip(NEXT) | instid1(VALU_DEP_1)
	v_fma_f64 v[22:23], v[24:25], v[22:23], v[22:23]
	v_fma_f64 v[24:25], -v[20:21], v[22:23], 1.0
	s_delay_alu instid0(VALU_DEP_1) | instskip(NEXT) | instid1(VALU_DEP_1)
	v_fma_f64 v[22:23], v[24:25], v[22:23], v[22:23]
	v_mul_f64 v[24:25], v[26:27], v[22:23]
	s_delay_alu instid0(VALU_DEP_1) | instskip(NEXT) | instid1(VALU_DEP_1)
	v_mul_f64 v[30:31], v[20:21], v[24:25]
	v_fma_f64 v[20:21], v[24:25], v[20:21], -v[30:31]
	s_delay_alu instid0(VALU_DEP_1) | instskip(NEXT) | instid1(VALU_DEP_1)
	v_fma_f64 v[18:19], v[24:25], v[18:19], v[20:21]
	v_add_f64 v[20:21], v[30:31], v[18:19]
	s_delay_alu instid0(VALU_DEP_1) | instskip(SKIP_1) | instid1(VALU_DEP_2)
	v_add_f64 v[28:29], v[26:27], -v[20:21]
	v_add_f64 v[30:31], v[20:21], -v[30:31]
	;; [unrolled: 1-line block ×3, first 2 shown]
	s_delay_alu instid0(VALU_DEP_2) | instskip(NEXT) | instid1(VALU_DEP_2)
	v_add_f64 v[18:19], v[30:31], -v[18:19]
	v_add_f64 v[20:21], v[26:27], -v[20:21]
	v_fma_f64 v[26:27], v[32:33], v[34:35], s[16:17]
	s_mov_b32 s16, 0xbf559e2b
	s_mov_b32 s17, 0x3fc3ab76
	s_delay_alu instid0(VALU_DEP_2) | instskip(NEXT) | instid1(VALU_DEP_2)
	v_add_f64 v[18:19], v[18:19], v[20:21]
	v_add_f64 v[20:21], v[26:27], s[12:13]
	s_mov_b32 s12, 0xb84626ca
	s_mov_b32 s13, 0xbde3663b
	s_delay_alu instid0(VALU_DEP_2) | instskip(NEXT) | instid1(VALU_DEP_2)
	v_add_f64 v[18:19], v[28:29], v[18:19]
	v_fma_f64 v[26:27], v[32:33], v[20:21], -v[34:35]
	s_delay_alu instid0(VALU_DEP_2) | instskip(NEXT) | instid1(VALU_DEP_2)
	v_mul_f64 v[18:19], v[22:23], v[18:19]
	v_add_f64 v[22:23], v[26:27], s[12:13]
	s_mov_b32 s12, 0x145c31d0
	s_mov_b32 s13, 0xbe57c41d
	s_delay_alu instid0(VALU_DEP_2) | instskip(NEXT) | instid1(VALU_DEP_2)
	v_add_f64 v[26:27], v[24:25], v[18:19]
	v_fma_f64 v[20:21], v[32:33], v[22:23], -v[20:21]
	s_delay_alu instid0(VALU_DEP_2) | instskip(NEXT) | instid1(VALU_DEP_2)
	v_mul_f64 v[28:29], v[26:27], v[26:27]
	v_add_f64 v[20:21], v[20:21], s[12:13]
	s_mov_b32 s12, 0x6b47b09a
	s_mov_b32 s13, 0x3fc38538
	v_add_f64 v[24:25], v[26:27], -v[24:25]
	s_delay_alu instid0(VALU_DEP_3) | instskip(NEXT) | instid1(VALU_DEP_3)
	v_fma_f64 v[30:31], v[28:29], s[16:17], s[12:13]
	v_fma_f64 v[22:23], v[32:33], v[20:21], -v[22:23]
	s_mov_b32 s12, 0xd7f4df2e
	s_mov_b32 s13, 0x3fc7474d
	v_mul_f64 v[34:35], v[26:27], v[28:29]
	s_delay_alu instid0(VALU_DEP_4) | instskip(NEXT) | instid1(VALU_DEP_4)
	v_add_f64 v[18:19], v[18:19], -v[24:25]
	v_fma_f64 v[30:31], v[28:29], v[30:31], s[12:13]
	s_mov_b32 s12, 0x2c832e3a
	s_mov_b32 s13, 0xbec469b3
	s_delay_alu instid0(VALU_DEP_4) | instid1(SALU_CYCLE_1)
	v_add_f64 v[22:23], v[22:23], s[12:13]
	s_mov_b32 s12, 0x16291751
	s_mov_b32 s13, 0x3fcc71c0
	s_delay_alu instid0(VALU_DEP_3) | instskip(NEXT) | instid1(VALU_DEP_3)
	v_ldexp_f64 v[18:19], v[18:19], 1
	v_fma_f64 v[30:31], v[28:29], v[30:31], s[12:13]
	s_mov_b32 s12, 0x9b27acf1
	s_mov_b32 s13, 0x3fd24924
	s_delay_alu instid0(VALU_DEP_3) | instskip(NEXT) | instid1(VALU_DEP_2)
	v_fma_f64 v[20:21], v[32:33], v[22:23], -v[20:21]
	v_fma_f64 v[30:31], v[28:29], v[30:31], s[12:13]
	s_mov_b32 s12, 0xe5a3bd02
	s_mov_b32 s13, 0xbf26ade2
	s_delay_alu instid0(VALU_DEP_2) | instid1(SALU_CYCLE_1)
	v_add_f64 v[20:21], v[20:21], s[12:13]
	s_mov_b32 s12, 0x998ef7b6
	s_mov_b32 s13, 0x3fd99999
	s_delay_alu instid0(VALU_DEP_2) | instid1(SALU_CYCLE_1)
	v_fma_f64 v[30:31], v[28:29], v[30:31], s[12:13]
	s_delay_alu instid0(VALU_DEP_2) | instskip(NEXT) | instid1(VALU_DEP_2)
	v_fma_f64 v[22:23], v[32:33], v[20:21], -v[22:23]
	v_fma_f64 v[28:29], v[28:29], v[30:31], s[0:1]
	s_mov_b32 s0, 0x9d7d4192
	s_mov_b32 s1, 0xbf7c9293
	v_ldexp_f64 v[30:31], v[26:27], 1
	s_delay_alu instid0(VALU_DEP_3) | instskip(SKIP_2) | instid1(VALU_DEP_3)
	v_add_f64 v[22:23], v[22:23], s[0:1]
	s_mov_b32 s0, 0x43c1db74
	s_mov_b32 s1, 0xbfbf6372
	v_mul_f64 v[28:29], v[34:35], v[28:29]
	v_subrev_co_ci_u32_e32 v34, vcc_lo, 0, v36, vcc_lo
	s_delay_alu instid0(VALU_DEP_3) | instskip(NEXT) | instid1(VALU_DEP_2)
	v_fma_f64 v[20:21], v[32:33], v[22:23], -v[20:21]
	v_cvt_f64_i32_e32 v[34:35], v34
	s_delay_alu instid0(VALU_DEP_4) | instskip(NEXT) | instid1(VALU_DEP_3)
	v_add_f64 v[26:27], v[30:31], v[28:29]
	v_add_f64 v[20:21], v[20:21], s[0:1]
	s_mov_b32 s0, 0xfefa39ef
	s_mov_b32 s1, 0x3fe62e42
	s_delay_alu instid0(VALU_DEP_3) | instid1(SALU_CYCLE_1)
	v_mul_f64 v[36:37], v[34:35], s[0:1]
	s_delay_alu instid0(VALU_DEP_3) | instskip(NEXT) | instid1(VALU_DEP_3)
	v_add_f64 v[24:25], v[26:27], -v[30:31]
	v_fma_f64 v[22:23], v[32:33], v[20:21], -v[22:23]
	s_delay_alu instid0(VALU_DEP_3) | instskip(SKIP_2) | instid1(VALU_DEP_3)
	v_fma_f64 v[30:31], v[34:35], s[0:1], -v[36:37]
	s_mov_b32 s0, 0x757b0dd4
	s_mov_b32 s1, 0xbfd69a1b
	v_add_f64 v[24:25], v[28:29], -v[24:25]
	s_delay_alu instid0(VALU_DEP_3)
	v_add_f64 v[22:23], v[22:23], s[0:1]
	s_mov_b32 s0, 0x3b39803f
	s_mov_b32 s1, 0x3c7abc9e
	s_delay_alu instid0(VALU_DEP_3) | instid1(SALU_CYCLE_1)
	v_fma_f64 v[28:29], v[34:35], s[0:1], v[30:31]
	s_mov_b32 s0, 0x361008ca
	s_mov_b32 s1, 0x3ff867a1
	s_delay_alu instid0(VALU_DEP_3) | instskip(NEXT) | instid1(VALU_DEP_3)
	v_add_f64 v[18:19], v[18:19], v[24:25]
	v_fma_f64 v[22:23], v[32:33], v[22:23], -v[20:21]
	s_delay_alu instid0(VALU_DEP_3) | instskip(NEXT) | instid1(VALU_DEP_3)
	v_add_f64 v[24:25], v[36:37], v[28:29]
	v_add_f64 v[30:31], v[26:27], v[18:19]
	s_delay_alu instid0(VALU_DEP_3) | instskip(SKIP_1) | instid1(VALU_DEP_4)
	v_add_f64 v[22:23], v[22:23], s[0:1]
	v_cmp_eq_f64_e64 s0, 0x7ff00000, v[1:2]
	v_add_f64 v[34:35], v[24:25], -v[36:37]
	s_delay_alu instid0(VALU_DEP_4) | instskip(SKIP_2) | instid1(VALU_DEP_4)
	v_add_f64 v[32:33], v[24:25], v[30:31]
	v_add_f64 v[26:27], v[30:31], -v[26:27]
	v_add_f64 v[20:21], v[22:23], -v[20:21]
	;; [unrolled: 1-line block ×3, first 2 shown]
	s_delay_alu instid0(VALU_DEP_4) | instskip(NEXT) | instid1(VALU_DEP_4)
	v_add_f64 v[22:23], v[32:33], -v[24:25]
	v_add_f64 v[18:19], v[18:19], -v[26:27]
	s_delay_alu instid0(VALU_DEP_4) | instskip(NEXT) | instid1(VALU_DEP_3)
	v_mul_f64 v[20:21], v[20:21], 0.5
	v_add_f64 v[36:37], v[32:33], -v[22:23]
	v_add_f64 v[22:23], v[30:31], -v[22:23]
	s_delay_alu instid0(VALU_DEP_4) | instskip(NEXT) | instid1(VALU_DEP_4)
	v_add_f64 v[30:31], v[28:29], v[18:19]
	v_div_scale_f64 v[38:39], null, v[9:10], v[9:10], v[20:21]
	s_delay_alu instid0(VALU_DEP_4) | instskip(NEXT) | instid1(VALU_DEP_3)
	v_add_f64 v[24:25], v[24:25], -v[36:37]
	v_add_f64 v[34:35], v[30:31], -v[28:29]
	s_delay_alu instid0(VALU_DEP_3) | instskip(NEXT) | instid1(VALU_DEP_2)
	v_rcp_f64_e32 v[26:27], v[38:39]
	v_add_f64 v[22:23], v[22:23], v[24:25]
	s_delay_alu instid0(VALU_DEP_2) | instskip(SKIP_3) | instid1(VALU_DEP_2)
	v_add_f64 v[18:19], v[18:19], -v[34:35]
	s_waitcnt_depctr 0xfff
	v_fma_f64 v[24:25], -v[38:39], v[26:27], 1.0
	v_add_f64 v[22:23], v[30:31], v[22:23]
	v_fma_f64 v[24:25], v[26:27], v[24:25], v[26:27]
	v_add_f64 v[26:27], v[30:31], -v[34:35]
	s_delay_alu instid0(VALU_DEP_3) | instskip(NEXT) | instid1(VALU_DEP_3)
	v_add_f64 v[30:31], v[32:33], v[22:23]
	v_fma_f64 v[36:37], -v[38:39], v[24:25], 1.0
	s_delay_alu instid0(VALU_DEP_3) | instskip(NEXT) | instid1(VALU_DEP_3)
	v_add_f64 v[26:27], v[28:29], -v[26:27]
	v_add_f64 v[28:29], v[30:31], -v[32:33]
	v_div_scale_f64 v[32:33], vcc_lo, v[20:21], v[9:10], v[20:21]
	s_delay_alu instid0(VALU_DEP_4) | instskip(NEXT) | instid1(VALU_DEP_4)
	v_fma_f64 v[24:25], v[24:25], v[36:37], v[24:25]
	v_add_f64 v[18:19], v[18:19], v[26:27]
	s_delay_alu instid0(VALU_DEP_4) | instskip(NEXT) | instid1(VALU_DEP_3)
	v_add_f64 v[22:23], v[22:23], -v[28:29]
	v_mul_f64 v[26:27], v[32:33], v[24:25]
	s_delay_alu instid0(VALU_DEP_2) | instskip(NEXT) | instid1(VALU_DEP_2)
	v_add_f64 v[18:19], v[18:19], v[22:23]
	v_fma_f64 v[22:23], -v[38:39], v[26:27], v[32:33]
	s_delay_alu instid0(VALU_DEP_2) | instskip(NEXT) | instid1(VALU_DEP_2)
	v_add_f64 v[18:19], v[30:31], v[18:19]
	v_div_fmas_f64 v[22:23], v[22:23], v[24:25], v[26:27]
	v_cmp_neq_f64_e32 vcc_lo, 0, v[1:2]
	s_delay_alu instid0(VALU_DEP_3) | instskip(NEXT) | instid1(VALU_DEP_4)
	v_cndmask_b32_e64 v18, v18, v1, s0
	v_cndmask_b32_e64 v19, v19, v2, s0
	s_delay_alu instid0(VALU_DEP_4) | instskip(NEXT) | instid1(VALU_DEP_3)
	v_div_fixup_f64 v[1:2], v[22:23], v[9:10], v[20:21]
	v_cndmask_b32_e32 v9, 0, v18, vcc_lo
	s_delay_alu instid0(VALU_DEP_3) | instskip(NEXT) | instid1(VALU_DEP_1)
	v_cndmask_b32_e32 v10, 0xfff00000, v19, vcc_lo
	v_fma_f64 v[1:2], v[9:10], v[15:16], v[1:2]
	s_delay_alu instid0(VALU_DEP_1)
	v_mul_f64 v[1:2], v[13:14], v[1:2]
.LBB5_11:
	s_and_not1_saveexec_b32 s0, s11
	s_cbranch_execz .LBB5_13
; %bb.12:
	v_div_scale_f64 v[1:2], null, v[9:10], v[9:10], 0x40200000
	v_div_scale_f64 v[18:19], vcc_lo, 0x40200000, v[9:10], 0x40200000
	s_mov_b32 s12, 0x838f5ed3
	s_mov_b32 s13, 0x3c74af1a
	;; [unrolled: 1-line block ×4, first 2 shown]
	s_delay_alu instid0(VALU_DEP_2) | instskip(SKIP_2) | instid1(VALU_DEP_1)
	v_rcp_f64_e32 v[13:14], v[1:2]
	s_waitcnt_depctr 0xfff
	v_fma_f64 v[15:16], -v[1:2], v[13:14], 1.0
	v_fma_f64 v[13:14], v[13:14], v[15:16], v[13:14]
	s_delay_alu instid0(VALU_DEP_1) | instskip(NEXT) | instid1(VALU_DEP_1)
	v_fma_f64 v[15:16], -v[1:2], v[13:14], 1.0
	v_fma_f64 v[13:14], v[13:14], v[15:16], v[13:14]
	s_delay_alu instid0(VALU_DEP_1) | instskip(NEXT) | instid1(VALU_DEP_1)
	v_mul_f64 v[15:16], v[18:19], v[13:14]
	v_fma_f64 v[1:2], -v[1:2], v[15:16], v[18:19]
	s_delay_alu instid0(VALU_DEP_1) | instskip(SKIP_1) | instid1(VALU_DEP_2)
	v_div_fmas_f64 v[1:2], v[1:2], v[13:14], v[15:16]
	v_cmp_gt_f64_e32 vcc_lo, 0x10000000, v[9:10]
	v_div_fixup_f64 v[1:2], v[1:2], v[9:10], 0x40200000
	v_cndmask_b32_e64 v18, 0, 1, vcc_lo
	s_delay_alu instid0(VALU_DEP_1) | instskip(NEXT) | instid1(VALU_DEP_1)
	v_lshlrev_b32_e32 v18, 8, v18
	v_ldexp_f64 v[9:10], v[9:10], v18
	s_delay_alu instid0(VALU_DEP_4) | instskip(NEXT) | instid1(VALU_DEP_2)
	v_add_f64 v[1:2], v[1:2], -2.0
	v_rsq_f64_e32 v[18:19], v[9:10]
	s_delay_alu instid0(VALU_DEP_1)
	v_fma_f64 v[13:14], v[1:2], s[16:17], s[12:13]
	s_mov_b32 s17, 0x3c5a8c5d
	s_mov_b32 s12, 0x17771d52
	;; [unrolled: 1-line block ×3, first 2 shown]
	s_waitcnt_depctr 0xfff
	v_mul_f64 v[20:21], v[9:10], v[18:19]
	v_mul_f64 v[18:19], v[18:19], 0.5
	v_fma_f64 v[15:16], v[1:2], v[13:14], s[16:17]
	s_delay_alu instid0(VALU_DEP_2) | instskip(NEXT) | instid1(VALU_DEP_2)
	v_fma_f64 v[22:23], -v[18:19], v[20:21], 0.5
	v_add_f64 v[15:16], v[15:16], s[12:13]
	s_mov_b32 s12, 0x44ee2c0b
	s_mov_b32 s13, 0x3caa7d5e
	s_delay_alu instid0(VALU_DEP_2) | instskip(SKIP_1) | instid1(VALU_DEP_3)
	v_fma_f64 v[20:21], v[20:21], v[22:23], v[20:21]
	v_fma_f64 v[18:19], v[18:19], v[22:23], v[18:19]
	v_fma_f64 v[13:14], v[1:2], v[15:16], -v[13:14]
	s_delay_alu instid0(VALU_DEP_3) | instskip(NEXT) | instid1(VALU_DEP_2)
	v_fma_f64 v[22:23], -v[20:21], v[20:21], v[9:10]
	v_add_f64 v[13:14], v[13:14], s[12:13]
	s_mov_b32 s12, 0xd8758ef2
	s_mov_b32 s13, 0xbcc5d2a3
	s_delay_alu instid0(VALU_DEP_2) | instskip(NEXT) | instid1(VALU_DEP_2)
	v_fma_f64 v[20:21], v[22:23], v[18:19], v[20:21]
	v_fma_f64 v[15:16], v[1:2], v[13:14], -v[15:16]
	s_delay_alu instid0(VALU_DEP_1) | instskip(SKIP_2) | instid1(VALU_DEP_1)
	v_add_f64 v[15:16], v[15:16], s[12:13]
	s_mov_b32 s12, 0xefee81bd
	s_mov_b32 s13, 0x3ce25ced
	v_fma_f64 v[13:14], v[1:2], v[15:16], -v[13:14]
	s_delay_alu instid0(VALU_DEP_1) | instskip(SKIP_2) | instid1(VALU_DEP_1)
	v_add_f64 v[13:14], v[13:14], s[12:13]
	s_mov_b32 s12, 0x364185ab
	s_mov_b32 s13, 0xbcff9d52
	;; [unrolled: 5-line block ×20, first 2 shown]
	v_fma_f64 v[1:2], v[1:2], v[13:14], -v[15:16]
	v_fma_f64 v[13:14], -v[20:21], v[20:21], v[9:10]
	s_delay_alu instid0(VALU_DEP_2) | instskip(NEXT) | instid1(VALU_DEP_2)
	v_add_f64 v[1:2], v[1:2], s[12:13]
	v_fma_f64 v[13:14], v[13:14], v[18:19], v[20:21]
	s_delay_alu instid0(VALU_DEP_2) | instskip(SKIP_2) | instid1(VALU_DEP_2)
	v_add_f64 v[1:2], v[1:2], -v[15:16]
	v_cndmask_b32_e64 v15, 0, 0xffffff80, vcc_lo
	v_cmp_class_f64_e64 vcc_lo, v[9:10], 0x260
	v_ldexp_f64 v[13:14], v[13:14], v15
	s_delay_alu instid0(VALU_DEP_4) | instskip(NEXT) | instid1(VALU_DEP_2)
	v_mul_f64 v[1:2], v[1:2], 0.5
	v_dual_cndmask_b32 v9, v13, v9 :: v_dual_cndmask_b32 v10, v14, v10
	s_delay_alu instid0(VALU_DEP_1) | instskip(NEXT) | instid1(VALU_DEP_1)
	v_div_scale_f64 v[13:14], null, v[9:10], v[9:10], v[1:2]
	v_rcp_f64_e32 v[15:16], v[13:14]
	s_waitcnt_depctr 0xfff
	v_fma_f64 v[18:19], -v[13:14], v[15:16], 1.0
	s_delay_alu instid0(VALU_DEP_1) | instskip(NEXT) | instid1(VALU_DEP_1)
	v_fma_f64 v[15:16], v[15:16], v[18:19], v[15:16]
	v_fma_f64 v[18:19], -v[13:14], v[15:16], 1.0
	s_delay_alu instid0(VALU_DEP_1) | instskip(SKIP_1) | instid1(VALU_DEP_1)
	v_fma_f64 v[15:16], v[15:16], v[18:19], v[15:16]
	v_div_scale_f64 v[18:19], vcc_lo, v[1:2], v[9:10], v[1:2]
	v_mul_f64 v[20:21], v[18:19], v[15:16]
	s_delay_alu instid0(VALU_DEP_1) | instskip(NEXT) | instid1(VALU_DEP_1)
	v_fma_f64 v[13:14], -v[13:14], v[20:21], v[18:19]
	v_div_fmas_f64 v[13:14], v[13:14], v[15:16], v[20:21]
	s_delay_alu instid0(VALU_DEP_1)
	v_div_fixup_f64 v[1:2], v[13:14], v[9:10], v[1:2]
.LBB5_13:
	s_or_b32 exec_lo, exec_lo, s0
.LBB5_14:
	s_delay_alu instid0(SALU_CYCLE_1)
	s_or_b32 exec_lo, exec_lo, s10
.LBB5_15:
	s_delay_alu instid0(SALU_CYCLE_1) | instskip(NEXT) | instid1(SALU_CYCLE_1)
	s_or_b32 exec_lo, exec_lo, s9
	s_mov_b32 s9, exec_lo
	v_cmpx_neq_f64_e32 0, v[11:12]
	s_cbranch_execz .LBB5_27
; %bb.16:
	v_mov_b32_e32 v3, 0
	v_mov_b32_e32 v4, 0x7ff80000
	s_mov_b32 s10, exec_lo
	v_cmpx_ngt_f64_e32 0, v[11:12]
	s_cbranch_execz .LBB5_26
; %bb.17:
	s_mov_b32 s0, exec_lo
	v_cmpx_ge_f64_e32 2.0, v[11:12]
	s_xor_b32 s11, exec_lo, s0
	s_cbranch_execz .LBB5_23
; %bb.18:
	v_mul_f64 v[3:4], v[11:12], 0.5
	s_mov_b32 s0, exec_lo
                                        ; implicit-def: $vgpr13_vgpr14
                                        ; implicit-def: $vgpr9_vgpr10
	v_cmpx_ge_f64_e32 0x40200000, v[11:12]
	s_xor_b32 s0, exec_lo, s0
	s_cbranch_execz .LBB5_20
; %bb.19:
	s_delay_alu instid0(VALU_DEP_2)
	v_add_f64 v[9:10], v[3:4], -2.0
	s_mov_b32 s12, 0xc38a0576
	s_mov_b32 s13, 0xbc7857d0
	s_mov_b32 s17, 0x3c499f2a
	s_mov_b32 s16, 0xc3c4014
	v_cmp_nlt_f64_e32 vcc_lo, 0x40900000, v[11:12]
	s_delay_alu instid0(VALU_DEP_2) | instskip(SKIP_3) | instid1(VALU_DEP_1)
	v_fma_f64 v[13:14], v[9:10], s[16:17], s[12:13]
	s_mov_b32 s17, 0xbc499f2a
	s_mov_b32 s12, 0xe593bfac
	;; [unrolled: 1-line block ×3, first 2 shown]
	v_fma_f64 v[15:16], v[9:10], v[13:14], s[16:17]
	s_mov_b32 s16, 0x6a5dcb37
	s_mov_b32 s17, 0x3e5ade15
	s_delay_alu instid0(VALU_DEP_1) | instskip(SKIP_2) | instid1(VALU_DEP_1)
	v_add_f64 v[15:16], v[15:16], s[12:13]
	s_mov_b32 s12, 0x7e0d1573
	s_mov_b32 s13, 0xbcd3eaaa
	v_fma_f64 v[13:14], v[9:10], v[15:16], -v[13:14]
	s_delay_alu instid0(VALU_DEP_1) | instskip(SKIP_2) | instid1(VALU_DEP_1)
	v_add_f64 v[13:14], v[13:14], s[12:13]
	s_mov_b32 s12, 0x615290c
	s_mov_b32 s13, 0x3d011d7f
	v_fma_f64 v[15:16], v[9:10], v[13:14], -v[15:16]
	;; [unrolled: 5-line block ×19, first 2 shown]
	s_delay_alu instid0(VALU_DEP_1) | instskip(SKIP_2) | instid1(SALU_CYCLE_1)
	v_add_f64 v[13:14], v[13:14], s[12:13]
	s_mov_b32 s12, 0x652b82fe
	s_mov_b32 s13, 0x3ff71547
	v_mul_f64 v[18:19], v[11:12], s[12:13]
	s_mov_b32 s12, 0x49d3a1b4
	s_mov_b32 s13, 0x3f710653
	s_delay_alu instid0(VALU_DEP_2) | instskip(NEXT) | instid1(VALU_DEP_2)
	v_fma_f64 v[15:16], v[9:10], v[13:14], -v[15:16]
	v_rndne_f64_e32 v[18:19], v[18:19]
	s_delay_alu instid0(VALU_DEP_2)
	v_add_f64 v[15:16], v[15:16], s[12:13]
	s_mov_b32 s12, 0xfefa39ef
	s_mov_b32 s13, 0xbfe62e42
	s_delay_alu instid0(VALU_DEP_2) | instid1(SALU_CYCLE_1)
	v_fma_f64 v[20:21], v[18:19], s[12:13], v[11:12]
	s_mov_b32 s12, 0x7913a26a
	s_mov_b32 s13, 0xbf85a29f
	s_delay_alu instid0(VALU_DEP_2) | instskip(NEXT) | instid1(VALU_DEP_1)
	v_fma_f64 v[13:14], v[9:10], v[15:16], -v[13:14]
	v_add_f64 v[13:14], v[13:14], s[12:13]
	s_mov_b32 s12, 0x3b39803f
	s_mov_b32 s13, 0xbc7abc9e
	s_delay_alu instid0(VALU_DEP_3) | instid1(SALU_CYCLE_1)
	v_fma_f64 v[20:21], v[18:19], s[12:13], v[20:21]
	s_mov_b32 s12, 0xfca7ab0c
	s_mov_b32 s13, 0x3e928af3
	s_delay_alu instid0(VALU_DEP_2) | instskip(NEXT) | instid1(VALU_DEP_2)
	v_fma_f64 v[15:16], v[9:10], v[13:14], -v[15:16]
	v_fma_f64 v[22:23], v[20:21], s[16:17], s[12:13]
	s_mov_b32 s12, 0xe7bb2349
	s_mov_b32 s13, 0x3f9951e3
	s_delay_alu instid0(VALU_DEP_2) | instid1(SALU_CYCLE_1)
	v_add_f64 v[15:16], v[15:16], s[12:13]
	s_mov_b32 s12, 0x623fde64
	s_mov_b32 s13, 0x3ec71dee
	s_delay_alu instid0(VALU_DEP_2) | instid1(SALU_CYCLE_1)
	v_fma_f64 v[22:23], v[20:21], v[22:23], s[12:13]
	s_mov_b32 s12, 0x7c89e6b0
	s_mov_b32 s13, 0x3efa0199
	s_delay_alu instid0(VALU_DEP_2) | instskip(NEXT) | instid1(VALU_DEP_2)
	v_fma_f64 v[13:14], v[9:10], v[15:16], -v[13:14]
	v_fma_f64 v[22:23], v[20:21], v[22:23], s[12:13]
	s_mov_b32 s12, 0x537c9ebc
	s_mov_b32 s13, 0xbfab1bbc
	s_delay_alu instid0(VALU_DEP_2) | instid1(SALU_CYCLE_1)
	v_add_f64 v[13:14], v[13:14], s[12:13]
	s_mov_b32 s12, 0x14761f6e
	s_mov_b32 s13, 0x3f2a01a0
	s_delay_alu instid0(VALU_DEP_2) | instid1(SALU_CYCLE_1)
	;; [unrolled: 13-line block ×4, first 2 shown]
	v_fma_f64 v[22:23], v[20:21], v[22:23], s[12:13]
	s_mov_b32 s12, 11
	s_mov_b32 s13, 0x3fe00000
	s_delay_alu instid0(VALU_DEP_2) | instskip(NEXT) | instid1(VALU_DEP_2)
	v_fma_f64 v[9:10], v[9:10], v[13:14], -v[15:16]
	v_fma_f64 v[13:14], v[20:21], v[22:23], s[12:13]
	s_mov_b32 s12, 0x724a7ffa
	s_mov_b32 s13, 0x3fd02a63
	s_delay_alu instid0(VALU_DEP_2) | instid1(SALU_CYCLE_1)
	v_add_f64 v[9:10], v[9:10], s[12:13]
	s_delay_alu instid0(VALU_DEP_2) | instskip(NEXT) | instid1(VALU_DEP_2)
	v_fma_f64 v[13:14], v[20:21], v[13:14], 1.0
	v_add_f64 v[9:10], v[9:10], -v[15:16]
	v_cvt_i32_f64_e32 v15, v[18:19]
	s_delay_alu instid0(VALU_DEP_3) | instskip(NEXT) | instid1(VALU_DEP_3)
	v_fma_f64 v[13:14], v[20:21], v[13:14], 1.0
	v_mul_f64 v[9:10], v[9:10], 0.5
	s_delay_alu instid0(VALU_DEP_2) | instskip(NEXT) | instid1(VALU_DEP_2)
	v_ldexp_f64 v[13:14], v[13:14], v15
	v_mul_f64 v[15:16], v[11:12], v[9:10]
	s_delay_alu instid0(VALU_DEP_2) | instskip(NEXT) | instid1(VALU_DEP_3)
	v_cndmask_b32_e32 v10, 0x7ff00000, v14, vcc_lo
	v_cndmask_b32_e32 v9, 0, v13, vcc_lo
	s_delay_alu instid0(VALU_DEP_1)
	v_mul_f64 v[13:14], v[9:10], v[15:16]
.LBB5_20:
	s_and_not1_saveexec_b32 s1, s0
	s_cbranch_execz .LBB5_22
; %bb.21:
	v_div_scale_f64 v[9:10], null, v[11:12], v[11:12], 0x40400000
	v_div_scale_f64 v[18:19], vcc_lo, 0x40400000, v[11:12], 0x40400000
	s_mov_b32 s12, 0xea87b950
	s_mov_b32 s13, 0x3c545b8a
	;; [unrolled: 1-line block ×4, first 2 shown]
	v_cmp_nlt_f64_e64 s0, 0x40900000, v[11:12]
	s_delay_alu instid0(VALU_DEP_3) | instskip(SKIP_2) | instid1(VALU_DEP_1)
	v_rcp_f64_e32 v[13:14], v[9:10]
	s_waitcnt_depctr 0xfff
	v_fma_f64 v[15:16], -v[9:10], v[13:14], 1.0
	v_fma_f64 v[13:14], v[13:14], v[15:16], v[13:14]
	s_delay_alu instid0(VALU_DEP_1) | instskip(NEXT) | instid1(VALU_DEP_1)
	v_fma_f64 v[15:16], -v[9:10], v[13:14], 1.0
	v_fma_f64 v[13:14], v[13:14], v[15:16], v[13:14]
	s_delay_alu instid0(VALU_DEP_1) | instskip(NEXT) | instid1(VALU_DEP_1)
	v_mul_f64 v[15:16], v[18:19], v[13:14]
	v_fma_f64 v[9:10], -v[9:10], v[15:16], v[18:19]
	s_delay_alu instid0(VALU_DEP_1) | instskip(SKIP_1) | instid1(VALU_DEP_2)
	v_div_fmas_f64 v[9:10], v[9:10], v[13:14], v[15:16]
	v_cmp_gt_f64_e32 vcc_lo, 0x10000000, v[11:12]
	v_div_fixup_f64 v[9:10], v[9:10], v[11:12], 0x40400000
	v_cndmask_b32_e64 v24, 0, 1, vcc_lo
	s_delay_alu instid0(VALU_DEP_1) | instskip(NEXT) | instid1(VALU_DEP_1)
	v_lshlrev_b32_e32 v24, 8, v24
	v_ldexp_f64 v[24:25], v[11:12], v24
	s_delay_alu instid0(VALU_DEP_4) | instskip(NEXT) | instid1(VALU_DEP_2)
	v_add_f64 v[9:10], v[9:10], -2.0
	v_rsq_f64_e32 v[26:27], v[24:25]
	s_delay_alu instid0(VALU_DEP_1)
	v_fma_f64 v[13:14], v[9:10], s[16:17], s[12:13]
	s_mov_b32 s17, 0xbc61556d
	s_mov_b32 s12, 0xb2532277
	;; [unrolled: 1-line block ×3, first 2 shown]
	s_waitcnt_depctr 0xfff
	v_mul_f64 v[28:29], v[24:25], v[26:27]
	v_mul_f64 v[26:27], v[26:27], 0.5
	v_fma_f64 v[15:16], v[9:10], v[13:14], s[16:17]
	s_mov_b32 s16, 0x6a5dcb37
	s_mov_b32 s17, 0x3e5ade15
	s_delay_alu instid0(VALU_DEP_2) | instskip(NEXT) | instid1(VALU_DEP_2)
	v_fma_f64 v[30:31], -v[26:27], v[28:29], 0.5
	v_add_f64 v[15:16], v[15:16], s[12:13]
	s_mov_b32 s12, 0x9c773320
	s_mov_b32 s13, 0xbc82806c
	s_delay_alu instid0(VALU_DEP_2) | instskip(SKIP_1) | instid1(VALU_DEP_3)
	v_fma_f64 v[28:29], v[28:29], v[30:31], v[28:29]
	v_fma_f64 v[26:27], v[26:27], v[30:31], v[26:27]
	v_fma_f64 v[13:14], v[9:10], v[15:16], -v[13:14]
	s_delay_alu instid0(VALU_DEP_3) | instskip(NEXT) | instid1(VALU_DEP_2)
	v_fma_f64 v[30:31], -v[28:29], v[28:29], v[24:25]
	v_add_f64 v[13:14], v[13:14], s[12:13]
	s_mov_b32 s12, 0xfceb588a
	s_mov_b32 s13, 0x3cb55915
	s_delay_alu instid0(VALU_DEP_1) | instskip(NEXT) | instid1(VALU_DEP_1)
	v_fma_f64 v[15:16], v[9:10], v[13:14], -v[15:16]
	v_add_f64 v[15:16], v[15:16], s[12:13]
	s_mov_b32 s12, 0x5f04a2d1
	s_mov_b32 s13, 0x3cb7d68e
	s_delay_alu instid0(VALU_DEP_1) | instskip(NEXT) | instid1(VALU_DEP_1)
	v_fma_f64 v[13:14], v[9:10], v[15:16], -v[13:14]
	;; [unrolled: 5-line block ×14, first 2 shown]
	v_add_f64 v[13:14], v[13:14], s[12:13]
	s_mov_b32 s12, 0x652b82fe
	s_mov_b32 s13, 0x3ff71547
	s_delay_alu instid0(SALU_CYCLE_1) | instskip(SKIP_2) | instid1(VALU_DEP_2)
	v_mul_f64 v[18:19], v[11:12], s[12:13]
	s_mov_b32 s12, 0x9ad53528
	s_mov_b32 s13, 0xbe30790b
	v_fma_f64 v[15:16], v[9:10], v[13:14], -v[15:16]
	s_delay_alu instid0(VALU_DEP_2) | instskip(NEXT) | instid1(VALU_DEP_2)
	v_rndne_f64_e32 v[18:19], v[18:19]
	v_add_f64 v[15:16], v[15:16], s[12:13]
	s_mov_b32 s12, 0xfefa39ef
	s_mov_b32 s13, 0xbfe62e42
	s_delay_alu instid0(VALU_DEP_2) | instid1(SALU_CYCLE_1)
	v_fma_f64 v[20:21], v[18:19], s[12:13], v[11:12]
	s_mov_b32 s12, 0x3b39803f
	s_mov_b32 s13, 0xbc7abc9e
	s_delay_alu instid0(VALU_DEP_2) | instskip(NEXT) | instid1(VALU_DEP_2)
	v_fma_f64 v[13:14], v[9:10], v[15:16], -v[13:14]
	v_fma_f64 v[20:21], v[18:19], s[12:13], v[20:21]
	s_mov_b32 s12, 0x94bb46c1
	s_mov_b32 s13, 0xbe5c4153
	s_delay_alu instid0(VALU_DEP_2) | instid1(SALU_CYCLE_1)
	v_add_f64 v[13:14], v[13:14], s[12:13]
	s_mov_b32 s12, 0xfca7ab0c
	s_mov_b32 s13, 0x3e928af3
	s_delay_alu instid0(VALU_DEP_2) | instid1(SALU_CYCLE_1)
	v_fma_f64 v[22:23], v[20:21], s[16:17], s[12:13]
	s_mov_b32 s12, 0x623fde64
	s_mov_b32 s13, 0x3ec71dee
	s_delay_alu instid0(VALU_DEP_2) | instskip(NEXT) | instid1(VALU_DEP_2)
	v_fma_f64 v[15:16], v[9:10], v[13:14], -v[15:16]
	v_fma_f64 v[22:23], v[20:21], v[22:23], s[12:13]
	s_mov_b32 s12, 0x2e9e5443
	s_mov_b32 s13, 0xbe90dbfd
	s_delay_alu instid0(VALU_DEP_2) | instid1(SALU_CYCLE_1)
	;; [unrolled: 13-line block ×5, first 2 shown]
	v_add_f64 v[13:14], v[13:14], s[12:13]
	s_mov_b32 s12, 11
	s_mov_b32 s13, 0x3fe00000
	s_delay_alu instid0(VALU_DEP_2) | instid1(SALU_CYCLE_1)
	v_fma_f64 v[22:23], v[20:21], v[22:23], s[12:13]
	s_mov_b32 s12, 0xb55b1514
	s_mov_b32 s13, 0x3fe8ea18
	s_delay_alu instid0(VALU_DEP_2) | instskip(SKIP_2) | instid1(VALU_DEP_4)
	v_fma_f64 v[9:10], v[9:10], v[13:14], -v[15:16]
	v_fma_f64 v[13:14], v[30:31], v[26:27], v[28:29]
	v_cvt_i32_f64_e32 v28, v[18:19]
	v_fma_f64 v[22:23], v[20:21], v[22:23], 1.0
	s_delay_alu instid0(VALU_DEP_4) | instskip(NEXT) | instid1(VALU_DEP_4)
	v_add_f64 v[9:10], v[9:10], s[12:13]
	v_fma_f64 v[18:19], -v[13:14], v[13:14], v[24:25]
	s_delay_alu instid0(VALU_DEP_3) | instskip(NEXT) | instid1(VALU_DEP_3)
	v_fma_f64 v[20:21], v[20:21], v[22:23], 1.0
	v_add_f64 v[9:10], v[9:10], -v[15:16]
	s_delay_alu instid0(VALU_DEP_3) | instskip(NEXT) | instid1(VALU_DEP_3)
	v_fma_f64 v[13:14], v[18:19], v[26:27], v[13:14]
	v_ldexp_f64 v[15:16], v[20:21], v28
	s_delay_alu instid0(VALU_DEP_3) | instskip(SKIP_2) | instid1(VALU_DEP_4)
	v_mul_f64 v[18:19], v[9:10], 0.5
	v_cndmask_b32_e64 v9, 0, 0xffffff80, vcc_lo
	v_cmp_class_f64_e64 vcc_lo, v[24:25], 0x260
	v_cndmask_b32_e64 v10, 0x7ff00000, v16, s0
	s_delay_alu instid0(VALU_DEP_3) | instskip(SKIP_1) | instid1(VALU_DEP_1)
	v_ldexp_f64 v[13:14], v[13:14], v9
	v_cndmask_b32_e64 v9, 0, v15, s0
	v_mul_f64 v[15:16], v[9:10], v[18:19]
	s_delay_alu instid0(VALU_DEP_3) | instskip(NEXT) | instid1(VALU_DEP_1)
	v_dual_cndmask_b32 v14, v14, v25 :: v_dual_cndmask_b32 v13, v13, v24
	v_div_scale_f64 v[18:19], null, v[13:14], v[13:14], v[15:16]
	s_delay_alu instid0(VALU_DEP_1) | instskip(SKIP_2) | instid1(VALU_DEP_1)
	v_rcp_f64_e32 v[20:21], v[18:19]
	s_waitcnt_depctr 0xfff
	v_fma_f64 v[22:23], -v[18:19], v[20:21], 1.0
	v_fma_f64 v[20:21], v[20:21], v[22:23], v[20:21]
	s_delay_alu instid0(VALU_DEP_1) | instskip(NEXT) | instid1(VALU_DEP_1)
	v_fma_f64 v[22:23], -v[18:19], v[20:21], 1.0
	v_fma_f64 v[20:21], v[20:21], v[22:23], v[20:21]
	v_div_scale_f64 v[22:23], vcc_lo, v[15:16], v[13:14], v[15:16]
	s_delay_alu instid0(VALU_DEP_1) | instskip(NEXT) | instid1(VALU_DEP_1)
	v_mul_f64 v[24:25], v[22:23], v[20:21]
	v_fma_f64 v[18:19], -v[18:19], v[24:25], v[22:23]
	s_delay_alu instid0(VALU_DEP_1) | instskip(NEXT) | instid1(VALU_DEP_1)
	v_div_fmas_f64 v[18:19], v[18:19], v[20:21], v[24:25]
	v_div_fixup_f64 v[13:14], v[18:19], v[13:14], v[15:16]
.LBB5_22:
	s_or_b32 exec_lo, exec_lo, s1
	s_delay_alu instid0(VALU_DEP_2)
	v_frexp_mant_f64_e32 v[15:16], v[3:4]
	s_mov_b32 s1, 0x3fe55555
	s_mov_b32 s0, 0x55555555
	v_mov_b32_e32 v18, 0
	v_fma_f64 v[30:31], v[11:12], v[11:12], -2.0
	s_mov_b32 s12, 0x7a0399e0
	s_mov_b32 s13, 0xbce5dd51
	;; [unrolled: 1-line block ×4, first 2 shown]
	v_frexp_exp_i32_f64_e32 v34, v[3:4]
	s_delay_alu instid0(VALU_DEP_4) | instskip(SKIP_1) | instid1(VALU_DEP_3)
	v_cmp_gt_f64_e32 vcc_lo, s[0:1], v[15:16]
	s_mov_b32 s0, 0x55555780
	v_fma_f64 v[32:33], v[30:31], s[16:17], s[12:13]
	s_mov_b32 s17, 0x3c603228
	s_mov_b32 s12, 0xddd0e045
	;; [unrolled: 1-line block ×3, first 2 shown]
	v_cndmask_b32_e64 v19, 0x3ff00000, 2.0, vcc_lo
	s_delay_alu instid0(VALU_DEP_1) | instskip(NEXT) | instid1(VALU_DEP_1)
	v_mul_f64 v[15:16], v[15:16], v[18:19]
	v_add_f64 v[18:19], v[15:16], 1.0
	v_add_f64 v[24:25], v[15:16], -1.0
	s_delay_alu instid0(VALU_DEP_2) | instskip(SKIP_1) | instid1(VALU_DEP_1)
	v_rcp_f64_e32 v[20:21], v[18:19]
	v_add_f64 v[26:27], v[18:19], -1.0
	v_add_f64 v[15:16], v[15:16], -v[26:27]
	s_waitcnt_depctr 0xfff
	v_fma_f64 v[22:23], -v[18:19], v[20:21], 1.0
	s_delay_alu instid0(VALU_DEP_1) | instskip(NEXT) | instid1(VALU_DEP_1)
	v_fma_f64 v[20:21], v[22:23], v[20:21], v[20:21]
	v_fma_f64 v[22:23], -v[18:19], v[20:21], 1.0
	s_delay_alu instid0(VALU_DEP_1) | instskip(NEXT) | instid1(VALU_DEP_1)
	v_fma_f64 v[20:21], v[22:23], v[20:21], v[20:21]
	v_mul_f64 v[22:23], v[24:25], v[20:21]
	s_delay_alu instid0(VALU_DEP_1) | instskip(NEXT) | instid1(VALU_DEP_1)
	v_mul_f64 v[28:29], v[18:19], v[22:23]
	v_fma_f64 v[18:19], v[22:23], v[18:19], -v[28:29]
	s_delay_alu instid0(VALU_DEP_1) | instskip(NEXT) | instid1(VALU_DEP_1)
	v_fma_f64 v[15:16], v[22:23], v[15:16], v[18:19]
	v_add_f64 v[18:19], v[28:29], v[15:16]
	s_delay_alu instid0(VALU_DEP_1) | instskip(SKIP_1) | instid1(VALU_DEP_2)
	v_add_f64 v[26:27], v[24:25], -v[18:19]
	v_add_f64 v[28:29], v[18:19], -v[28:29]
	;; [unrolled: 1-line block ×3, first 2 shown]
	s_delay_alu instid0(VALU_DEP_2) | instskip(NEXT) | instid1(VALU_DEP_2)
	v_add_f64 v[15:16], v[28:29], -v[15:16]
	v_add_f64 v[18:19], v[24:25], -v[18:19]
	v_fma_f64 v[24:25], v[30:31], v[32:33], s[16:17]
	s_mov_b32 s16, 0xbf559e2b
	s_mov_b32 s17, 0x3fc3ab76
	s_delay_alu instid0(VALU_DEP_2) | instskip(NEXT) | instid1(VALU_DEP_2)
	v_add_f64 v[15:16], v[15:16], v[18:19]
	v_add_f64 v[18:19], v[24:25], s[12:13]
	s_mov_b32 s12, 0xb84626ca
	s_mov_b32 s13, 0xbde3663b
	s_delay_alu instid0(VALU_DEP_2) | instskip(NEXT) | instid1(VALU_DEP_2)
	v_add_f64 v[15:16], v[26:27], v[15:16]
	v_fma_f64 v[24:25], v[30:31], v[18:19], -v[32:33]
	s_delay_alu instid0(VALU_DEP_2) | instskip(NEXT) | instid1(VALU_DEP_2)
	v_mul_f64 v[15:16], v[20:21], v[15:16]
	v_add_f64 v[20:21], v[24:25], s[12:13]
	s_mov_b32 s12, 0x145c31d0
	s_mov_b32 s13, 0xbe57c41d
	s_delay_alu instid0(VALU_DEP_2) | instskip(NEXT) | instid1(VALU_DEP_2)
	v_add_f64 v[24:25], v[22:23], v[15:16]
	v_fma_f64 v[18:19], v[30:31], v[20:21], -v[18:19]
	s_delay_alu instid0(VALU_DEP_2) | instskip(NEXT) | instid1(VALU_DEP_2)
	v_mul_f64 v[26:27], v[24:25], v[24:25]
	v_add_f64 v[18:19], v[18:19], s[12:13]
	s_mov_b32 s12, 0x6b47b09a
	s_mov_b32 s13, 0x3fc38538
	v_add_f64 v[22:23], v[24:25], -v[22:23]
	s_delay_alu instid0(VALU_DEP_3) | instskip(NEXT) | instid1(VALU_DEP_3)
	v_fma_f64 v[28:29], v[26:27], s[16:17], s[12:13]
	v_fma_f64 v[20:21], v[30:31], v[18:19], -v[20:21]
	s_mov_b32 s12, 0xd7f4df2e
	s_mov_b32 s13, 0x3fc7474d
	v_mul_f64 v[32:33], v[24:25], v[26:27]
	s_delay_alu instid0(VALU_DEP_4) | instskip(NEXT) | instid1(VALU_DEP_4)
	v_add_f64 v[15:16], v[15:16], -v[22:23]
	v_fma_f64 v[28:29], v[26:27], v[28:29], s[12:13]
	s_mov_b32 s12, 0x2c832e3a
	s_mov_b32 s13, 0xbec469b3
	s_delay_alu instid0(VALU_DEP_4) | instid1(SALU_CYCLE_1)
	v_add_f64 v[20:21], v[20:21], s[12:13]
	s_mov_b32 s12, 0x16291751
	s_mov_b32 s13, 0x3fcc71c0
	s_delay_alu instid0(VALU_DEP_3) | instskip(NEXT) | instid1(VALU_DEP_3)
	v_ldexp_f64 v[15:16], v[15:16], 1
	v_fma_f64 v[28:29], v[26:27], v[28:29], s[12:13]
	s_mov_b32 s12, 0x9b27acf1
	s_mov_b32 s13, 0x3fd24924
	s_delay_alu instid0(VALU_DEP_3) | instskip(NEXT) | instid1(VALU_DEP_2)
	v_fma_f64 v[18:19], v[30:31], v[20:21], -v[18:19]
	v_fma_f64 v[28:29], v[26:27], v[28:29], s[12:13]
	s_mov_b32 s12, 0xe5a3bd02
	s_mov_b32 s13, 0xbf26ade2
	s_delay_alu instid0(VALU_DEP_2) | instid1(SALU_CYCLE_1)
	v_add_f64 v[18:19], v[18:19], s[12:13]
	s_mov_b32 s12, 0x998ef7b6
	s_mov_b32 s13, 0x3fd99999
	s_delay_alu instid0(VALU_DEP_2) | instid1(SALU_CYCLE_1)
	v_fma_f64 v[28:29], v[26:27], v[28:29], s[12:13]
	s_delay_alu instid0(VALU_DEP_2) | instskip(NEXT) | instid1(VALU_DEP_2)
	v_fma_f64 v[20:21], v[30:31], v[18:19], -v[20:21]
	v_fma_f64 v[26:27], v[26:27], v[28:29], s[0:1]
	s_mov_b32 s0, 0x9d7d4192
	s_mov_b32 s1, 0xbf7c9293
	v_ldexp_f64 v[28:29], v[24:25], 1
	s_delay_alu instid0(VALU_DEP_3) | instskip(SKIP_2) | instid1(VALU_DEP_3)
	v_add_f64 v[20:21], v[20:21], s[0:1]
	s_mov_b32 s0, 0x43c1db74
	s_mov_b32 s1, 0xbfbf6372
	v_mul_f64 v[26:27], v[32:33], v[26:27]
	v_subrev_co_ci_u32_e32 v32, vcc_lo, 0, v34, vcc_lo
	s_delay_alu instid0(VALU_DEP_3) | instskip(NEXT) | instid1(VALU_DEP_2)
	v_fma_f64 v[18:19], v[30:31], v[20:21], -v[18:19]
	v_cvt_f64_i32_e32 v[32:33], v32
	s_delay_alu instid0(VALU_DEP_4) | instskip(NEXT) | instid1(VALU_DEP_3)
	v_add_f64 v[24:25], v[28:29], v[26:27]
	v_add_f64 v[18:19], v[18:19], s[0:1]
	s_mov_b32 s0, 0xfefa39ef
	s_mov_b32 s1, 0x3fe62e42
	s_delay_alu instid0(VALU_DEP_3) | instid1(SALU_CYCLE_1)
	v_mul_f64 v[34:35], v[32:33], s[0:1]
	s_delay_alu instid0(VALU_DEP_3) | instskip(NEXT) | instid1(VALU_DEP_3)
	v_add_f64 v[22:23], v[24:25], -v[28:29]
	v_fma_f64 v[20:21], v[30:31], v[18:19], -v[20:21]
	s_delay_alu instid0(VALU_DEP_3) | instskip(SKIP_2) | instid1(VALU_DEP_3)
	v_fma_f64 v[28:29], v[32:33], s[0:1], -v[34:35]
	s_mov_b32 s0, 0x757b0dd4
	s_mov_b32 s1, 0xbfd69a1b
	v_add_f64 v[22:23], v[26:27], -v[22:23]
	s_delay_alu instid0(VALU_DEP_3)
	v_add_f64 v[20:21], v[20:21], s[0:1]
	s_mov_b32 s0, 0x3b39803f
	s_mov_b32 s1, 0x3c7abc9e
	s_delay_alu instid0(VALU_DEP_3) | instid1(SALU_CYCLE_1)
	v_fma_f64 v[26:27], v[32:33], s[0:1], v[28:29]
	s_mov_b32 s0, 0x361008ca
	s_mov_b32 s1, 0x3ff867a1
	s_delay_alu instid0(VALU_DEP_3) | instskip(NEXT) | instid1(VALU_DEP_3)
	v_add_f64 v[15:16], v[15:16], v[22:23]
	v_fma_f64 v[20:21], v[30:31], v[20:21], -v[18:19]
	s_delay_alu instid0(VALU_DEP_3) | instskip(NEXT) | instid1(VALU_DEP_3)
	v_add_f64 v[22:23], v[34:35], v[26:27]
	v_add_f64 v[28:29], v[24:25], v[15:16]
	s_delay_alu instid0(VALU_DEP_3) | instskip(SKIP_1) | instid1(VALU_DEP_4)
	v_add_f64 v[20:21], v[20:21], s[0:1]
	v_cmp_eq_f64_e64 s0, 0x7ff00000, v[3:4]
	v_add_f64 v[32:33], v[22:23], -v[34:35]
	s_delay_alu instid0(VALU_DEP_4) | instskip(SKIP_2) | instid1(VALU_DEP_4)
	v_add_f64 v[30:31], v[22:23], v[28:29]
	v_add_f64 v[24:25], v[28:29], -v[24:25]
	v_add_f64 v[18:19], v[20:21], -v[18:19]
	;; [unrolled: 1-line block ×3, first 2 shown]
	s_delay_alu instid0(VALU_DEP_4) | instskip(NEXT) | instid1(VALU_DEP_4)
	v_add_f64 v[20:21], v[30:31], -v[22:23]
	v_add_f64 v[15:16], v[15:16], -v[24:25]
	s_delay_alu instid0(VALU_DEP_4) | instskip(NEXT) | instid1(VALU_DEP_3)
	v_mul_f64 v[18:19], v[18:19], 0.5
	v_add_f64 v[34:35], v[30:31], -v[20:21]
	v_add_f64 v[20:21], v[28:29], -v[20:21]
	s_delay_alu instid0(VALU_DEP_4) | instskip(NEXT) | instid1(VALU_DEP_4)
	v_add_f64 v[28:29], v[26:27], v[15:16]
	v_div_scale_f64 v[36:37], null, v[11:12], v[11:12], v[18:19]
	s_delay_alu instid0(VALU_DEP_4) | instskip(NEXT) | instid1(VALU_DEP_3)
	v_add_f64 v[22:23], v[22:23], -v[34:35]
	v_add_f64 v[32:33], v[28:29], -v[26:27]
	s_delay_alu instid0(VALU_DEP_3) | instskip(NEXT) | instid1(VALU_DEP_2)
	v_rcp_f64_e32 v[24:25], v[36:37]
	v_add_f64 v[20:21], v[20:21], v[22:23]
	s_delay_alu instid0(VALU_DEP_2) | instskip(SKIP_3) | instid1(VALU_DEP_2)
	v_add_f64 v[15:16], v[15:16], -v[32:33]
	s_waitcnt_depctr 0xfff
	v_fma_f64 v[22:23], -v[36:37], v[24:25], 1.0
	v_add_f64 v[20:21], v[28:29], v[20:21]
	v_fma_f64 v[22:23], v[24:25], v[22:23], v[24:25]
	v_add_f64 v[24:25], v[28:29], -v[32:33]
	s_delay_alu instid0(VALU_DEP_3) | instskip(NEXT) | instid1(VALU_DEP_3)
	v_add_f64 v[28:29], v[30:31], v[20:21]
	v_fma_f64 v[34:35], -v[36:37], v[22:23], 1.0
	s_delay_alu instid0(VALU_DEP_3) | instskip(NEXT) | instid1(VALU_DEP_3)
	v_add_f64 v[24:25], v[26:27], -v[24:25]
	v_add_f64 v[26:27], v[28:29], -v[30:31]
	v_div_scale_f64 v[30:31], vcc_lo, v[18:19], v[11:12], v[18:19]
	s_delay_alu instid0(VALU_DEP_4) | instskip(NEXT) | instid1(VALU_DEP_4)
	v_fma_f64 v[22:23], v[22:23], v[34:35], v[22:23]
	v_add_f64 v[15:16], v[15:16], v[24:25]
	s_delay_alu instid0(VALU_DEP_4) | instskip(NEXT) | instid1(VALU_DEP_3)
	v_add_f64 v[20:21], v[20:21], -v[26:27]
	v_mul_f64 v[24:25], v[30:31], v[22:23]
	s_delay_alu instid0(VALU_DEP_2) | instskip(NEXT) | instid1(VALU_DEP_2)
	v_add_f64 v[15:16], v[15:16], v[20:21]
	v_fma_f64 v[20:21], -v[36:37], v[24:25], v[30:31]
	s_delay_alu instid0(VALU_DEP_2) | instskip(NEXT) | instid1(VALU_DEP_2)
	v_add_f64 v[15:16], v[28:29], v[15:16]
	v_div_fmas_f64 v[20:21], v[20:21], v[22:23], v[24:25]
	v_cmp_neq_f64_e32 vcc_lo, 0, v[3:4]
	s_delay_alu instid0(VALU_DEP_3) | instskip(NEXT) | instid1(VALU_DEP_4)
	v_cndmask_b32_e64 v15, v15, v3, s0
	v_cndmask_b32_e64 v16, v16, v4, s0
	s_delay_alu instid0(VALU_DEP_4) | instskip(NEXT) | instid1(VALU_DEP_3)
	v_div_fixup_f64 v[3:4], v[20:21], v[11:12], v[18:19]
	v_cndmask_b32_e32 v11, 0, v15, vcc_lo
	s_delay_alu instid0(VALU_DEP_3) | instskip(NEXT) | instid1(VALU_DEP_1)
	v_cndmask_b32_e32 v12, 0xfff00000, v16, vcc_lo
	v_fma_f64 v[3:4], v[11:12], v[13:14], v[3:4]
                                        ; implicit-def: $vgpr11_vgpr12
	s_delay_alu instid0(VALU_DEP_1)
	v_mul_f64 v[3:4], v[9:10], v[3:4]
.LBB5_23:
	s_and_not1_saveexec_b32 s0, s11
	s_cbranch_execz .LBB5_25
; %bb.24:
	v_div_scale_f64 v[3:4], null, v[11:12], v[11:12], 0x40200000
	v_div_scale_f64 v[15:16], vcc_lo, 0x40200000, v[11:12], 0x40200000
	s_mov_b32 s12, 0x838f5ed3
	s_mov_b32 s13, 0x3c74af1a
	;; [unrolled: 1-line block ×4, first 2 shown]
	s_delay_alu instid0(VALU_DEP_2) | instskip(SKIP_2) | instid1(VALU_DEP_1)
	v_rcp_f64_e32 v[9:10], v[3:4]
	s_waitcnt_depctr 0xfff
	v_fma_f64 v[13:14], -v[3:4], v[9:10], 1.0
	v_fma_f64 v[9:10], v[9:10], v[13:14], v[9:10]
	s_delay_alu instid0(VALU_DEP_1) | instskip(NEXT) | instid1(VALU_DEP_1)
	v_fma_f64 v[13:14], -v[3:4], v[9:10], 1.0
	v_fma_f64 v[9:10], v[9:10], v[13:14], v[9:10]
	s_delay_alu instid0(VALU_DEP_1) | instskip(NEXT) | instid1(VALU_DEP_1)
	v_mul_f64 v[13:14], v[15:16], v[9:10]
	v_fma_f64 v[3:4], -v[3:4], v[13:14], v[15:16]
	s_delay_alu instid0(VALU_DEP_1) | instskip(SKIP_1) | instid1(VALU_DEP_2)
	v_div_fmas_f64 v[3:4], v[3:4], v[9:10], v[13:14]
	v_cmp_gt_f64_e32 vcc_lo, 0x10000000, v[11:12]
	v_div_fixup_f64 v[3:4], v[3:4], v[11:12], 0x40200000
	v_cndmask_b32_e64 v15, 0, 1, vcc_lo
	s_delay_alu instid0(VALU_DEP_1) | instskip(NEXT) | instid1(VALU_DEP_1)
	v_lshlrev_b32_e32 v15, 8, v15
	v_ldexp_f64 v[11:12], v[11:12], v15
	s_delay_alu instid0(VALU_DEP_4) | instskip(NEXT) | instid1(VALU_DEP_2)
	v_add_f64 v[3:4], v[3:4], -2.0
	v_rsq_f64_e32 v[15:16], v[11:12]
	s_delay_alu instid0(VALU_DEP_1)
	v_fma_f64 v[9:10], v[3:4], s[16:17], s[12:13]
	s_mov_b32 s17, 0x3c5a8c5d
	s_mov_b32 s12, 0x17771d52
	;; [unrolled: 1-line block ×3, first 2 shown]
	s_waitcnt_depctr 0xfff
	v_mul_f64 v[18:19], v[11:12], v[15:16]
	v_mul_f64 v[15:16], v[15:16], 0.5
	v_fma_f64 v[13:14], v[3:4], v[9:10], s[16:17]
	s_delay_alu instid0(VALU_DEP_2) | instskip(NEXT) | instid1(VALU_DEP_2)
	v_fma_f64 v[20:21], -v[15:16], v[18:19], 0.5
	v_add_f64 v[13:14], v[13:14], s[12:13]
	s_mov_b32 s12, 0x44ee2c0b
	s_mov_b32 s13, 0x3caa7d5e
	s_delay_alu instid0(VALU_DEP_2) | instskip(SKIP_1) | instid1(VALU_DEP_3)
	v_fma_f64 v[18:19], v[18:19], v[20:21], v[18:19]
	v_fma_f64 v[15:16], v[15:16], v[20:21], v[15:16]
	v_fma_f64 v[9:10], v[3:4], v[13:14], -v[9:10]
	s_delay_alu instid0(VALU_DEP_3) | instskip(NEXT) | instid1(VALU_DEP_2)
	v_fma_f64 v[20:21], -v[18:19], v[18:19], v[11:12]
	v_add_f64 v[9:10], v[9:10], s[12:13]
	s_mov_b32 s12, 0xd8758ef2
	s_mov_b32 s13, 0xbcc5d2a3
	s_delay_alu instid0(VALU_DEP_2) | instskip(NEXT) | instid1(VALU_DEP_2)
	v_fma_f64 v[18:19], v[20:21], v[15:16], v[18:19]
	v_fma_f64 v[13:14], v[3:4], v[9:10], -v[13:14]
	s_delay_alu instid0(VALU_DEP_1) | instskip(SKIP_2) | instid1(VALU_DEP_1)
	v_add_f64 v[13:14], v[13:14], s[12:13]
	s_mov_b32 s12, 0xefee81bd
	s_mov_b32 s13, 0x3ce25ced
	v_fma_f64 v[9:10], v[3:4], v[13:14], -v[9:10]
	s_delay_alu instid0(VALU_DEP_1) | instskip(SKIP_2) | instid1(VALU_DEP_1)
	v_add_f64 v[9:10], v[9:10], s[12:13]
	s_mov_b32 s12, 0x364185ab
	s_mov_b32 s13, 0xbcff9d52
	;; [unrolled: 5-line block ×20, first 2 shown]
	v_fma_f64 v[3:4], v[3:4], v[9:10], -v[13:14]
	v_fma_f64 v[9:10], -v[18:19], v[18:19], v[11:12]
	s_delay_alu instid0(VALU_DEP_2) | instskip(NEXT) | instid1(VALU_DEP_2)
	v_add_f64 v[3:4], v[3:4], s[12:13]
	v_fma_f64 v[9:10], v[9:10], v[15:16], v[18:19]
	s_delay_alu instid0(VALU_DEP_2) | instskip(SKIP_2) | instid1(VALU_DEP_2)
	v_add_f64 v[3:4], v[3:4], -v[13:14]
	v_cndmask_b32_e64 v13, 0, 0xffffff80, vcc_lo
	v_cmp_class_f64_e64 vcc_lo, v[11:12], 0x260
	v_ldexp_f64 v[9:10], v[9:10], v13
	s_delay_alu instid0(VALU_DEP_4) | instskip(NEXT) | instid1(VALU_DEP_2)
	v_mul_f64 v[3:4], v[3:4], 0.5
	v_dual_cndmask_b32 v10, v10, v12 :: v_dual_cndmask_b32 v9, v9, v11
	s_delay_alu instid0(VALU_DEP_1) | instskip(NEXT) | instid1(VALU_DEP_1)
	v_div_scale_f64 v[11:12], null, v[9:10], v[9:10], v[3:4]
	v_rcp_f64_e32 v[13:14], v[11:12]
	s_waitcnt_depctr 0xfff
	v_fma_f64 v[15:16], -v[11:12], v[13:14], 1.0
	s_delay_alu instid0(VALU_DEP_1) | instskip(NEXT) | instid1(VALU_DEP_1)
	v_fma_f64 v[13:14], v[13:14], v[15:16], v[13:14]
	v_fma_f64 v[15:16], -v[11:12], v[13:14], 1.0
	s_delay_alu instid0(VALU_DEP_1) | instskip(SKIP_1) | instid1(VALU_DEP_1)
	v_fma_f64 v[13:14], v[13:14], v[15:16], v[13:14]
	v_div_scale_f64 v[15:16], vcc_lo, v[3:4], v[9:10], v[3:4]
	v_mul_f64 v[18:19], v[15:16], v[13:14]
	s_delay_alu instid0(VALU_DEP_1) | instskip(NEXT) | instid1(VALU_DEP_1)
	v_fma_f64 v[11:12], -v[11:12], v[18:19], v[15:16]
	v_div_fmas_f64 v[11:12], v[11:12], v[13:14], v[18:19]
	s_delay_alu instid0(VALU_DEP_1)
	v_div_fixup_f64 v[3:4], v[11:12], v[9:10], v[3:4]
.LBB5_25:
	s_or_b32 exec_lo, exec_lo, s0
.LBB5_26:
	s_delay_alu instid0(SALU_CYCLE_1)
	s_or_b32 exec_lo, exec_lo, s10
.LBB5_27:
	s_delay_alu instid0(SALU_CYCLE_1) | instskip(SKIP_2) | instid1(VALU_DEP_2)
	s_or_b32 exec_lo, exec_lo, s9
	v_mov_b32_e32 v11, 0
	v_mov_b32_e32 v12, 0x7ff00000
	;; [unrolled: 1-line block ×3, first 2 shown]
	s_mov_b32 s9, exec_lo
	s_delay_alu instid0(VALU_DEP_2)
	v_mov_b32_e32 v10, v12
	s_waitcnt vmcnt(0)
	v_cmpx_neq_f64_e32 0, v[5:6]
	s_cbranch_execz .LBB5_39
; %bb.28:
	v_mov_b32_e32 v9, 0
	v_mov_b32_e32 v10, 0x7ff80000
	s_mov_b32 s10, exec_lo
	v_cmpx_ngt_f64_e32 0, v[5:6]
	s_cbranch_execz .LBB5_38
; %bb.29:
	s_mov_b32 s0, exec_lo
	v_cmpx_ge_f64_e32 2.0, v[5:6]
	s_xor_b32 s11, exec_lo, s0
	s_cbranch_execz .LBB5_35
; %bb.30:
	v_mul_f64 v[9:10], v[5:6], 0.5
	s_mov_b32 s0, exec_lo
                                        ; implicit-def: $vgpr15_vgpr16
                                        ; implicit-def: $vgpr13_vgpr14
	v_cmpx_ge_f64_e32 0x40200000, v[5:6]
	s_xor_b32 s0, exec_lo, s0
	s_cbranch_execz .LBB5_32
; %bb.31:
	s_delay_alu instid0(VALU_DEP_2)
	v_add_f64 v[13:14], v[9:10], -2.0
	s_mov_b32 s12, 0xc38a0576
	s_mov_b32 s13, 0xbc7857d0
	;; [unrolled: 1-line block ×4, first 2 shown]
	v_cmp_nlt_f64_e32 vcc_lo, 0x40900000, v[5:6]
	s_delay_alu instid0(VALU_DEP_2) | instskip(SKIP_3) | instid1(VALU_DEP_1)
	v_fma_f64 v[15:16], v[13:14], s[16:17], s[12:13]
	s_mov_b32 s17, 0xbc499f2a
	s_mov_b32 s12, 0xe593bfac
	;; [unrolled: 1-line block ×3, first 2 shown]
	v_fma_f64 v[18:19], v[13:14], v[15:16], s[16:17]
	s_mov_b32 s16, 0x6a5dcb37
	s_mov_b32 s17, 0x3e5ade15
	s_delay_alu instid0(VALU_DEP_1) | instskip(SKIP_2) | instid1(VALU_DEP_1)
	v_add_f64 v[18:19], v[18:19], s[12:13]
	s_mov_b32 s12, 0x7e0d1573
	s_mov_b32 s13, 0xbcd3eaaa
	v_fma_f64 v[15:16], v[13:14], v[18:19], -v[15:16]
	s_delay_alu instid0(VALU_DEP_1) | instskip(SKIP_2) | instid1(VALU_DEP_1)
	v_add_f64 v[15:16], v[15:16], s[12:13]
	s_mov_b32 s12, 0x615290c
	s_mov_b32 s13, 0x3d011d7f
	v_fma_f64 v[18:19], v[13:14], v[15:16], -v[18:19]
	;; [unrolled: 5-line block ×19, first 2 shown]
	s_delay_alu instid0(VALU_DEP_1) | instskip(SKIP_2) | instid1(SALU_CYCLE_1)
	v_add_f64 v[15:16], v[15:16], s[12:13]
	s_mov_b32 s12, 0x652b82fe
	s_mov_b32 s13, 0x3ff71547
	v_mul_f64 v[20:21], v[5:6], s[12:13]
	s_mov_b32 s12, 0x49d3a1b4
	s_mov_b32 s13, 0x3f710653
	s_delay_alu instid0(VALU_DEP_2) | instskip(NEXT) | instid1(VALU_DEP_2)
	v_fma_f64 v[18:19], v[13:14], v[15:16], -v[18:19]
	v_rndne_f64_e32 v[20:21], v[20:21]
	s_delay_alu instid0(VALU_DEP_2)
	v_add_f64 v[18:19], v[18:19], s[12:13]
	s_mov_b32 s12, 0xfefa39ef
	s_mov_b32 s13, 0xbfe62e42
	s_delay_alu instid0(VALU_DEP_2) | instid1(SALU_CYCLE_1)
	v_fma_f64 v[22:23], v[20:21], s[12:13], v[5:6]
	s_mov_b32 s12, 0x7913a26a
	s_mov_b32 s13, 0xbf85a29f
	s_delay_alu instid0(VALU_DEP_2) | instskip(NEXT) | instid1(VALU_DEP_1)
	v_fma_f64 v[15:16], v[13:14], v[18:19], -v[15:16]
	v_add_f64 v[15:16], v[15:16], s[12:13]
	s_mov_b32 s12, 0x3b39803f
	s_mov_b32 s13, 0xbc7abc9e
	s_delay_alu instid0(VALU_DEP_3) | instid1(SALU_CYCLE_1)
	v_fma_f64 v[22:23], v[20:21], s[12:13], v[22:23]
	s_mov_b32 s12, 0xfca7ab0c
	s_mov_b32 s13, 0x3e928af3
	s_delay_alu instid0(VALU_DEP_2) | instskip(NEXT) | instid1(VALU_DEP_2)
	v_fma_f64 v[18:19], v[13:14], v[15:16], -v[18:19]
	v_fma_f64 v[24:25], v[22:23], s[16:17], s[12:13]
	s_mov_b32 s12, 0xe7bb2349
	s_mov_b32 s13, 0x3f9951e3
	s_delay_alu instid0(VALU_DEP_2) | instid1(SALU_CYCLE_1)
	v_add_f64 v[18:19], v[18:19], s[12:13]
	s_mov_b32 s12, 0x623fde64
	s_mov_b32 s13, 0x3ec71dee
	s_delay_alu instid0(VALU_DEP_2) | instid1(SALU_CYCLE_1)
	v_fma_f64 v[24:25], v[22:23], v[24:25], s[12:13]
	s_mov_b32 s12, 0x7c89e6b0
	s_mov_b32 s13, 0x3efa0199
	s_delay_alu instid0(VALU_DEP_2) | instskip(NEXT) | instid1(VALU_DEP_2)
	v_fma_f64 v[15:16], v[13:14], v[18:19], -v[15:16]
	v_fma_f64 v[24:25], v[22:23], v[24:25], s[12:13]
	s_mov_b32 s12, 0x537c9ebc
	s_mov_b32 s13, 0xbfab1bbc
	s_delay_alu instid0(VALU_DEP_2) | instid1(SALU_CYCLE_1)
	v_add_f64 v[15:16], v[15:16], s[12:13]
	s_mov_b32 s12, 0x14761f6e
	s_mov_b32 s13, 0x3f2a01a0
	s_delay_alu instid0(VALU_DEP_2) | instid1(SALU_CYCLE_1)
	;; [unrolled: 13-line block ×4, first 2 shown]
	v_fma_f64 v[24:25], v[22:23], v[24:25], s[12:13]
	s_mov_b32 s12, 11
	s_mov_b32 s13, 0x3fe00000
	s_delay_alu instid0(VALU_DEP_2) | instskip(NEXT) | instid1(VALU_DEP_2)
	v_fma_f64 v[13:14], v[13:14], v[15:16], -v[18:19]
	v_fma_f64 v[15:16], v[22:23], v[24:25], s[12:13]
	s_mov_b32 s12, 0x724a7ffa
	s_mov_b32 s13, 0x3fd02a63
	s_delay_alu instid0(VALU_DEP_2) | instid1(SALU_CYCLE_1)
	v_add_f64 v[13:14], v[13:14], s[12:13]
	s_delay_alu instid0(VALU_DEP_2) | instskip(NEXT) | instid1(VALU_DEP_2)
	v_fma_f64 v[15:16], v[22:23], v[15:16], 1.0
	v_add_f64 v[13:14], v[13:14], -v[18:19]
	v_cvt_i32_f64_e32 v18, v[20:21]
	s_delay_alu instid0(VALU_DEP_3) | instskip(NEXT) | instid1(VALU_DEP_3)
	v_fma_f64 v[15:16], v[22:23], v[15:16], 1.0
	v_mul_f64 v[13:14], v[13:14], 0.5
	s_delay_alu instid0(VALU_DEP_2) | instskip(NEXT) | instid1(VALU_DEP_2)
	v_ldexp_f64 v[15:16], v[15:16], v18
	v_mul_f64 v[18:19], v[5:6], v[13:14]
	s_delay_alu instid0(VALU_DEP_2) | instskip(NEXT) | instid1(VALU_DEP_3)
	v_cndmask_b32_e32 v14, 0x7ff00000, v16, vcc_lo
	v_cndmask_b32_e32 v13, 0, v15, vcc_lo
	s_delay_alu instid0(VALU_DEP_1)
	v_mul_f64 v[15:16], v[13:14], v[18:19]
.LBB5_32:
	s_and_not1_saveexec_b32 s1, s0
	s_cbranch_execz .LBB5_34
; %bb.33:
	v_div_scale_f64 v[13:14], null, v[5:6], v[5:6], 0x40400000
	v_div_scale_f64 v[20:21], vcc_lo, 0x40400000, v[5:6], 0x40400000
	s_mov_b32 s12, 0xea87b950
	s_mov_b32 s13, 0x3c545b8a
	;; [unrolled: 1-line block ×4, first 2 shown]
	v_cmp_nlt_f64_e64 s0, 0x40900000, v[5:6]
	s_delay_alu instid0(VALU_DEP_3) | instskip(SKIP_2) | instid1(VALU_DEP_1)
	v_rcp_f64_e32 v[15:16], v[13:14]
	s_waitcnt_depctr 0xfff
	v_fma_f64 v[18:19], -v[13:14], v[15:16], 1.0
	v_fma_f64 v[15:16], v[15:16], v[18:19], v[15:16]
	s_delay_alu instid0(VALU_DEP_1) | instskip(NEXT) | instid1(VALU_DEP_1)
	v_fma_f64 v[18:19], -v[13:14], v[15:16], 1.0
	v_fma_f64 v[15:16], v[15:16], v[18:19], v[15:16]
	s_delay_alu instid0(VALU_DEP_1) | instskip(NEXT) | instid1(VALU_DEP_1)
	v_mul_f64 v[18:19], v[20:21], v[15:16]
	v_fma_f64 v[13:14], -v[13:14], v[18:19], v[20:21]
	s_delay_alu instid0(VALU_DEP_1) | instskip(SKIP_1) | instid1(VALU_DEP_2)
	v_div_fmas_f64 v[13:14], v[13:14], v[15:16], v[18:19]
	v_cmp_gt_f64_e32 vcc_lo, 0x10000000, v[5:6]
	v_div_fixup_f64 v[13:14], v[13:14], v[5:6], 0x40400000
	v_cndmask_b32_e64 v26, 0, 1, vcc_lo
	s_delay_alu instid0(VALU_DEP_1) | instskip(NEXT) | instid1(VALU_DEP_1)
	v_lshlrev_b32_e32 v26, 8, v26
	v_ldexp_f64 v[26:27], v[5:6], v26
	s_delay_alu instid0(VALU_DEP_4) | instskip(NEXT) | instid1(VALU_DEP_2)
	v_add_f64 v[13:14], v[13:14], -2.0
	v_rsq_f64_e32 v[28:29], v[26:27]
	s_delay_alu instid0(VALU_DEP_1)
	v_fma_f64 v[15:16], v[13:14], s[16:17], s[12:13]
	s_mov_b32 s17, 0xbc61556d
	s_mov_b32 s12, 0xb2532277
	;; [unrolled: 1-line block ×3, first 2 shown]
	s_waitcnt_depctr 0xfff
	v_mul_f64 v[30:31], v[26:27], v[28:29]
	v_mul_f64 v[28:29], v[28:29], 0.5
	v_fma_f64 v[18:19], v[13:14], v[15:16], s[16:17]
	s_mov_b32 s16, 0x6a5dcb37
	s_mov_b32 s17, 0x3e5ade15
	s_delay_alu instid0(VALU_DEP_2) | instskip(NEXT) | instid1(VALU_DEP_2)
	v_fma_f64 v[32:33], -v[28:29], v[30:31], 0.5
	v_add_f64 v[18:19], v[18:19], s[12:13]
	s_mov_b32 s12, 0x9c773320
	s_mov_b32 s13, 0xbc82806c
	s_delay_alu instid0(VALU_DEP_2) | instskip(SKIP_1) | instid1(VALU_DEP_3)
	v_fma_f64 v[30:31], v[30:31], v[32:33], v[30:31]
	v_fma_f64 v[28:29], v[28:29], v[32:33], v[28:29]
	v_fma_f64 v[15:16], v[13:14], v[18:19], -v[15:16]
	s_delay_alu instid0(VALU_DEP_3) | instskip(NEXT) | instid1(VALU_DEP_2)
	v_fma_f64 v[32:33], -v[30:31], v[30:31], v[26:27]
	v_add_f64 v[15:16], v[15:16], s[12:13]
	s_mov_b32 s12, 0xfceb588a
	s_mov_b32 s13, 0x3cb55915
	s_delay_alu instid0(VALU_DEP_1) | instskip(NEXT) | instid1(VALU_DEP_1)
	v_fma_f64 v[18:19], v[13:14], v[15:16], -v[18:19]
	v_add_f64 v[18:19], v[18:19], s[12:13]
	s_mov_b32 s12, 0x5f04a2d1
	s_mov_b32 s13, 0x3cb7d68e
	s_delay_alu instid0(VALU_DEP_1) | instskip(NEXT) | instid1(VALU_DEP_1)
	v_fma_f64 v[15:16], v[13:14], v[18:19], -v[15:16]
	;; [unrolled: 5-line block ×14, first 2 shown]
	v_add_f64 v[15:16], v[15:16], s[12:13]
	s_mov_b32 s12, 0x652b82fe
	s_mov_b32 s13, 0x3ff71547
	s_delay_alu instid0(SALU_CYCLE_1) | instskip(SKIP_2) | instid1(VALU_DEP_2)
	v_mul_f64 v[20:21], v[5:6], s[12:13]
	s_mov_b32 s12, 0x9ad53528
	s_mov_b32 s13, 0xbe30790b
	v_fma_f64 v[18:19], v[13:14], v[15:16], -v[18:19]
	s_delay_alu instid0(VALU_DEP_2) | instskip(NEXT) | instid1(VALU_DEP_2)
	v_rndne_f64_e32 v[20:21], v[20:21]
	v_add_f64 v[18:19], v[18:19], s[12:13]
	s_mov_b32 s12, 0xfefa39ef
	s_mov_b32 s13, 0xbfe62e42
	s_delay_alu instid0(VALU_DEP_2) | instid1(SALU_CYCLE_1)
	v_fma_f64 v[22:23], v[20:21], s[12:13], v[5:6]
	s_mov_b32 s12, 0x3b39803f
	s_mov_b32 s13, 0xbc7abc9e
	s_delay_alu instid0(VALU_DEP_2) | instskip(NEXT) | instid1(VALU_DEP_2)
	v_fma_f64 v[15:16], v[13:14], v[18:19], -v[15:16]
	v_fma_f64 v[22:23], v[20:21], s[12:13], v[22:23]
	s_mov_b32 s12, 0x94bb46c1
	s_mov_b32 s13, 0xbe5c4153
	s_delay_alu instid0(VALU_DEP_2) | instid1(SALU_CYCLE_1)
	v_add_f64 v[15:16], v[15:16], s[12:13]
	s_mov_b32 s12, 0xfca7ab0c
	s_mov_b32 s13, 0x3e928af3
	s_delay_alu instid0(VALU_DEP_2) | instid1(SALU_CYCLE_1)
	v_fma_f64 v[24:25], v[22:23], s[16:17], s[12:13]
	s_mov_b32 s12, 0x623fde64
	s_mov_b32 s13, 0x3ec71dee
	s_delay_alu instid0(VALU_DEP_2) | instskip(NEXT) | instid1(VALU_DEP_2)
	v_fma_f64 v[18:19], v[13:14], v[15:16], -v[18:19]
	v_fma_f64 v[24:25], v[22:23], v[24:25], s[12:13]
	s_mov_b32 s12, 0x2e9e5443
	s_mov_b32 s13, 0xbe90dbfd
	s_delay_alu instid0(VALU_DEP_2) | instid1(SALU_CYCLE_1)
	;; [unrolled: 13-line block ×5, first 2 shown]
	v_add_f64 v[15:16], v[15:16], s[12:13]
	s_mov_b32 s12, 11
	s_mov_b32 s13, 0x3fe00000
	s_delay_alu instid0(VALU_DEP_2) | instid1(SALU_CYCLE_1)
	v_fma_f64 v[24:25], v[22:23], v[24:25], s[12:13]
	s_mov_b32 s12, 0xb55b1514
	s_mov_b32 s13, 0x3fe8ea18
	s_delay_alu instid0(VALU_DEP_2) | instskip(SKIP_2) | instid1(VALU_DEP_4)
	v_fma_f64 v[13:14], v[13:14], v[15:16], -v[18:19]
	v_fma_f64 v[15:16], v[32:33], v[28:29], v[30:31]
	v_cvt_i32_f64_e32 v30, v[20:21]
	v_fma_f64 v[24:25], v[22:23], v[24:25], 1.0
	s_delay_alu instid0(VALU_DEP_4) | instskip(NEXT) | instid1(VALU_DEP_4)
	v_add_f64 v[13:14], v[13:14], s[12:13]
	v_fma_f64 v[20:21], -v[15:16], v[15:16], v[26:27]
	s_delay_alu instid0(VALU_DEP_3) | instskip(NEXT) | instid1(VALU_DEP_3)
	v_fma_f64 v[22:23], v[22:23], v[24:25], 1.0
	v_add_f64 v[13:14], v[13:14], -v[18:19]
	s_delay_alu instid0(VALU_DEP_3) | instskip(NEXT) | instid1(VALU_DEP_3)
	v_fma_f64 v[15:16], v[20:21], v[28:29], v[15:16]
	v_ldexp_f64 v[18:19], v[22:23], v30
	s_delay_alu instid0(VALU_DEP_3) | instskip(SKIP_2) | instid1(VALU_DEP_4)
	v_mul_f64 v[20:21], v[13:14], 0.5
	v_cndmask_b32_e64 v13, 0, 0xffffff80, vcc_lo
	v_cmp_class_f64_e64 vcc_lo, v[26:27], 0x260
	v_cndmask_b32_e64 v14, 0x7ff00000, v19, s0
	s_delay_alu instid0(VALU_DEP_3) | instskip(SKIP_1) | instid1(VALU_DEP_1)
	v_ldexp_f64 v[15:16], v[15:16], v13
	v_cndmask_b32_e64 v13, 0, v18, s0
	v_mul_f64 v[18:19], v[13:14], v[20:21]
	s_delay_alu instid0(VALU_DEP_3) | instskip(NEXT) | instid1(VALU_DEP_1)
	v_dual_cndmask_b32 v16, v16, v27 :: v_dual_cndmask_b32 v15, v15, v26
	v_div_scale_f64 v[20:21], null, v[15:16], v[15:16], v[18:19]
	s_delay_alu instid0(VALU_DEP_1) | instskip(SKIP_2) | instid1(VALU_DEP_1)
	v_rcp_f64_e32 v[22:23], v[20:21]
	s_waitcnt_depctr 0xfff
	v_fma_f64 v[24:25], -v[20:21], v[22:23], 1.0
	v_fma_f64 v[22:23], v[22:23], v[24:25], v[22:23]
	s_delay_alu instid0(VALU_DEP_1) | instskip(NEXT) | instid1(VALU_DEP_1)
	v_fma_f64 v[24:25], -v[20:21], v[22:23], 1.0
	v_fma_f64 v[22:23], v[22:23], v[24:25], v[22:23]
	v_div_scale_f64 v[24:25], vcc_lo, v[18:19], v[15:16], v[18:19]
	s_delay_alu instid0(VALU_DEP_1) | instskip(NEXT) | instid1(VALU_DEP_1)
	v_mul_f64 v[26:27], v[24:25], v[22:23]
	v_fma_f64 v[20:21], -v[20:21], v[26:27], v[24:25]
	s_delay_alu instid0(VALU_DEP_1) | instskip(NEXT) | instid1(VALU_DEP_1)
	v_div_fmas_f64 v[20:21], v[20:21], v[22:23], v[26:27]
	v_div_fixup_f64 v[15:16], v[20:21], v[15:16], v[18:19]
.LBB5_34:
	s_or_b32 exec_lo, exec_lo, s1
	s_delay_alu instid0(VALU_DEP_2)
	v_frexp_mant_f64_e32 v[18:19], v[9:10]
	s_mov_b32 s1, 0x3fe55555
	s_mov_b32 s0, 0x55555555
	v_mov_b32_e32 v20, 0
	v_fma_f64 v[32:33], v[5:6], v[5:6], -2.0
	s_mov_b32 s12, 0x7a0399e0
	s_mov_b32 s13, 0xbce5dd51
	;; [unrolled: 1-line block ×4, first 2 shown]
	v_frexp_exp_i32_f64_e32 v36, v[9:10]
	s_delay_alu instid0(VALU_DEP_4) | instskip(SKIP_1) | instid1(VALU_DEP_3)
	v_cmp_gt_f64_e32 vcc_lo, s[0:1], v[18:19]
	s_mov_b32 s0, 0x55555780
	v_fma_f64 v[34:35], v[32:33], s[16:17], s[12:13]
	s_mov_b32 s17, 0x3c603228
	s_mov_b32 s12, 0xddd0e045
	;; [unrolled: 1-line block ×3, first 2 shown]
	v_cndmask_b32_e64 v21, 0x3ff00000, 2.0, vcc_lo
	s_delay_alu instid0(VALU_DEP_1) | instskip(NEXT) | instid1(VALU_DEP_1)
	v_mul_f64 v[18:19], v[18:19], v[20:21]
	v_add_f64 v[20:21], v[18:19], 1.0
	v_add_f64 v[26:27], v[18:19], -1.0
	s_delay_alu instid0(VALU_DEP_2) | instskip(SKIP_1) | instid1(VALU_DEP_1)
	v_rcp_f64_e32 v[22:23], v[20:21]
	v_add_f64 v[28:29], v[20:21], -1.0
	v_add_f64 v[18:19], v[18:19], -v[28:29]
	s_waitcnt_depctr 0xfff
	v_fma_f64 v[24:25], -v[20:21], v[22:23], 1.0
	s_delay_alu instid0(VALU_DEP_1) | instskip(NEXT) | instid1(VALU_DEP_1)
	v_fma_f64 v[22:23], v[24:25], v[22:23], v[22:23]
	v_fma_f64 v[24:25], -v[20:21], v[22:23], 1.0
	s_delay_alu instid0(VALU_DEP_1) | instskip(NEXT) | instid1(VALU_DEP_1)
	v_fma_f64 v[22:23], v[24:25], v[22:23], v[22:23]
	v_mul_f64 v[24:25], v[26:27], v[22:23]
	s_delay_alu instid0(VALU_DEP_1) | instskip(NEXT) | instid1(VALU_DEP_1)
	v_mul_f64 v[30:31], v[20:21], v[24:25]
	v_fma_f64 v[20:21], v[24:25], v[20:21], -v[30:31]
	s_delay_alu instid0(VALU_DEP_1) | instskip(NEXT) | instid1(VALU_DEP_1)
	v_fma_f64 v[18:19], v[24:25], v[18:19], v[20:21]
	v_add_f64 v[20:21], v[30:31], v[18:19]
	s_delay_alu instid0(VALU_DEP_1) | instskip(SKIP_1) | instid1(VALU_DEP_2)
	v_add_f64 v[28:29], v[26:27], -v[20:21]
	v_add_f64 v[30:31], v[20:21], -v[30:31]
	v_add_f64 v[26:27], v[26:27], -v[28:29]
	s_delay_alu instid0(VALU_DEP_2) | instskip(NEXT) | instid1(VALU_DEP_2)
	v_add_f64 v[18:19], v[30:31], -v[18:19]
	v_add_f64 v[20:21], v[26:27], -v[20:21]
	v_fma_f64 v[26:27], v[32:33], v[34:35], s[16:17]
	s_mov_b32 s16, 0xbf559e2b
	s_mov_b32 s17, 0x3fc3ab76
	s_delay_alu instid0(VALU_DEP_2) | instskip(NEXT) | instid1(VALU_DEP_2)
	v_add_f64 v[18:19], v[18:19], v[20:21]
	v_add_f64 v[20:21], v[26:27], s[12:13]
	s_mov_b32 s12, 0xb84626ca
	s_mov_b32 s13, 0xbde3663b
	s_delay_alu instid0(VALU_DEP_2) | instskip(NEXT) | instid1(VALU_DEP_2)
	v_add_f64 v[18:19], v[28:29], v[18:19]
	v_fma_f64 v[26:27], v[32:33], v[20:21], -v[34:35]
	s_delay_alu instid0(VALU_DEP_2) | instskip(NEXT) | instid1(VALU_DEP_2)
	v_mul_f64 v[18:19], v[22:23], v[18:19]
	v_add_f64 v[22:23], v[26:27], s[12:13]
	s_mov_b32 s12, 0x145c31d0
	s_mov_b32 s13, 0xbe57c41d
	s_delay_alu instid0(VALU_DEP_2) | instskip(NEXT) | instid1(VALU_DEP_2)
	v_add_f64 v[26:27], v[24:25], v[18:19]
	v_fma_f64 v[20:21], v[32:33], v[22:23], -v[20:21]
	s_delay_alu instid0(VALU_DEP_2) | instskip(NEXT) | instid1(VALU_DEP_2)
	v_mul_f64 v[28:29], v[26:27], v[26:27]
	v_add_f64 v[20:21], v[20:21], s[12:13]
	s_mov_b32 s12, 0x6b47b09a
	s_mov_b32 s13, 0x3fc38538
	v_add_f64 v[24:25], v[26:27], -v[24:25]
	s_delay_alu instid0(VALU_DEP_3) | instskip(NEXT) | instid1(VALU_DEP_3)
	v_fma_f64 v[30:31], v[28:29], s[16:17], s[12:13]
	v_fma_f64 v[22:23], v[32:33], v[20:21], -v[22:23]
	s_mov_b32 s12, 0xd7f4df2e
	s_mov_b32 s13, 0x3fc7474d
	v_mul_f64 v[34:35], v[26:27], v[28:29]
	s_delay_alu instid0(VALU_DEP_4) | instskip(NEXT) | instid1(VALU_DEP_4)
	v_add_f64 v[18:19], v[18:19], -v[24:25]
	v_fma_f64 v[30:31], v[28:29], v[30:31], s[12:13]
	s_mov_b32 s12, 0x2c832e3a
	s_mov_b32 s13, 0xbec469b3
	s_delay_alu instid0(VALU_DEP_4) | instid1(SALU_CYCLE_1)
	v_add_f64 v[22:23], v[22:23], s[12:13]
	s_mov_b32 s12, 0x16291751
	s_mov_b32 s13, 0x3fcc71c0
	s_delay_alu instid0(VALU_DEP_3) | instskip(NEXT) | instid1(VALU_DEP_3)
	v_ldexp_f64 v[18:19], v[18:19], 1
	v_fma_f64 v[30:31], v[28:29], v[30:31], s[12:13]
	s_mov_b32 s12, 0x9b27acf1
	s_mov_b32 s13, 0x3fd24924
	s_delay_alu instid0(VALU_DEP_3) | instskip(NEXT) | instid1(VALU_DEP_2)
	v_fma_f64 v[20:21], v[32:33], v[22:23], -v[20:21]
	v_fma_f64 v[30:31], v[28:29], v[30:31], s[12:13]
	s_mov_b32 s12, 0xe5a3bd02
	s_mov_b32 s13, 0xbf26ade2
	s_delay_alu instid0(VALU_DEP_2) | instid1(SALU_CYCLE_1)
	v_add_f64 v[20:21], v[20:21], s[12:13]
	s_mov_b32 s12, 0x998ef7b6
	s_mov_b32 s13, 0x3fd99999
	s_delay_alu instid0(VALU_DEP_2) | instid1(SALU_CYCLE_1)
	v_fma_f64 v[30:31], v[28:29], v[30:31], s[12:13]
	s_delay_alu instid0(VALU_DEP_2) | instskip(NEXT) | instid1(VALU_DEP_2)
	v_fma_f64 v[22:23], v[32:33], v[20:21], -v[22:23]
	v_fma_f64 v[28:29], v[28:29], v[30:31], s[0:1]
	s_mov_b32 s0, 0x9d7d4192
	s_mov_b32 s1, 0xbf7c9293
	v_ldexp_f64 v[30:31], v[26:27], 1
	s_delay_alu instid0(VALU_DEP_3) | instskip(SKIP_2) | instid1(VALU_DEP_3)
	v_add_f64 v[22:23], v[22:23], s[0:1]
	s_mov_b32 s0, 0x43c1db74
	s_mov_b32 s1, 0xbfbf6372
	v_mul_f64 v[28:29], v[34:35], v[28:29]
	v_subrev_co_ci_u32_e32 v34, vcc_lo, 0, v36, vcc_lo
	s_delay_alu instid0(VALU_DEP_3) | instskip(NEXT) | instid1(VALU_DEP_2)
	v_fma_f64 v[20:21], v[32:33], v[22:23], -v[20:21]
	v_cvt_f64_i32_e32 v[34:35], v34
	s_delay_alu instid0(VALU_DEP_4) | instskip(NEXT) | instid1(VALU_DEP_3)
	v_add_f64 v[26:27], v[30:31], v[28:29]
	v_add_f64 v[20:21], v[20:21], s[0:1]
	s_mov_b32 s0, 0xfefa39ef
	s_mov_b32 s1, 0x3fe62e42
	s_delay_alu instid0(VALU_DEP_3) | instid1(SALU_CYCLE_1)
	v_mul_f64 v[36:37], v[34:35], s[0:1]
	s_delay_alu instid0(VALU_DEP_3) | instskip(NEXT) | instid1(VALU_DEP_3)
	v_add_f64 v[24:25], v[26:27], -v[30:31]
	v_fma_f64 v[22:23], v[32:33], v[20:21], -v[22:23]
	s_delay_alu instid0(VALU_DEP_3) | instskip(SKIP_2) | instid1(VALU_DEP_3)
	v_fma_f64 v[30:31], v[34:35], s[0:1], -v[36:37]
	s_mov_b32 s0, 0x757b0dd4
	s_mov_b32 s1, 0xbfd69a1b
	v_add_f64 v[24:25], v[28:29], -v[24:25]
	s_delay_alu instid0(VALU_DEP_3)
	v_add_f64 v[22:23], v[22:23], s[0:1]
	s_mov_b32 s0, 0x3b39803f
	s_mov_b32 s1, 0x3c7abc9e
	s_delay_alu instid0(VALU_DEP_3) | instid1(SALU_CYCLE_1)
	v_fma_f64 v[28:29], v[34:35], s[0:1], v[30:31]
	s_mov_b32 s0, 0x361008ca
	s_mov_b32 s1, 0x3ff867a1
	s_delay_alu instid0(VALU_DEP_3) | instskip(NEXT) | instid1(VALU_DEP_3)
	v_add_f64 v[18:19], v[18:19], v[24:25]
	v_fma_f64 v[22:23], v[32:33], v[22:23], -v[20:21]
	s_delay_alu instid0(VALU_DEP_3) | instskip(NEXT) | instid1(VALU_DEP_3)
	v_add_f64 v[24:25], v[36:37], v[28:29]
	v_add_f64 v[30:31], v[26:27], v[18:19]
	s_delay_alu instid0(VALU_DEP_3) | instskip(SKIP_1) | instid1(VALU_DEP_4)
	v_add_f64 v[22:23], v[22:23], s[0:1]
	v_cmp_eq_f64_e64 s0, 0x7ff00000, v[9:10]
	v_add_f64 v[34:35], v[24:25], -v[36:37]
	s_delay_alu instid0(VALU_DEP_4) | instskip(SKIP_2) | instid1(VALU_DEP_4)
	v_add_f64 v[32:33], v[24:25], v[30:31]
	v_add_f64 v[26:27], v[30:31], -v[26:27]
	v_add_f64 v[20:21], v[22:23], -v[20:21]
	v_add_f64 v[28:29], v[28:29], -v[34:35]
	s_delay_alu instid0(VALU_DEP_4) | instskip(NEXT) | instid1(VALU_DEP_4)
	v_add_f64 v[22:23], v[32:33], -v[24:25]
	v_add_f64 v[18:19], v[18:19], -v[26:27]
	s_delay_alu instid0(VALU_DEP_4) | instskip(NEXT) | instid1(VALU_DEP_3)
	v_mul_f64 v[20:21], v[20:21], 0.5
	v_add_f64 v[36:37], v[32:33], -v[22:23]
	v_add_f64 v[22:23], v[30:31], -v[22:23]
	s_delay_alu instid0(VALU_DEP_4) | instskip(NEXT) | instid1(VALU_DEP_4)
	v_add_f64 v[30:31], v[28:29], v[18:19]
	v_div_scale_f64 v[38:39], null, v[5:6], v[5:6], v[20:21]
	s_delay_alu instid0(VALU_DEP_4) | instskip(NEXT) | instid1(VALU_DEP_3)
	v_add_f64 v[24:25], v[24:25], -v[36:37]
	v_add_f64 v[34:35], v[30:31], -v[28:29]
	s_delay_alu instid0(VALU_DEP_3) | instskip(NEXT) | instid1(VALU_DEP_2)
	v_rcp_f64_e32 v[26:27], v[38:39]
	v_add_f64 v[22:23], v[22:23], v[24:25]
	s_delay_alu instid0(VALU_DEP_2) | instskip(SKIP_3) | instid1(VALU_DEP_2)
	v_add_f64 v[18:19], v[18:19], -v[34:35]
	s_waitcnt_depctr 0xfff
	v_fma_f64 v[24:25], -v[38:39], v[26:27], 1.0
	v_add_f64 v[22:23], v[30:31], v[22:23]
	v_fma_f64 v[24:25], v[26:27], v[24:25], v[26:27]
	v_add_f64 v[26:27], v[30:31], -v[34:35]
	s_delay_alu instid0(VALU_DEP_3) | instskip(NEXT) | instid1(VALU_DEP_3)
	v_add_f64 v[30:31], v[32:33], v[22:23]
	v_fma_f64 v[36:37], -v[38:39], v[24:25], 1.0
	s_delay_alu instid0(VALU_DEP_3) | instskip(NEXT) | instid1(VALU_DEP_3)
	v_add_f64 v[26:27], v[28:29], -v[26:27]
	v_add_f64 v[28:29], v[30:31], -v[32:33]
	v_div_scale_f64 v[32:33], vcc_lo, v[20:21], v[5:6], v[20:21]
	s_delay_alu instid0(VALU_DEP_4) | instskip(NEXT) | instid1(VALU_DEP_4)
	v_fma_f64 v[24:25], v[24:25], v[36:37], v[24:25]
	v_add_f64 v[18:19], v[18:19], v[26:27]
	s_delay_alu instid0(VALU_DEP_4) | instskip(NEXT) | instid1(VALU_DEP_3)
	v_add_f64 v[22:23], v[22:23], -v[28:29]
	v_mul_f64 v[26:27], v[32:33], v[24:25]
	s_delay_alu instid0(VALU_DEP_2) | instskip(NEXT) | instid1(VALU_DEP_2)
	v_add_f64 v[18:19], v[18:19], v[22:23]
	v_fma_f64 v[22:23], -v[38:39], v[26:27], v[32:33]
	s_delay_alu instid0(VALU_DEP_2) | instskip(NEXT) | instid1(VALU_DEP_2)
	v_add_f64 v[18:19], v[30:31], v[18:19]
	v_div_fmas_f64 v[22:23], v[22:23], v[24:25], v[26:27]
	v_cmp_neq_f64_e32 vcc_lo, 0, v[9:10]
	s_delay_alu instid0(VALU_DEP_3) | instskip(NEXT) | instid1(VALU_DEP_4)
	v_cndmask_b32_e64 v18, v18, v9, s0
	v_cndmask_b32_e64 v19, v19, v10, s0
	s_delay_alu instid0(VALU_DEP_4) | instskip(NEXT) | instid1(VALU_DEP_3)
	v_div_fixup_f64 v[5:6], v[22:23], v[5:6], v[20:21]
	v_cndmask_b32_e32 v9, 0, v18, vcc_lo
	s_delay_alu instid0(VALU_DEP_3) | instskip(NEXT) | instid1(VALU_DEP_1)
	v_cndmask_b32_e32 v10, 0xfff00000, v19, vcc_lo
	v_fma_f64 v[5:6], v[9:10], v[15:16], v[5:6]
	s_delay_alu instid0(VALU_DEP_1)
	v_mul_f64 v[9:10], v[13:14], v[5:6]
.LBB5_35:
	s_and_not1_saveexec_b32 s0, s11
	s_cbranch_execz .LBB5_37
; %bb.36:
	v_div_scale_f64 v[9:10], null, v[5:6], v[5:6], 0x40200000
	v_div_scale_f64 v[18:19], vcc_lo, 0x40200000, v[5:6], 0x40200000
	s_mov_b32 s12, 0x838f5ed3
	s_mov_b32 s13, 0x3c74af1a
	;; [unrolled: 1-line block ×4, first 2 shown]
	s_delay_alu instid0(VALU_DEP_2) | instskip(SKIP_2) | instid1(VALU_DEP_1)
	v_rcp_f64_e32 v[13:14], v[9:10]
	s_waitcnt_depctr 0xfff
	v_fma_f64 v[15:16], -v[9:10], v[13:14], 1.0
	v_fma_f64 v[13:14], v[13:14], v[15:16], v[13:14]
	s_delay_alu instid0(VALU_DEP_1) | instskip(NEXT) | instid1(VALU_DEP_1)
	v_fma_f64 v[15:16], -v[9:10], v[13:14], 1.0
	v_fma_f64 v[13:14], v[13:14], v[15:16], v[13:14]
	s_delay_alu instid0(VALU_DEP_1) | instskip(NEXT) | instid1(VALU_DEP_1)
	v_mul_f64 v[15:16], v[18:19], v[13:14]
	v_fma_f64 v[9:10], -v[9:10], v[15:16], v[18:19]
	s_delay_alu instid0(VALU_DEP_1) | instskip(SKIP_1) | instid1(VALU_DEP_2)
	v_div_fmas_f64 v[9:10], v[9:10], v[13:14], v[15:16]
	v_cmp_gt_f64_e32 vcc_lo, 0x10000000, v[5:6]
	v_div_fixup_f64 v[9:10], v[9:10], v[5:6], 0x40200000
	v_cndmask_b32_e64 v18, 0, 1, vcc_lo
	s_delay_alu instid0(VALU_DEP_1) | instskip(NEXT) | instid1(VALU_DEP_1)
	v_lshlrev_b32_e32 v18, 8, v18
	v_ldexp_f64 v[5:6], v[5:6], v18
	s_delay_alu instid0(VALU_DEP_4) | instskip(NEXT) | instid1(VALU_DEP_2)
	v_add_f64 v[9:10], v[9:10], -2.0
	v_rsq_f64_e32 v[18:19], v[5:6]
	s_delay_alu instid0(VALU_DEP_1)
	v_fma_f64 v[13:14], v[9:10], s[16:17], s[12:13]
	s_mov_b32 s17, 0x3c5a8c5d
	s_mov_b32 s12, 0x17771d52
	;; [unrolled: 1-line block ×3, first 2 shown]
	s_waitcnt_depctr 0xfff
	v_mul_f64 v[20:21], v[5:6], v[18:19]
	v_mul_f64 v[18:19], v[18:19], 0.5
	v_fma_f64 v[15:16], v[9:10], v[13:14], s[16:17]
	s_delay_alu instid0(VALU_DEP_2) | instskip(NEXT) | instid1(VALU_DEP_2)
	v_fma_f64 v[22:23], -v[18:19], v[20:21], 0.5
	v_add_f64 v[15:16], v[15:16], s[12:13]
	s_mov_b32 s12, 0x44ee2c0b
	s_mov_b32 s13, 0x3caa7d5e
	s_delay_alu instid0(VALU_DEP_2) | instskip(SKIP_1) | instid1(VALU_DEP_3)
	v_fma_f64 v[20:21], v[20:21], v[22:23], v[20:21]
	v_fma_f64 v[18:19], v[18:19], v[22:23], v[18:19]
	v_fma_f64 v[13:14], v[9:10], v[15:16], -v[13:14]
	s_delay_alu instid0(VALU_DEP_3) | instskip(NEXT) | instid1(VALU_DEP_2)
	v_fma_f64 v[22:23], -v[20:21], v[20:21], v[5:6]
	v_add_f64 v[13:14], v[13:14], s[12:13]
	s_mov_b32 s12, 0xd8758ef2
	s_mov_b32 s13, 0xbcc5d2a3
	s_delay_alu instid0(VALU_DEP_2) | instskip(NEXT) | instid1(VALU_DEP_2)
	v_fma_f64 v[20:21], v[22:23], v[18:19], v[20:21]
	v_fma_f64 v[15:16], v[9:10], v[13:14], -v[15:16]
	s_delay_alu instid0(VALU_DEP_1) | instskip(SKIP_2) | instid1(VALU_DEP_1)
	v_add_f64 v[15:16], v[15:16], s[12:13]
	s_mov_b32 s12, 0xefee81bd
	s_mov_b32 s13, 0x3ce25ced
	v_fma_f64 v[13:14], v[9:10], v[15:16], -v[13:14]
	s_delay_alu instid0(VALU_DEP_1) | instskip(SKIP_2) | instid1(VALU_DEP_1)
	v_add_f64 v[13:14], v[13:14], s[12:13]
	s_mov_b32 s12, 0x364185ab
	s_mov_b32 s13, 0xbcff9d52
	;; [unrolled: 5-line block ×20, first 2 shown]
	v_fma_f64 v[9:10], v[9:10], v[13:14], -v[15:16]
	v_fma_f64 v[13:14], -v[20:21], v[20:21], v[5:6]
	s_delay_alu instid0(VALU_DEP_2) | instskip(NEXT) | instid1(VALU_DEP_2)
	v_add_f64 v[9:10], v[9:10], s[12:13]
	v_fma_f64 v[13:14], v[13:14], v[18:19], v[20:21]
	s_delay_alu instid0(VALU_DEP_2) | instskip(SKIP_2) | instid1(VALU_DEP_2)
	v_add_f64 v[9:10], v[9:10], -v[15:16]
	v_cndmask_b32_e64 v15, 0, 0xffffff80, vcc_lo
	v_cmp_class_f64_e64 vcc_lo, v[5:6], 0x260
	v_ldexp_f64 v[13:14], v[13:14], v15
	s_delay_alu instid0(VALU_DEP_4) | instskip(NEXT) | instid1(VALU_DEP_2)
	v_mul_f64 v[9:10], v[9:10], 0.5
	v_dual_cndmask_b32 v5, v13, v5 :: v_dual_cndmask_b32 v6, v14, v6
	s_delay_alu instid0(VALU_DEP_1) | instskip(NEXT) | instid1(VALU_DEP_1)
	v_div_scale_f64 v[13:14], null, v[5:6], v[5:6], v[9:10]
	v_rcp_f64_e32 v[15:16], v[13:14]
	s_waitcnt_depctr 0xfff
	v_fma_f64 v[18:19], -v[13:14], v[15:16], 1.0
	s_delay_alu instid0(VALU_DEP_1) | instskip(NEXT) | instid1(VALU_DEP_1)
	v_fma_f64 v[15:16], v[15:16], v[18:19], v[15:16]
	v_fma_f64 v[18:19], -v[13:14], v[15:16], 1.0
	s_delay_alu instid0(VALU_DEP_1) | instskip(SKIP_1) | instid1(VALU_DEP_1)
	v_fma_f64 v[15:16], v[15:16], v[18:19], v[15:16]
	v_div_scale_f64 v[18:19], vcc_lo, v[9:10], v[5:6], v[9:10]
	v_mul_f64 v[20:21], v[18:19], v[15:16]
	s_delay_alu instid0(VALU_DEP_1) | instskip(NEXT) | instid1(VALU_DEP_1)
	v_fma_f64 v[13:14], -v[13:14], v[20:21], v[18:19]
	v_div_fmas_f64 v[13:14], v[13:14], v[15:16], v[20:21]
	s_delay_alu instid0(VALU_DEP_1)
	v_div_fixup_f64 v[9:10], v[13:14], v[5:6], v[9:10]
.LBB5_37:
	s_or_b32 exec_lo, exec_lo, s0
.LBB5_38:
	s_delay_alu instid0(SALU_CYCLE_1)
	s_or_b32 exec_lo, exec_lo, s10
.LBB5_39:
	s_delay_alu instid0(SALU_CYCLE_1) | instskip(NEXT) | instid1(SALU_CYCLE_1)
	s_or_b32 exec_lo, exec_lo, s9
	s_mov_b32 s9, exec_lo
	v_cmpx_neq_f64_e32 0, v[7:8]
	s_cbranch_execz .LBB5_51
; %bb.40:
	v_mov_b32_e32 v11, 0
	v_mov_b32_e32 v12, 0x7ff80000
	s_mov_b32 s10, exec_lo
	v_cmpx_ngt_f64_e32 0, v[7:8]
	s_cbranch_execz .LBB5_50
; %bb.41:
	s_mov_b32 s0, exec_lo
	v_cmpx_ge_f64_e32 2.0, v[7:8]
	s_xor_b32 s11, exec_lo, s0
	s_cbranch_execz .LBB5_47
; %bb.42:
	v_mul_f64 v[5:6], v[7:8], 0.5
	s_mov_b32 s0, exec_lo
                                        ; implicit-def: $vgpr13_vgpr14
                                        ; implicit-def: $vgpr11_vgpr12
	v_cmpx_ge_f64_e32 0x40200000, v[7:8]
	s_xor_b32 s0, exec_lo, s0
	s_cbranch_execz .LBB5_44
; %bb.43:
	s_delay_alu instid0(VALU_DEP_2)
	v_add_f64 v[11:12], v[5:6], -2.0
	s_mov_b32 s12, 0xc38a0576
	s_mov_b32 s13, 0xbc7857d0
	;; [unrolled: 1-line block ×4, first 2 shown]
	v_cmp_nlt_f64_e32 vcc_lo, 0x40900000, v[7:8]
	s_delay_alu instid0(VALU_DEP_2) | instskip(SKIP_3) | instid1(VALU_DEP_1)
	v_fma_f64 v[13:14], v[11:12], s[16:17], s[12:13]
	s_mov_b32 s17, 0xbc499f2a
	s_mov_b32 s12, 0xe593bfac
	s_mov_b32 s13, 0x3ca663e3
	v_fma_f64 v[15:16], v[11:12], v[13:14], s[16:17]
	s_mov_b32 s16, 0x6a5dcb37
	s_mov_b32 s17, 0x3e5ade15
	s_delay_alu instid0(VALU_DEP_1) | instskip(SKIP_2) | instid1(VALU_DEP_1)
	v_add_f64 v[15:16], v[15:16], s[12:13]
	s_mov_b32 s12, 0x7e0d1573
	s_mov_b32 s13, 0xbcd3eaaa
	v_fma_f64 v[13:14], v[11:12], v[15:16], -v[13:14]
	s_delay_alu instid0(VALU_DEP_1) | instskip(SKIP_2) | instid1(VALU_DEP_1)
	v_add_f64 v[13:14], v[13:14], s[12:13]
	s_mov_b32 s12, 0x615290c
	s_mov_b32 s13, 0x3d011d7f
	v_fma_f64 v[15:16], v[11:12], v[13:14], -v[15:16]
	;; [unrolled: 5-line block ×19, first 2 shown]
	s_delay_alu instid0(VALU_DEP_1) | instskip(SKIP_2) | instid1(SALU_CYCLE_1)
	v_add_f64 v[13:14], v[13:14], s[12:13]
	s_mov_b32 s12, 0x652b82fe
	s_mov_b32 s13, 0x3ff71547
	v_mul_f64 v[18:19], v[7:8], s[12:13]
	s_mov_b32 s12, 0x49d3a1b4
	s_mov_b32 s13, 0x3f710653
	s_delay_alu instid0(VALU_DEP_2) | instskip(NEXT) | instid1(VALU_DEP_2)
	v_fma_f64 v[15:16], v[11:12], v[13:14], -v[15:16]
	v_rndne_f64_e32 v[18:19], v[18:19]
	s_delay_alu instid0(VALU_DEP_2)
	v_add_f64 v[15:16], v[15:16], s[12:13]
	s_mov_b32 s12, 0xfefa39ef
	s_mov_b32 s13, 0xbfe62e42
	s_delay_alu instid0(VALU_DEP_2) | instid1(SALU_CYCLE_1)
	v_fma_f64 v[20:21], v[18:19], s[12:13], v[7:8]
	s_mov_b32 s12, 0x7913a26a
	s_mov_b32 s13, 0xbf85a29f
	s_delay_alu instid0(VALU_DEP_2) | instskip(NEXT) | instid1(VALU_DEP_1)
	v_fma_f64 v[13:14], v[11:12], v[15:16], -v[13:14]
	v_add_f64 v[13:14], v[13:14], s[12:13]
	s_mov_b32 s12, 0x3b39803f
	s_mov_b32 s13, 0xbc7abc9e
	s_delay_alu instid0(VALU_DEP_3) | instid1(SALU_CYCLE_1)
	v_fma_f64 v[20:21], v[18:19], s[12:13], v[20:21]
	s_mov_b32 s12, 0xfca7ab0c
	s_mov_b32 s13, 0x3e928af3
	s_delay_alu instid0(VALU_DEP_2) | instskip(NEXT) | instid1(VALU_DEP_2)
	v_fma_f64 v[15:16], v[11:12], v[13:14], -v[15:16]
	v_fma_f64 v[22:23], v[20:21], s[16:17], s[12:13]
	s_mov_b32 s12, 0xe7bb2349
	s_mov_b32 s13, 0x3f9951e3
	s_delay_alu instid0(VALU_DEP_2) | instid1(SALU_CYCLE_1)
	v_add_f64 v[15:16], v[15:16], s[12:13]
	s_mov_b32 s12, 0x623fde64
	s_mov_b32 s13, 0x3ec71dee
	s_delay_alu instid0(VALU_DEP_2) | instid1(SALU_CYCLE_1)
	v_fma_f64 v[22:23], v[20:21], v[22:23], s[12:13]
	s_mov_b32 s12, 0x7c89e6b0
	s_mov_b32 s13, 0x3efa0199
	s_delay_alu instid0(VALU_DEP_2) | instskip(NEXT) | instid1(VALU_DEP_2)
	v_fma_f64 v[13:14], v[11:12], v[15:16], -v[13:14]
	v_fma_f64 v[22:23], v[20:21], v[22:23], s[12:13]
	s_mov_b32 s12, 0x537c9ebc
	s_mov_b32 s13, 0xbfab1bbc
	s_delay_alu instid0(VALU_DEP_2) | instid1(SALU_CYCLE_1)
	v_add_f64 v[13:14], v[13:14], s[12:13]
	s_mov_b32 s12, 0x14761f6e
	s_mov_b32 s13, 0x3f2a01a0
	s_delay_alu instid0(VALU_DEP_2) | instid1(SALU_CYCLE_1)
	;; [unrolled: 13-line block ×4, first 2 shown]
	v_fma_f64 v[22:23], v[20:21], v[22:23], s[12:13]
	s_mov_b32 s12, 11
	s_mov_b32 s13, 0x3fe00000
	s_delay_alu instid0(VALU_DEP_2) | instskip(NEXT) | instid1(VALU_DEP_2)
	v_fma_f64 v[11:12], v[11:12], v[13:14], -v[15:16]
	v_fma_f64 v[13:14], v[20:21], v[22:23], s[12:13]
	s_mov_b32 s12, 0x724a7ffa
	s_mov_b32 s13, 0x3fd02a63
	s_delay_alu instid0(VALU_DEP_2) | instid1(SALU_CYCLE_1)
	v_add_f64 v[11:12], v[11:12], s[12:13]
	s_delay_alu instid0(VALU_DEP_2) | instskip(NEXT) | instid1(VALU_DEP_2)
	v_fma_f64 v[13:14], v[20:21], v[13:14], 1.0
	v_add_f64 v[11:12], v[11:12], -v[15:16]
	v_cvt_i32_f64_e32 v15, v[18:19]
	s_delay_alu instid0(VALU_DEP_3) | instskip(NEXT) | instid1(VALU_DEP_3)
	v_fma_f64 v[13:14], v[20:21], v[13:14], 1.0
	v_mul_f64 v[11:12], v[11:12], 0.5
	s_delay_alu instid0(VALU_DEP_2) | instskip(NEXT) | instid1(VALU_DEP_2)
	v_ldexp_f64 v[13:14], v[13:14], v15
	v_mul_f64 v[15:16], v[7:8], v[11:12]
	s_delay_alu instid0(VALU_DEP_2) | instskip(NEXT) | instid1(VALU_DEP_3)
	v_cndmask_b32_e32 v12, 0x7ff00000, v14, vcc_lo
	v_cndmask_b32_e32 v11, 0, v13, vcc_lo
	s_delay_alu instid0(VALU_DEP_1)
	v_mul_f64 v[13:14], v[11:12], v[15:16]
.LBB5_44:
	s_and_not1_saveexec_b32 s1, s0
	s_cbranch_execz .LBB5_46
; %bb.45:
	v_div_scale_f64 v[11:12], null, v[7:8], v[7:8], 0x40400000
	v_div_scale_f64 v[18:19], vcc_lo, 0x40400000, v[7:8], 0x40400000
	s_mov_b32 s12, 0xea87b950
	s_mov_b32 s13, 0x3c545b8a
	;; [unrolled: 1-line block ×4, first 2 shown]
	v_cmp_nlt_f64_e64 s0, 0x40900000, v[7:8]
	s_delay_alu instid0(VALU_DEP_3) | instskip(SKIP_2) | instid1(VALU_DEP_1)
	v_rcp_f64_e32 v[13:14], v[11:12]
	s_waitcnt_depctr 0xfff
	v_fma_f64 v[15:16], -v[11:12], v[13:14], 1.0
	v_fma_f64 v[13:14], v[13:14], v[15:16], v[13:14]
	s_delay_alu instid0(VALU_DEP_1) | instskip(NEXT) | instid1(VALU_DEP_1)
	v_fma_f64 v[15:16], -v[11:12], v[13:14], 1.0
	v_fma_f64 v[13:14], v[13:14], v[15:16], v[13:14]
	s_delay_alu instid0(VALU_DEP_1) | instskip(NEXT) | instid1(VALU_DEP_1)
	v_mul_f64 v[15:16], v[18:19], v[13:14]
	v_fma_f64 v[11:12], -v[11:12], v[15:16], v[18:19]
	s_delay_alu instid0(VALU_DEP_1) | instskip(SKIP_1) | instid1(VALU_DEP_2)
	v_div_fmas_f64 v[11:12], v[11:12], v[13:14], v[15:16]
	v_cmp_gt_f64_e32 vcc_lo, 0x10000000, v[7:8]
	v_div_fixup_f64 v[11:12], v[11:12], v[7:8], 0x40400000
	v_cndmask_b32_e64 v24, 0, 1, vcc_lo
	s_delay_alu instid0(VALU_DEP_1) | instskip(NEXT) | instid1(VALU_DEP_1)
	v_lshlrev_b32_e32 v24, 8, v24
	v_ldexp_f64 v[24:25], v[7:8], v24
	s_delay_alu instid0(VALU_DEP_4) | instskip(NEXT) | instid1(VALU_DEP_2)
	v_add_f64 v[11:12], v[11:12], -2.0
	v_rsq_f64_e32 v[26:27], v[24:25]
	s_delay_alu instid0(VALU_DEP_1)
	v_fma_f64 v[13:14], v[11:12], s[16:17], s[12:13]
	s_mov_b32 s17, 0xbc61556d
	s_mov_b32 s12, 0xb2532277
	;; [unrolled: 1-line block ×3, first 2 shown]
	s_waitcnt_depctr 0xfff
	v_mul_f64 v[28:29], v[24:25], v[26:27]
	v_mul_f64 v[26:27], v[26:27], 0.5
	v_fma_f64 v[15:16], v[11:12], v[13:14], s[16:17]
	s_mov_b32 s16, 0x6a5dcb37
	s_mov_b32 s17, 0x3e5ade15
	s_delay_alu instid0(VALU_DEP_2) | instskip(NEXT) | instid1(VALU_DEP_2)
	v_fma_f64 v[30:31], -v[26:27], v[28:29], 0.5
	v_add_f64 v[15:16], v[15:16], s[12:13]
	s_mov_b32 s12, 0x9c773320
	s_mov_b32 s13, 0xbc82806c
	s_delay_alu instid0(VALU_DEP_2) | instskip(SKIP_1) | instid1(VALU_DEP_3)
	v_fma_f64 v[28:29], v[28:29], v[30:31], v[28:29]
	v_fma_f64 v[26:27], v[26:27], v[30:31], v[26:27]
	v_fma_f64 v[13:14], v[11:12], v[15:16], -v[13:14]
	s_delay_alu instid0(VALU_DEP_3) | instskip(NEXT) | instid1(VALU_DEP_2)
	v_fma_f64 v[30:31], -v[28:29], v[28:29], v[24:25]
	v_add_f64 v[13:14], v[13:14], s[12:13]
	s_mov_b32 s12, 0xfceb588a
	s_mov_b32 s13, 0x3cb55915
	s_delay_alu instid0(VALU_DEP_1) | instskip(NEXT) | instid1(VALU_DEP_1)
	v_fma_f64 v[15:16], v[11:12], v[13:14], -v[15:16]
	v_add_f64 v[15:16], v[15:16], s[12:13]
	s_mov_b32 s12, 0x5f04a2d1
	s_mov_b32 s13, 0x3cb7d68e
	s_delay_alu instid0(VALU_DEP_1) | instskip(NEXT) | instid1(VALU_DEP_1)
	v_fma_f64 v[13:14], v[11:12], v[15:16], -v[13:14]
	v_add_f64 v[13:14], v[13:14], s[12:13]
	s_mov_b32 s12, 0x8bc4d22a
	s_mov_b32 s13, 0xbce0efcd
	s_delay_alu instid0(VALU_DEP_1) | instskip(NEXT) | instid1(VALU_DEP_1)
	v_fma_f64 v[15:16], v[11:12], v[13:14], -v[15:16]
	v_add_f64 v[15:16], v[15:16], s[12:13]
	s_mov_b32 s12, 0x138afbc7
	s_mov_b32 s13, 0xbcf12db5
	s_delay_alu instid0(VALU_DEP_1) | instskip(NEXT) | instid1(VALU_DEP_1)
	v_fma_f64 v[13:14], v[11:12], v[15:16], -v[13:14]
	v_add_f64 v[13:14], v[13:14], s[12:13]
	s_mov_b32 s12, 0x762d31e8
	s_mov_b32 s13, 0x3d0776e1
	s_delay_alu instid0(VALU_DEP_1) | instskip(NEXT) | instid1(VALU_DEP_1)
	v_fma_f64 v[15:16], v[11:12], v[13:14], -v[15:16]
	v_add_f64 v[15:16], v[15:16], s[12:13]
	s_mov_b32 s12, 0x26b3281e
	s_mov_b32 s13, 0x3d280d3c
	s_delay_alu instid0(VALU_DEP_1) | instskip(NEXT) | instid1(VALU_DEP_1)
	v_fma_f64 v[13:14], v[11:12], v[15:16], -v[13:14]
	v_add_f64 v[13:14], v[13:14], s[12:13]
	s_mov_b32 s12, 0x2e6d22a0
	s_mov_b32 s13, 0xbd17a948
	s_delay_alu instid0(VALU_DEP_1) | instskip(NEXT) | instid1(VALU_DEP_1)
	v_fma_f64 v[15:16], v[11:12], v[13:14], -v[15:16]
	v_add_f64 v[15:16], v[15:16], s[12:13]
	s_mov_b32 s12, 0x8e73e255
	s_mov_b32 s13, 0xbd5cbc45
	s_delay_alu instid0(VALU_DEP_1) | instskip(NEXT) | instid1(VALU_DEP_1)
	v_fma_f64 v[13:14], v[11:12], v[15:16], -v[13:14]
	v_add_f64 v[13:14], v[13:14], s[12:13]
	s_mov_b32 s12, 0x76ab493
	s_mov_b32 s13, 0xbd6953e1
	s_delay_alu instid0(VALU_DEP_1) | instskip(NEXT) | instid1(VALU_DEP_1)
	v_fma_f64 v[15:16], v[11:12], v[13:14], -v[15:16]
	v_add_f64 v[15:16], v[15:16], s[12:13]
	s_mov_b32 s12, 0xf6439fa3
	s_mov_b32 s13, 0x3d81e7d3
	s_delay_alu instid0(VALU_DEP_1) | instskip(NEXT) | instid1(VALU_DEP_1)
	v_fma_f64 v[13:14], v[11:12], v[15:16], -v[13:14]
	v_add_f64 v[13:14], v[13:14], s[12:13]
	s_mov_b32 s12, 0x653c457b
	s_mov_b32 s13, 0x3daf101f
	s_delay_alu instid0(VALU_DEP_1) | instskip(NEXT) | instid1(VALU_DEP_1)
	v_fma_f64 v[15:16], v[11:12], v[13:14], -v[15:16]
	v_add_f64 v[15:16], v[15:16], s[12:13]
	s_mov_b32 s12, 0xf1587865
	s_mov_b32 s13, 0x3dc1e1a1
	s_delay_alu instid0(VALU_DEP_1) | instskip(NEXT) | instid1(VALU_DEP_1)
	v_fma_f64 v[13:14], v[11:12], v[15:16], -v[13:14]
	v_add_f64 v[13:14], v[13:14], s[12:13]
	s_mov_b32 s12, 0xd4504c0c
	s_mov_b32 s13, 0xbdb4dcf9
	s_delay_alu instid0(VALU_DEP_1) | instskip(NEXT) | instid1(VALU_DEP_1)
	v_fma_f64 v[15:16], v[11:12], v[13:14], -v[15:16]
	v_add_f64 v[15:16], v[15:16], s[12:13]
	s_mov_b32 s12, 0x5423dd80
	s_mov_b32 s13, 0xbe0334ca
	s_delay_alu instid0(VALU_DEP_1) | instskip(NEXT) | instid1(VALU_DEP_1)
	v_fma_f64 v[13:14], v[11:12], v[15:16], -v[13:14]
	v_add_f64 v[13:14], v[13:14], s[12:13]
	s_mov_b32 s12, 0x652b82fe
	s_mov_b32 s13, 0x3ff71547
	s_delay_alu instid0(SALU_CYCLE_1) | instskip(SKIP_2) | instid1(VALU_DEP_2)
	v_mul_f64 v[18:19], v[7:8], s[12:13]
	s_mov_b32 s12, 0x9ad53528
	s_mov_b32 s13, 0xbe30790b
	v_fma_f64 v[15:16], v[11:12], v[13:14], -v[15:16]
	s_delay_alu instid0(VALU_DEP_2) | instskip(NEXT) | instid1(VALU_DEP_2)
	v_rndne_f64_e32 v[18:19], v[18:19]
	v_add_f64 v[15:16], v[15:16], s[12:13]
	s_mov_b32 s12, 0xfefa39ef
	s_mov_b32 s13, 0xbfe62e42
	s_delay_alu instid0(VALU_DEP_2) | instid1(SALU_CYCLE_1)
	v_fma_f64 v[20:21], v[18:19], s[12:13], v[7:8]
	s_mov_b32 s12, 0x3b39803f
	s_mov_b32 s13, 0xbc7abc9e
	s_delay_alu instid0(VALU_DEP_2) | instskip(NEXT) | instid1(VALU_DEP_2)
	v_fma_f64 v[13:14], v[11:12], v[15:16], -v[13:14]
	v_fma_f64 v[20:21], v[18:19], s[12:13], v[20:21]
	s_mov_b32 s12, 0x94bb46c1
	s_mov_b32 s13, 0xbe5c4153
	s_delay_alu instid0(VALU_DEP_2) | instid1(SALU_CYCLE_1)
	v_add_f64 v[13:14], v[13:14], s[12:13]
	s_mov_b32 s12, 0xfca7ab0c
	s_mov_b32 s13, 0x3e928af3
	s_delay_alu instid0(VALU_DEP_2) | instid1(SALU_CYCLE_1)
	v_fma_f64 v[22:23], v[20:21], s[16:17], s[12:13]
	s_mov_b32 s12, 0x623fde64
	s_mov_b32 s13, 0x3ec71dee
	s_delay_alu instid0(VALU_DEP_2) | instskip(NEXT) | instid1(VALU_DEP_2)
	v_fma_f64 v[15:16], v[11:12], v[13:14], -v[15:16]
	v_fma_f64 v[22:23], v[20:21], v[22:23], s[12:13]
	s_mov_b32 s12, 0x2e9e5443
	s_mov_b32 s13, 0xbe90dbfd
	s_delay_alu instid0(VALU_DEP_2) | instid1(SALU_CYCLE_1)
	;; [unrolled: 13-line block ×5, first 2 shown]
	v_add_f64 v[13:14], v[13:14], s[12:13]
	s_mov_b32 s12, 11
	s_mov_b32 s13, 0x3fe00000
	s_delay_alu instid0(VALU_DEP_2) | instid1(SALU_CYCLE_1)
	v_fma_f64 v[22:23], v[20:21], v[22:23], s[12:13]
	s_mov_b32 s12, 0xb55b1514
	s_mov_b32 s13, 0x3fe8ea18
	s_delay_alu instid0(VALU_DEP_2) | instskip(SKIP_2) | instid1(VALU_DEP_4)
	v_fma_f64 v[11:12], v[11:12], v[13:14], -v[15:16]
	v_fma_f64 v[13:14], v[30:31], v[26:27], v[28:29]
	v_cvt_i32_f64_e32 v28, v[18:19]
	v_fma_f64 v[22:23], v[20:21], v[22:23], 1.0
	s_delay_alu instid0(VALU_DEP_4) | instskip(NEXT) | instid1(VALU_DEP_4)
	v_add_f64 v[11:12], v[11:12], s[12:13]
	v_fma_f64 v[18:19], -v[13:14], v[13:14], v[24:25]
	s_delay_alu instid0(VALU_DEP_3) | instskip(NEXT) | instid1(VALU_DEP_3)
	v_fma_f64 v[20:21], v[20:21], v[22:23], 1.0
	v_add_f64 v[11:12], v[11:12], -v[15:16]
	s_delay_alu instid0(VALU_DEP_3) | instskip(NEXT) | instid1(VALU_DEP_3)
	v_fma_f64 v[13:14], v[18:19], v[26:27], v[13:14]
	v_ldexp_f64 v[15:16], v[20:21], v28
	s_delay_alu instid0(VALU_DEP_3) | instskip(SKIP_2) | instid1(VALU_DEP_4)
	v_mul_f64 v[18:19], v[11:12], 0.5
	v_cndmask_b32_e64 v11, 0, 0xffffff80, vcc_lo
	v_cmp_class_f64_e64 vcc_lo, v[24:25], 0x260
	v_cndmask_b32_e64 v12, 0x7ff00000, v16, s0
	s_delay_alu instid0(VALU_DEP_3) | instskip(SKIP_1) | instid1(VALU_DEP_1)
	v_ldexp_f64 v[13:14], v[13:14], v11
	v_cndmask_b32_e64 v11, 0, v15, s0
	v_mul_f64 v[15:16], v[11:12], v[18:19]
	s_delay_alu instid0(VALU_DEP_3) | instskip(NEXT) | instid1(VALU_DEP_1)
	v_dual_cndmask_b32 v14, v14, v25 :: v_dual_cndmask_b32 v13, v13, v24
	v_div_scale_f64 v[18:19], null, v[13:14], v[13:14], v[15:16]
	s_delay_alu instid0(VALU_DEP_1) | instskip(SKIP_2) | instid1(VALU_DEP_1)
	v_rcp_f64_e32 v[20:21], v[18:19]
	s_waitcnt_depctr 0xfff
	v_fma_f64 v[22:23], -v[18:19], v[20:21], 1.0
	v_fma_f64 v[20:21], v[20:21], v[22:23], v[20:21]
	s_delay_alu instid0(VALU_DEP_1) | instskip(NEXT) | instid1(VALU_DEP_1)
	v_fma_f64 v[22:23], -v[18:19], v[20:21], 1.0
	v_fma_f64 v[20:21], v[20:21], v[22:23], v[20:21]
	v_div_scale_f64 v[22:23], vcc_lo, v[15:16], v[13:14], v[15:16]
	s_delay_alu instid0(VALU_DEP_1) | instskip(NEXT) | instid1(VALU_DEP_1)
	v_mul_f64 v[24:25], v[22:23], v[20:21]
	v_fma_f64 v[18:19], -v[18:19], v[24:25], v[22:23]
	s_delay_alu instid0(VALU_DEP_1) | instskip(NEXT) | instid1(VALU_DEP_1)
	v_div_fmas_f64 v[18:19], v[18:19], v[20:21], v[24:25]
	v_div_fixup_f64 v[13:14], v[18:19], v[13:14], v[15:16]
.LBB5_46:
	s_or_b32 exec_lo, exec_lo, s1
	s_delay_alu instid0(VALU_DEP_2)
	v_frexp_mant_f64_e32 v[15:16], v[5:6]
	s_mov_b32 s1, 0x3fe55555
	s_mov_b32 s0, 0x55555555
	v_mov_b32_e32 v18, 0
	v_fma_f64 v[30:31], v[7:8], v[7:8], -2.0
	s_mov_b32 s12, 0x7a0399e0
	s_mov_b32 s13, 0xbce5dd51
	;; [unrolled: 1-line block ×4, first 2 shown]
	v_frexp_exp_i32_f64_e32 v34, v[5:6]
	s_delay_alu instid0(VALU_DEP_4) | instskip(SKIP_1) | instid1(VALU_DEP_3)
	v_cmp_gt_f64_e32 vcc_lo, s[0:1], v[15:16]
	s_mov_b32 s0, 0x55555780
	v_fma_f64 v[32:33], v[30:31], s[16:17], s[12:13]
	s_mov_b32 s17, 0x3c603228
	s_mov_b32 s12, 0xddd0e045
	;; [unrolled: 1-line block ×3, first 2 shown]
	v_cndmask_b32_e64 v19, 0x3ff00000, 2.0, vcc_lo
	s_delay_alu instid0(VALU_DEP_1) | instskip(NEXT) | instid1(VALU_DEP_1)
	v_mul_f64 v[15:16], v[15:16], v[18:19]
	v_add_f64 v[18:19], v[15:16], 1.0
	v_add_f64 v[24:25], v[15:16], -1.0
	s_delay_alu instid0(VALU_DEP_2) | instskip(SKIP_1) | instid1(VALU_DEP_1)
	v_rcp_f64_e32 v[20:21], v[18:19]
	v_add_f64 v[26:27], v[18:19], -1.0
	v_add_f64 v[15:16], v[15:16], -v[26:27]
	s_waitcnt_depctr 0xfff
	v_fma_f64 v[22:23], -v[18:19], v[20:21], 1.0
	s_delay_alu instid0(VALU_DEP_1) | instskip(NEXT) | instid1(VALU_DEP_1)
	v_fma_f64 v[20:21], v[22:23], v[20:21], v[20:21]
	v_fma_f64 v[22:23], -v[18:19], v[20:21], 1.0
	s_delay_alu instid0(VALU_DEP_1) | instskip(NEXT) | instid1(VALU_DEP_1)
	v_fma_f64 v[20:21], v[22:23], v[20:21], v[20:21]
	v_mul_f64 v[22:23], v[24:25], v[20:21]
	s_delay_alu instid0(VALU_DEP_1) | instskip(NEXT) | instid1(VALU_DEP_1)
	v_mul_f64 v[28:29], v[18:19], v[22:23]
	v_fma_f64 v[18:19], v[22:23], v[18:19], -v[28:29]
	s_delay_alu instid0(VALU_DEP_1) | instskip(NEXT) | instid1(VALU_DEP_1)
	v_fma_f64 v[15:16], v[22:23], v[15:16], v[18:19]
	v_add_f64 v[18:19], v[28:29], v[15:16]
	s_delay_alu instid0(VALU_DEP_1) | instskip(SKIP_1) | instid1(VALU_DEP_2)
	v_add_f64 v[26:27], v[24:25], -v[18:19]
	v_add_f64 v[28:29], v[18:19], -v[28:29]
	;; [unrolled: 1-line block ×3, first 2 shown]
	s_delay_alu instid0(VALU_DEP_2) | instskip(NEXT) | instid1(VALU_DEP_2)
	v_add_f64 v[15:16], v[28:29], -v[15:16]
	v_add_f64 v[18:19], v[24:25], -v[18:19]
	v_fma_f64 v[24:25], v[30:31], v[32:33], s[16:17]
	s_mov_b32 s16, 0xbf559e2b
	s_mov_b32 s17, 0x3fc3ab76
	s_delay_alu instid0(VALU_DEP_2) | instskip(NEXT) | instid1(VALU_DEP_2)
	v_add_f64 v[15:16], v[15:16], v[18:19]
	v_add_f64 v[18:19], v[24:25], s[12:13]
	s_mov_b32 s12, 0xb84626ca
	s_mov_b32 s13, 0xbde3663b
	s_delay_alu instid0(VALU_DEP_2) | instskip(NEXT) | instid1(VALU_DEP_2)
	v_add_f64 v[15:16], v[26:27], v[15:16]
	v_fma_f64 v[24:25], v[30:31], v[18:19], -v[32:33]
	s_delay_alu instid0(VALU_DEP_2) | instskip(NEXT) | instid1(VALU_DEP_2)
	v_mul_f64 v[15:16], v[20:21], v[15:16]
	v_add_f64 v[20:21], v[24:25], s[12:13]
	s_mov_b32 s12, 0x145c31d0
	s_mov_b32 s13, 0xbe57c41d
	s_delay_alu instid0(VALU_DEP_2) | instskip(NEXT) | instid1(VALU_DEP_2)
	v_add_f64 v[24:25], v[22:23], v[15:16]
	v_fma_f64 v[18:19], v[30:31], v[20:21], -v[18:19]
	s_delay_alu instid0(VALU_DEP_2) | instskip(NEXT) | instid1(VALU_DEP_2)
	v_mul_f64 v[26:27], v[24:25], v[24:25]
	v_add_f64 v[18:19], v[18:19], s[12:13]
	s_mov_b32 s12, 0x6b47b09a
	s_mov_b32 s13, 0x3fc38538
	v_add_f64 v[22:23], v[24:25], -v[22:23]
	s_delay_alu instid0(VALU_DEP_3) | instskip(NEXT) | instid1(VALU_DEP_3)
	v_fma_f64 v[28:29], v[26:27], s[16:17], s[12:13]
	v_fma_f64 v[20:21], v[30:31], v[18:19], -v[20:21]
	s_mov_b32 s12, 0xd7f4df2e
	s_mov_b32 s13, 0x3fc7474d
	v_mul_f64 v[32:33], v[24:25], v[26:27]
	s_delay_alu instid0(VALU_DEP_4) | instskip(NEXT) | instid1(VALU_DEP_4)
	v_add_f64 v[15:16], v[15:16], -v[22:23]
	v_fma_f64 v[28:29], v[26:27], v[28:29], s[12:13]
	s_mov_b32 s12, 0x2c832e3a
	s_mov_b32 s13, 0xbec469b3
	s_delay_alu instid0(VALU_DEP_4) | instid1(SALU_CYCLE_1)
	v_add_f64 v[20:21], v[20:21], s[12:13]
	s_mov_b32 s12, 0x16291751
	s_mov_b32 s13, 0x3fcc71c0
	s_delay_alu instid0(VALU_DEP_3) | instskip(NEXT) | instid1(VALU_DEP_3)
	v_ldexp_f64 v[15:16], v[15:16], 1
	v_fma_f64 v[28:29], v[26:27], v[28:29], s[12:13]
	s_mov_b32 s12, 0x9b27acf1
	s_mov_b32 s13, 0x3fd24924
	s_delay_alu instid0(VALU_DEP_3) | instskip(NEXT) | instid1(VALU_DEP_2)
	v_fma_f64 v[18:19], v[30:31], v[20:21], -v[18:19]
	v_fma_f64 v[28:29], v[26:27], v[28:29], s[12:13]
	s_mov_b32 s12, 0xe5a3bd02
	s_mov_b32 s13, 0xbf26ade2
	s_delay_alu instid0(VALU_DEP_2) | instid1(SALU_CYCLE_1)
	v_add_f64 v[18:19], v[18:19], s[12:13]
	s_mov_b32 s12, 0x998ef7b6
	s_mov_b32 s13, 0x3fd99999
	s_delay_alu instid0(VALU_DEP_2) | instid1(SALU_CYCLE_1)
	v_fma_f64 v[28:29], v[26:27], v[28:29], s[12:13]
	s_delay_alu instid0(VALU_DEP_2) | instskip(NEXT) | instid1(VALU_DEP_2)
	v_fma_f64 v[20:21], v[30:31], v[18:19], -v[20:21]
	v_fma_f64 v[26:27], v[26:27], v[28:29], s[0:1]
	s_mov_b32 s0, 0x9d7d4192
	s_mov_b32 s1, 0xbf7c9293
	v_ldexp_f64 v[28:29], v[24:25], 1
	s_delay_alu instid0(VALU_DEP_3) | instskip(SKIP_2) | instid1(VALU_DEP_3)
	v_add_f64 v[20:21], v[20:21], s[0:1]
	s_mov_b32 s0, 0x43c1db74
	s_mov_b32 s1, 0xbfbf6372
	v_mul_f64 v[26:27], v[32:33], v[26:27]
	v_subrev_co_ci_u32_e32 v32, vcc_lo, 0, v34, vcc_lo
	s_delay_alu instid0(VALU_DEP_3) | instskip(NEXT) | instid1(VALU_DEP_2)
	v_fma_f64 v[18:19], v[30:31], v[20:21], -v[18:19]
	v_cvt_f64_i32_e32 v[32:33], v32
	s_delay_alu instid0(VALU_DEP_4) | instskip(NEXT) | instid1(VALU_DEP_3)
	v_add_f64 v[24:25], v[28:29], v[26:27]
	v_add_f64 v[18:19], v[18:19], s[0:1]
	s_mov_b32 s0, 0xfefa39ef
	s_mov_b32 s1, 0x3fe62e42
	s_delay_alu instid0(VALU_DEP_3) | instid1(SALU_CYCLE_1)
	v_mul_f64 v[34:35], v[32:33], s[0:1]
	s_delay_alu instid0(VALU_DEP_3) | instskip(NEXT) | instid1(VALU_DEP_3)
	v_add_f64 v[22:23], v[24:25], -v[28:29]
	v_fma_f64 v[20:21], v[30:31], v[18:19], -v[20:21]
	s_delay_alu instid0(VALU_DEP_3) | instskip(SKIP_2) | instid1(VALU_DEP_3)
	v_fma_f64 v[28:29], v[32:33], s[0:1], -v[34:35]
	s_mov_b32 s0, 0x757b0dd4
	s_mov_b32 s1, 0xbfd69a1b
	v_add_f64 v[22:23], v[26:27], -v[22:23]
	s_delay_alu instid0(VALU_DEP_3)
	v_add_f64 v[20:21], v[20:21], s[0:1]
	s_mov_b32 s0, 0x3b39803f
	s_mov_b32 s1, 0x3c7abc9e
	s_delay_alu instid0(VALU_DEP_3) | instid1(SALU_CYCLE_1)
	v_fma_f64 v[26:27], v[32:33], s[0:1], v[28:29]
	s_mov_b32 s0, 0x361008ca
	s_mov_b32 s1, 0x3ff867a1
	s_delay_alu instid0(VALU_DEP_3) | instskip(NEXT) | instid1(VALU_DEP_3)
	v_add_f64 v[15:16], v[15:16], v[22:23]
	v_fma_f64 v[20:21], v[30:31], v[20:21], -v[18:19]
	s_delay_alu instid0(VALU_DEP_3) | instskip(NEXT) | instid1(VALU_DEP_3)
	v_add_f64 v[22:23], v[34:35], v[26:27]
	v_add_f64 v[28:29], v[24:25], v[15:16]
	s_delay_alu instid0(VALU_DEP_3) | instskip(SKIP_1) | instid1(VALU_DEP_4)
	v_add_f64 v[20:21], v[20:21], s[0:1]
	v_cmp_eq_f64_e64 s0, 0x7ff00000, v[5:6]
	v_add_f64 v[32:33], v[22:23], -v[34:35]
	s_delay_alu instid0(VALU_DEP_4) | instskip(SKIP_2) | instid1(VALU_DEP_4)
	v_add_f64 v[30:31], v[22:23], v[28:29]
	v_add_f64 v[24:25], v[28:29], -v[24:25]
	v_add_f64 v[18:19], v[20:21], -v[18:19]
	;; [unrolled: 1-line block ×3, first 2 shown]
	s_delay_alu instid0(VALU_DEP_4) | instskip(NEXT) | instid1(VALU_DEP_4)
	v_add_f64 v[20:21], v[30:31], -v[22:23]
	v_add_f64 v[15:16], v[15:16], -v[24:25]
	s_delay_alu instid0(VALU_DEP_4) | instskip(NEXT) | instid1(VALU_DEP_3)
	v_mul_f64 v[18:19], v[18:19], 0.5
	v_add_f64 v[34:35], v[30:31], -v[20:21]
	v_add_f64 v[20:21], v[28:29], -v[20:21]
	s_delay_alu instid0(VALU_DEP_4) | instskip(NEXT) | instid1(VALU_DEP_4)
	v_add_f64 v[28:29], v[26:27], v[15:16]
	v_div_scale_f64 v[36:37], null, v[7:8], v[7:8], v[18:19]
	s_delay_alu instid0(VALU_DEP_4) | instskip(NEXT) | instid1(VALU_DEP_3)
	v_add_f64 v[22:23], v[22:23], -v[34:35]
	v_add_f64 v[32:33], v[28:29], -v[26:27]
	s_delay_alu instid0(VALU_DEP_3) | instskip(NEXT) | instid1(VALU_DEP_2)
	v_rcp_f64_e32 v[24:25], v[36:37]
	v_add_f64 v[20:21], v[20:21], v[22:23]
	s_delay_alu instid0(VALU_DEP_2) | instskip(SKIP_3) | instid1(VALU_DEP_2)
	v_add_f64 v[15:16], v[15:16], -v[32:33]
	s_waitcnt_depctr 0xfff
	v_fma_f64 v[22:23], -v[36:37], v[24:25], 1.0
	v_add_f64 v[20:21], v[28:29], v[20:21]
	v_fma_f64 v[22:23], v[24:25], v[22:23], v[24:25]
	v_add_f64 v[24:25], v[28:29], -v[32:33]
	s_delay_alu instid0(VALU_DEP_3) | instskip(NEXT) | instid1(VALU_DEP_3)
	v_add_f64 v[28:29], v[30:31], v[20:21]
	v_fma_f64 v[34:35], -v[36:37], v[22:23], 1.0
	s_delay_alu instid0(VALU_DEP_3) | instskip(NEXT) | instid1(VALU_DEP_3)
	v_add_f64 v[24:25], v[26:27], -v[24:25]
	v_add_f64 v[26:27], v[28:29], -v[30:31]
	v_div_scale_f64 v[30:31], vcc_lo, v[18:19], v[7:8], v[18:19]
	s_delay_alu instid0(VALU_DEP_4) | instskip(NEXT) | instid1(VALU_DEP_4)
	v_fma_f64 v[22:23], v[22:23], v[34:35], v[22:23]
	v_add_f64 v[15:16], v[15:16], v[24:25]
	s_delay_alu instid0(VALU_DEP_4) | instskip(NEXT) | instid1(VALU_DEP_3)
	v_add_f64 v[20:21], v[20:21], -v[26:27]
	v_mul_f64 v[24:25], v[30:31], v[22:23]
	s_delay_alu instid0(VALU_DEP_2) | instskip(NEXT) | instid1(VALU_DEP_2)
	v_add_f64 v[15:16], v[15:16], v[20:21]
	v_fma_f64 v[20:21], -v[36:37], v[24:25], v[30:31]
	s_delay_alu instid0(VALU_DEP_2) | instskip(NEXT) | instid1(VALU_DEP_2)
	v_add_f64 v[15:16], v[28:29], v[15:16]
	v_div_fmas_f64 v[20:21], v[20:21], v[22:23], v[24:25]
	v_cmp_neq_f64_e32 vcc_lo, 0, v[5:6]
	s_delay_alu instid0(VALU_DEP_3) | instskip(NEXT) | instid1(VALU_DEP_4)
	v_cndmask_b32_e64 v15, v15, v5, s0
	v_cndmask_b32_e64 v16, v16, v6, s0
	s_delay_alu instid0(VALU_DEP_4) | instskip(NEXT) | instid1(VALU_DEP_3)
	v_div_fixup_f64 v[5:6], v[20:21], v[7:8], v[18:19]
	v_cndmask_b32_e32 v7, 0, v15, vcc_lo
	s_delay_alu instid0(VALU_DEP_3) | instskip(NEXT) | instid1(VALU_DEP_1)
	v_cndmask_b32_e32 v8, 0xfff00000, v16, vcc_lo
	v_fma_f64 v[5:6], v[7:8], v[13:14], v[5:6]
                                        ; implicit-def: $vgpr7_vgpr8
	s_delay_alu instid0(VALU_DEP_1)
	v_mul_f64 v[11:12], v[11:12], v[5:6]
.LBB5_47:
	s_and_not1_saveexec_b32 s0, s11
	s_cbranch_execz .LBB5_49
; %bb.48:
	v_div_scale_f64 v[5:6], null, v[7:8], v[7:8], 0x40200000
	v_div_scale_f64 v[15:16], vcc_lo, 0x40200000, v[7:8], 0x40200000
	s_mov_b32 s12, 0x838f5ed3
	s_mov_b32 s13, 0x3c74af1a
	;; [unrolled: 1-line block ×4, first 2 shown]
	s_delay_alu instid0(VALU_DEP_2) | instskip(SKIP_2) | instid1(VALU_DEP_1)
	v_rcp_f64_e32 v[11:12], v[5:6]
	s_waitcnt_depctr 0xfff
	v_fma_f64 v[13:14], -v[5:6], v[11:12], 1.0
	v_fma_f64 v[11:12], v[11:12], v[13:14], v[11:12]
	s_delay_alu instid0(VALU_DEP_1) | instskip(NEXT) | instid1(VALU_DEP_1)
	v_fma_f64 v[13:14], -v[5:6], v[11:12], 1.0
	v_fma_f64 v[11:12], v[11:12], v[13:14], v[11:12]
	s_delay_alu instid0(VALU_DEP_1) | instskip(NEXT) | instid1(VALU_DEP_1)
	v_mul_f64 v[13:14], v[15:16], v[11:12]
	v_fma_f64 v[5:6], -v[5:6], v[13:14], v[15:16]
	s_delay_alu instid0(VALU_DEP_1) | instskip(SKIP_1) | instid1(VALU_DEP_2)
	v_div_fmas_f64 v[5:6], v[5:6], v[11:12], v[13:14]
	v_cmp_gt_f64_e32 vcc_lo, 0x10000000, v[7:8]
	v_div_fixup_f64 v[5:6], v[5:6], v[7:8], 0x40200000
	v_cndmask_b32_e64 v15, 0, 1, vcc_lo
	s_delay_alu instid0(VALU_DEP_1) | instskip(NEXT) | instid1(VALU_DEP_1)
	v_lshlrev_b32_e32 v15, 8, v15
	v_ldexp_f64 v[7:8], v[7:8], v15
	s_delay_alu instid0(VALU_DEP_4) | instskip(NEXT) | instid1(VALU_DEP_2)
	v_add_f64 v[5:6], v[5:6], -2.0
	v_rsq_f64_e32 v[15:16], v[7:8]
	s_delay_alu instid0(VALU_DEP_1)
	v_fma_f64 v[11:12], v[5:6], s[16:17], s[12:13]
	s_mov_b32 s17, 0x3c5a8c5d
	s_mov_b32 s12, 0x17771d52
	;; [unrolled: 1-line block ×3, first 2 shown]
	s_waitcnt_depctr 0xfff
	v_mul_f64 v[18:19], v[7:8], v[15:16]
	v_mul_f64 v[15:16], v[15:16], 0.5
	v_fma_f64 v[13:14], v[5:6], v[11:12], s[16:17]
	s_delay_alu instid0(VALU_DEP_2) | instskip(NEXT) | instid1(VALU_DEP_2)
	v_fma_f64 v[20:21], -v[15:16], v[18:19], 0.5
	v_add_f64 v[13:14], v[13:14], s[12:13]
	s_mov_b32 s12, 0x44ee2c0b
	s_mov_b32 s13, 0x3caa7d5e
	s_delay_alu instid0(VALU_DEP_2) | instskip(SKIP_1) | instid1(VALU_DEP_3)
	v_fma_f64 v[18:19], v[18:19], v[20:21], v[18:19]
	v_fma_f64 v[15:16], v[15:16], v[20:21], v[15:16]
	v_fma_f64 v[11:12], v[5:6], v[13:14], -v[11:12]
	s_delay_alu instid0(VALU_DEP_3) | instskip(NEXT) | instid1(VALU_DEP_2)
	v_fma_f64 v[20:21], -v[18:19], v[18:19], v[7:8]
	v_add_f64 v[11:12], v[11:12], s[12:13]
	s_mov_b32 s12, 0xd8758ef2
	s_mov_b32 s13, 0xbcc5d2a3
	s_delay_alu instid0(VALU_DEP_2) | instskip(NEXT) | instid1(VALU_DEP_2)
	v_fma_f64 v[18:19], v[20:21], v[15:16], v[18:19]
	v_fma_f64 v[13:14], v[5:6], v[11:12], -v[13:14]
	s_delay_alu instid0(VALU_DEP_1) | instskip(SKIP_2) | instid1(VALU_DEP_1)
	v_add_f64 v[13:14], v[13:14], s[12:13]
	s_mov_b32 s12, 0xefee81bd
	s_mov_b32 s13, 0x3ce25ced
	v_fma_f64 v[11:12], v[5:6], v[13:14], -v[11:12]
	s_delay_alu instid0(VALU_DEP_1) | instskip(SKIP_2) | instid1(VALU_DEP_1)
	v_add_f64 v[11:12], v[11:12], s[12:13]
	s_mov_b32 s12, 0x364185ab
	s_mov_b32 s13, 0xbcff9d52
	;; [unrolled: 5-line block ×20, first 2 shown]
	v_fma_f64 v[5:6], v[5:6], v[11:12], -v[13:14]
	v_fma_f64 v[11:12], -v[18:19], v[18:19], v[7:8]
	s_delay_alu instid0(VALU_DEP_2) | instskip(NEXT) | instid1(VALU_DEP_2)
	v_add_f64 v[5:6], v[5:6], s[12:13]
	v_fma_f64 v[11:12], v[11:12], v[15:16], v[18:19]
	s_delay_alu instid0(VALU_DEP_2) | instskip(SKIP_2) | instid1(VALU_DEP_2)
	v_add_f64 v[5:6], v[5:6], -v[13:14]
	v_cndmask_b32_e64 v13, 0, 0xffffff80, vcc_lo
	v_cmp_class_f64_e64 vcc_lo, v[7:8], 0x260
	v_ldexp_f64 v[11:12], v[11:12], v13
	s_delay_alu instid0(VALU_DEP_4) | instskip(NEXT) | instid1(VALU_DEP_2)
	v_mul_f64 v[5:6], v[5:6], 0.5
	v_dual_cndmask_b32 v8, v12, v8 :: v_dual_cndmask_b32 v7, v11, v7
	s_delay_alu instid0(VALU_DEP_1) | instskip(NEXT) | instid1(VALU_DEP_1)
	v_div_scale_f64 v[11:12], null, v[7:8], v[7:8], v[5:6]
	v_rcp_f64_e32 v[13:14], v[11:12]
	s_waitcnt_depctr 0xfff
	v_fma_f64 v[15:16], -v[11:12], v[13:14], 1.0
	s_delay_alu instid0(VALU_DEP_1) | instskip(NEXT) | instid1(VALU_DEP_1)
	v_fma_f64 v[13:14], v[13:14], v[15:16], v[13:14]
	v_fma_f64 v[15:16], -v[11:12], v[13:14], 1.0
	s_delay_alu instid0(VALU_DEP_1) | instskip(SKIP_1) | instid1(VALU_DEP_1)
	v_fma_f64 v[13:14], v[13:14], v[15:16], v[13:14]
	v_div_scale_f64 v[15:16], vcc_lo, v[5:6], v[7:8], v[5:6]
	v_mul_f64 v[18:19], v[15:16], v[13:14]
	s_delay_alu instid0(VALU_DEP_1) | instskip(NEXT) | instid1(VALU_DEP_1)
	v_fma_f64 v[11:12], -v[11:12], v[18:19], v[15:16]
	v_div_fmas_f64 v[11:12], v[11:12], v[13:14], v[18:19]
	s_delay_alu instid0(VALU_DEP_1)
	v_div_fixup_f64 v[11:12], v[11:12], v[7:8], v[5:6]
.LBB5_49:
	s_or_b32 exec_lo, exec_lo, s0
.LBB5_50:
	s_delay_alu instid0(SALU_CYCLE_1)
	s_or_b32 exec_lo, exec_lo, s10
.LBB5_51:
	s_delay_alu instid0(SALU_CYCLE_1) | instskip(SKIP_3) | instid1(VALU_DEP_1)
	s_or_b32 exec_lo, exec_lo, s9
	s_add_u32 s2, s4, s2
	s_addc_u32 s3, s5, s3
	v_add_co_u32 v5, s0, s2, v17
	v_add_co_ci_u32_e64 v6, null, s3, 0, s0
	s_delay_alu instid0(VALU_DEP_2) | instskip(NEXT) | instid1(VALU_DEP_2)
	v_add_co_u32 v5, vcc_lo, 0x1000, v5
	v_add_co_ci_u32_e32 v6, vcc_lo, 0, v6, vcc_lo
	s_clause 0x1
	global_store_b128 v17, v[1:4], s[2:3]
	global_store_b128 v[5:6], v[9:12], off
	s_branch .LBB5_2
.LBB5_52:
	v_dual_mov_b32 v31, v0 :: v_dual_mov_b32 v0, s4
	v_dual_mov_b32 v1, s5 :: v_dual_mov_b32 v2, s6
	;; [unrolled: 1-line block ×3, first 2 shown]
	s_mov_b32 s12, s15
	s_getpc_b64 s[0:1]
	s_add_u32 s0, s0, _ZN2at6native25elementwise_kernel_helperILb0EZZZNS0_12_GLOBAL__N_137scaled_modified_bessel_k1_kernel_cudaERNS_18TensorIteratorBaseEENKUlvE_clEvENKUlvE_clEvEUldE_NS0_6memory8policies11unroll_baseILi256ESt5arrayIPcLm2EE23TrivialOffsetCalculatorILi1EjESF_NS8_15LoadWithoutCastENS8_16StoreWithoutCastELi4ELi1EEEEEvT0_T1_@rel32@lo+4
	s_addc_u32 s1, s1, _ZN2at6native25elementwise_kernel_helperILb0EZZZNS0_12_GLOBAL__N_137scaled_modified_bessel_k1_kernel_cudaERNS_18TensorIteratorBaseEENKUlvE_clEvENKUlvE_clEvEUldE_NS0_6memory8policies11unroll_baseILi256ESt5arrayIPcLm2EE23TrivialOffsetCalculatorILi1EjESF_NS8_15LoadWithoutCastENS8_16StoreWithoutCastELi4ELi1EEEEEvT0_T1_@rel32@hi+12
	s_delay_alu instid0(SALU_CYCLE_1)
	s_swappc_b64 s[30:31], s[0:1]
	s_endpgm
	.section	.rodata,"a",@progbits
	.p2align	6, 0x0
	.amdhsa_kernel _ZN2at6native29vectorized_elementwise_kernelILi2EZZZNS0_12_GLOBAL__N_137scaled_modified_bessel_k1_kernel_cudaERNS_18TensorIteratorBaseEENKUlvE_clEvENKUlvE_clEvEUldE_St5arrayIPcLm2EEEEviT0_T1_
		.amdhsa_group_segment_fixed_size 0
		.amdhsa_private_segment_fixed_size 0
		.amdhsa_kernarg_size 24
		.amdhsa_user_sgpr_count 15
		.amdhsa_user_sgpr_dispatch_ptr 0
		.amdhsa_user_sgpr_queue_ptr 0
		.amdhsa_user_sgpr_kernarg_segment_ptr 1
		.amdhsa_user_sgpr_dispatch_id 0
		.amdhsa_user_sgpr_private_segment_size 0
		.amdhsa_wavefront_size32 1
		.amdhsa_uses_dynamic_stack 0
		.amdhsa_enable_private_segment 0
		.amdhsa_system_sgpr_workgroup_id_x 1
		.amdhsa_system_sgpr_workgroup_id_y 0
		.amdhsa_system_sgpr_workgroup_id_z 0
		.amdhsa_system_sgpr_workgroup_info 0
		.amdhsa_system_vgpr_workitem_id 0
		.amdhsa_next_free_vgpr 54
		.amdhsa_next_free_sgpr 33
		.amdhsa_reserve_vcc 1
		.amdhsa_float_round_mode_32 0
		.amdhsa_float_round_mode_16_64 0
		.amdhsa_float_denorm_mode_32 3
		.amdhsa_float_denorm_mode_16_64 3
		.amdhsa_dx10_clamp 1
		.amdhsa_ieee_mode 1
		.amdhsa_fp16_overflow 0
		.amdhsa_workgroup_processor_mode 1
		.amdhsa_memory_ordered 1
		.amdhsa_forward_progress 0
		.amdhsa_shared_vgpr_count 0
		.amdhsa_exception_fp_ieee_invalid_op 0
		.amdhsa_exception_fp_denorm_src 0
		.amdhsa_exception_fp_ieee_div_zero 0
		.amdhsa_exception_fp_ieee_overflow 0
		.amdhsa_exception_fp_ieee_underflow 0
		.amdhsa_exception_fp_ieee_inexact 0
		.amdhsa_exception_int_div_zero 0
	.end_amdhsa_kernel
	.section	.text._ZN2at6native29vectorized_elementwise_kernelILi2EZZZNS0_12_GLOBAL__N_137scaled_modified_bessel_k1_kernel_cudaERNS_18TensorIteratorBaseEENKUlvE_clEvENKUlvE_clEvEUldE_St5arrayIPcLm2EEEEviT0_T1_,"axG",@progbits,_ZN2at6native29vectorized_elementwise_kernelILi2EZZZNS0_12_GLOBAL__N_137scaled_modified_bessel_k1_kernel_cudaERNS_18TensorIteratorBaseEENKUlvE_clEvENKUlvE_clEvEUldE_St5arrayIPcLm2EEEEviT0_T1_,comdat
.Lfunc_end5:
	.size	_ZN2at6native29vectorized_elementwise_kernelILi2EZZZNS0_12_GLOBAL__N_137scaled_modified_bessel_k1_kernel_cudaERNS_18TensorIteratorBaseEENKUlvE_clEvENKUlvE_clEvEUldE_St5arrayIPcLm2EEEEviT0_T1_, .Lfunc_end5-_ZN2at6native29vectorized_elementwise_kernelILi2EZZZNS0_12_GLOBAL__N_137scaled_modified_bessel_k1_kernel_cudaERNS_18TensorIteratorBaseEENKUlvE_clEvENKUlvE_clEvEUldE_St5arrayIPcLm2EEEEviT0_T1_
                                        ; -- End function
	.section	.AMDGPU.csdata,"",@progbits
; Kernel info:
; codeLenInByte = 24648
; NumSgprs: 35
; NumVgprs: 54
; ScratchSize: 0
; MemoryBound: 0
; FloatMode: 240
; IeeeMode: 1
; LDSByteSize: 0 bytes/workgroup (compile time only)
; SGPRBlocks: 4
; VGPRBlocks: 6
; NumSGPRsForWavesPerEU: 35
; NumVGPRsForWavesPerEU: 54
; Occupancy: 16
; WaveLimiterHint : 1
; COMPUTE_PGM_RSRC2:SCRATCH_EN: 0
; COMPUTE_PGM_RSRC2:USER_SGPR: 15
; COMPUTE_PGM_RSRC2:TRAP_HANDLER: 0
; COMPUTE_PGM_RSRC2:TGID_X_EN: 1
; COMPUTE_PGM_RSRC2:TGID_Y_EN: 0
; COMPUTE_PGM_RSRC2:TGID_Z_EN: 0
; COMPUTE_PGM_RSRC2:TIDIG_COMP_CNT: 0
	.section	.text._ZN2at6native27unrolled_elementwise_kernelIZZZNS0_12_GLOBAL__N_137scaled_modified_bessel_k1_kernel_cudaERNS_18TensorIteratorBaseEENKUlvE_clEvENKUlvE_clEvEUldE_St5arrayIPcLm2EELi4E23TrivialOffsetCalculatorILi1EjESC_NS0_6memory15LoadWithoutCastENSD_16StoreWithoutCastEEEviT_T0_T2_T3_T4_T5_,"axG",@progbits,_ZN2at6native27unrolled_elementwise_kernelIZZZNS0_12_GLOBAL__N_137scaled_modified_bessel_k1_kernel_cudaERNS_18TensorIteratorBaseEENKUlvE_clEvENKUlvE_clEvEUldE_St5arrayIPcLm2EELi4E23TrivialOffsetCalculatorILi1EjESC_NS0_6memory15LoadWithoutCastENSD_16StoreWithoutCastEEEviT_T0_T2_T3_T4_T5_,comdat
	.globl	_ZN2at6native27unrolled_elementwise_kernelIZZZNS0_12_GLOBAL__N_137scaled_modified_bessel_k1_kernel_cudaERNS_18TensorIteratorBaseEENKUlvE_clEvENKUlvE_clEvEUldE_St5arrayIPcLm2EELi4E23TrivialOffsetCalculatorILi1EjESC_NS0_6memory15LoadWithoutCastENSD_16StoreWithoutCastEEEviT_T0_T2_T3_T4_T5_ ; -- Begin function _ZN2at6native27unrolled_elementwise_kernelIZZZNS0_12_GLOBAL__N_137scaled_modified_bessel_k1_kernel_cudaERNS_18TensorIteratorBaseEENKUlvE_clEvENKUlvE_clEvEUldE_St5arrayIPcLm2EELi4E23TrivialOffsetCalculatorILi1EjESC_NS0_6memory15LoadWithoutCastENSD_16StoreWithoutCastEEEviT_T0_T2_T3_T4_T5_
	.p2align	8
	.type	_ZN2at6native27unrolled_elementwise_kernelIZZZNS0_12_GLOBAL__N_137scaled_modified_bessel_k1_kernel_cudaERNS_18TensorIteratorBaseEENKUlvE_clEvENKUlvE_clEvEUldE_St5arrayIPcLm2EELi4E23TrivialOffsetCalculatorILi1EjESC_NS0_6memory15LoadWithoutCastENSD_16StoreWithoutCastEEEviT_T0_T2_T3_T4_T5_,@function
_ZN2at6native27unrolled_elementwise_kernelIZZZNS0_12_GLOBAL__N_137scaled_modified_bessel_k1_kernel_cudaERNS_18TensorIteratorBaseEENKUlvE_clEvENKUlvE_clEvEUldE_St5arrayIPcLm2EELi4E23TrivialOffsetCalculatorILi1EjESC_NS0_6memory15LoadWithoutCastENSD_16StoreWithoutCastEEEviT_T0_T2_T3_T4_T5_: ; @_ZN2at6native27unrolled_elementwise_kernelIZZZNS0_12_GLOBAL__N_137scaled_modified_bessel_k1_kernel_cudaERNS_18TensorIteratorBaseEENKUlvE_clEvENKUlvE_clEvEUldE_St5arrayIPcLm2EELi4E23TrivialOffsetCalculatorILi1EjESC_NS0_6memory15LoadWithoutCastENSD_16StoreWithoutCastEEEviT_T0_T2_T3_T4_T5_
; %bb.0:
	s_clause 0x1
	s_load_b32 s6, s[0:1], 0x0
	s_load_b128 s[0:3], s[0:1], 0x8
	s_lshl_b32 s7, s15, 10
	s_getpc_b64 s[4:5]
	s_add_u32 s4, s4, _ZN2at6native25elementwise_kernel_helperILb0EZZZNS0_12_GLOBAL__N_137scaled_modified_bessel_k1_kernel_cudaERNS_18TensorIteratorBaseEENKUlvE_clEvENKUlvE_clEvEUldE_NS0_6memory8policies11unroll_baseILi256ESt5arrayIPcLm2EE23TrivialOffsetCalculatorILi1EjESF_NS8_15LoadWithoutCastENS8_16StoreWithoutCastELi4ELi1EEEEEvT0_T1_@rel32@lo+4
	s_addc_u32 s5, s5, _ZN2at6native25elementwise_kernel_helperILb0EZZZNS0_12_GLOBAL__N_137scaled_modified_bessel_k1_kernel_cudaERNS_18TensorIteratorBaseEENKUlvE_clEvENKUlvE_clEvEUldE_NS0_6memory8policies11unroll_baseILi256ESt5arrayIPcLm2EE23TrivialOffsetCalculatorILi1EjESF_NS8_15LoadWithoutCastENS8_16StoreWithoutCastELi4ELi1EEEEEvT0_T1_@rel32@hi+12
	v_mov_b32_e32 v31, v0
	s_mov_b32 s12, s15
	s_mov_b32 s32, 0
	s_waitcnt lgkmcnt(0)
	s_sub_i32 s6, s6, s7
	v_dual_mov_b32 v0, s0 :: v_dual_mov_b32 v1, s1
	v_dual_mov_b32 v2, s2 :: v_dual_mov_b32 v3, s3
	v_mov_b32_e32 v4, s6
	s_swappc_b64 s[30:31], s[4:5]
	s_endpgm
	.section	.rodata,"a",@progbits
	.p2align	6, 0x0
	.amdhsa_kernel _ZN2at6native27unrolled_elementwise_kernelIZZZNS0_12_GLOBAL__N_137scaled_modified_bessel_k1_kernel_cudaERNS_18TensorIteratorBaseEENKUlvE_clEvENKUlvE_clEvEUldE_St5arrayIPcLm2EELi4E23TrivialOffsetCalculatorILi1EjESC_NS0_6memory15LoadWithoutCastENSD_16StoreWithoutCastEEEviT_T0_T2_T3_T4_T5_
		.amdhsa_group_segment_fixed_size 0
		.amdhsa_private_segment_fixed_size 0
		.amdhsa_kernarg_size 28
		.amdhsa_user_sgpr_count 15
		.amdhsa_user_sgpr_dispatch_ptr 0
		.amdhsa_user_sgpr_queue_ptr 0
		.amdhsa_user_sgpr_kernarg_segment_ptr 1
		.amdhsa_user_sgpr_dispatch_id 0
		.amdhsa_user_sgpr_private_segment_size 0
		.amdhsa_wavefront_size32 1
		.amdhsa_uses_dynamic_stack 0
		.amdhsa_enable_private_segment 0
		.amdhsa_system_sgpr_workgroup_id_x 1
		.amdhsa_system_sgpr_workgroup_id_y 0
		.amdhsa_system_sgpr_workgroup_id_z 0
		.amdhsa_system_sgpr_workgroup_info 0
		.amdhsa_system_vgpr_workitem_id 0
		.amdhsa_next_free_vgpr 54
		.amdhsa_next_free_sgpr 33
		.amdhsa_reserve_vcc 1
		.amdhsa_float_round_mode_32 0
		.amdhsa_float_round_mode_16_64 0
		.amdhsa_float_denorm_mode_32 3
		.amdhsa_float_denorm_mode_16_64 3
		.amdhsa_dx10_clamp 1
		.amdhsa_ieee_mode 1
		.amdhsa_fp16_overflow 0
		.amdhsa_workgroup_processor_mode 1
		.amdhsa_memory_ordered 1
		.amdhsa_forward_progress 0
		.amdhsa_shared_vgpr_count 0
		.amdhsa_exception_fp_ieee_invalid_op 0
		.amdhsa_exception_fp_denorm_src 0
		.amdhsa_exception_fp_ieee_div_zero 0
		.amdhsa_exception_fp_ieee_overflow 0
		.amdhsa_exception_fp_ieee_underflow 0
		.amdhsa_exception_fp_ieee_inexact 0
		.amdhsa_exception_int_div_zero 0
	.end_amdhsa_kernel
	.section	.text._ZN2at6native27unrolled_elementwise_kernelIZZZNS0_12_GLOBAL__N_137scaled_modified_bessel_k1_kernel_cudaERNS_18TensorIteratorBaseEENKUlvE_clEvENKUlvE_clEvEUldE_St5arrayIPcLm2EELi4E23TrivialOffsetCalculatorILi1EjESC_NS0_6memory15LoadWithoutCastENSD_16StoreWithoutCastEEEviT_T0_T2_T3_T4_T5_,"axG",@progbits,_ZN2at6native27unrolled_elementwise_kernelIZZZNS0_12_GLOBAL__N_137scaled_modified_bessel_k1_kernel_cudaERNS_18TensorIteratorBaseEENKUlvE_clEvENKUlvE_clEvEUldE_St5arrayIPcLm2EELi4E23TrivialOffsetCalculatorILi1EjESC_NS0_6memory15LoadWithoutCastENSD_16StoreWithoutCastEEEviT_T0_T2_T3_T4_T5_,comdat
.Lfunc_end6:
	.size	_ZN2at6native27unrolled_elementwise_kernelIZZZNS0_12_GLOBAL__N_137scaled_modified_bessel_k1_kernel_cudaERNS_18TensorIteratorBaseEENKUlvE_clEvENKUlvE_clEvEUldE_St5arrayIPcLm2EELi4E23TrivialOffsetCalculatorILi1EjESC_NS0_6memory15LoadWithoutCastENSD_16StoreWithoutCastEEEviT_T0_T2_T3_T4_T5_, .Lfunc_end6-_ZN2at6native27unrolled_elementwise_kernelIZZZNS0_12_GLOBAL__N_137scaled_modified_bessel_k1_kernel_cudaERNS_18TensorIteratorBaseEENKUlvE_clEvENKUlvE_clEvEUldE_St5arrayIPcLm2EELi4E23TrivialOffsetCalculatorILi1EjESC_NS0_6memory15LoadWithoutCastENSD_16StoreWithoutCastEEEviT_T0_T2_T3_T4_T5_
                                        ; -- End function
	.section	.AMDGPU.csdata,"",@progbits
; Kernel info:
; codeLenInByte = 92
; NumSgprs: 35
; NumVgprs: 54
; ScratchSize: 0
; MemoryBound: 0
; FloatMode: 240
; IeeeMode: 1
; LDSByteSize: 0 bytes/workgroup (compile time only)
; SGPRBlocks: 4
; VGPRBlocks: 6
; NumSGPRsForWavesPerEU: 35
; NumVGPRsForWavesPerEU: 54
; Occupancy: 16
; WaveLimiterHint : 0
; COMPUTE_PGM_RSRC2:SCRATCH_EN: 0
; COMPUTE_PGM_RSRC2:USER_SGPR: 15
; COMPUTE_PGM_RSRC2:TRAP_HANDLER: 0
; COMPUTE_PGM_RSRC2:TGID_X_EN: 1
; COMPUTE_PGM_RSRC2:TGID_Y_EN: 0
; COMPUTE_PGM_RSRC2:TGID_Z_EN: 0
; COMPUTE_PGM_RSRC2:TIDIG_COMP_CNT: 0
	.section	.text._ZN2at6native32elementwise_kernel_manual_unrollILi128ELi4EZNS0_22gpu_kernel_impl_nocastIZZZNS0_12_GLOBAL__N_137scaled_modified_bessel_k1_kernel_cudaERNS_18TensorIteratorBaseEENKUlvE_clEvENKUlvE_clEvEUldE_EEvS5_RKT_EUlibE_EEviT1_,"axG",@progbits,_ZN2at6native32elementwise_kernel_manual_unrollILi128ELi4EZNS0_22gpu_kernel_impl_nocastIZZZNS0_12_GLOBAL__N_137scaled_modified_bessel_k1_kernel_cudaERNS_18TensorIteratorBaseEENKUlvE_clEvENKUlvE_clEvEUldE_EEvS5_RKT_EUlibE_EEviT1_,comdat
	.globl	_ZN2at6native32elementwise_kernel_manual_unrollILi128ELi4EZNS0_22gpu_kernel_impl_nocastIZZZNS0_12_GLOBAL__N_137scaled_modified_bessel_k1_kernel_cudaERNS_18TensorIteratorBaseEENKUlvE_clEvENKUlvE_clEvEUldE_EEvS5_RKT_EUlibE_EEviT1_ ; -- Begin function _ZN2at6native32elementwise_kernel_manual_unrollILi128ELi4EZNS0_22gpu_kernel_impl_nocastIZZZNS0_12_GLOBAL__N_137scaled_modified_bessel_k1_kernel_cudaERNS_18TensorIteratorBaseEENKUlvE_clEvENKUlvE_clEvEUldE_EEvS5_RKT_EUlibE_EEviT1_
	.p2align	8
	.type	_ZN2at6native32elementwise_kernel_manual_unrollILi128ELi4EZNS0_22gpu_kernel_impl_nocastIZZZNS0_12_GLOBAL__N_137scaled_modified_bessel_k1_kernel_cudaERNS_18TensorIteratorBaseEENKUlvE_clEvENKUlvE_clEvEUldE_EEvS5_RKT_EUlibE_EEviT1_,@function
_ZN2at6native32elementwise_kernel_manual_unrollILi128ELi4EZNS0_22gpu_kernel_impl_nocastIZZZNS0_12_GLOBAL__N_137scaled_modified_bessel_k1_kernel_cudaERNS_18TensorIteratorBaseEENKUlvE_clEvENKUlvE_clEvEUldE_EEvS5_RKT_EUlibE_EEviT1_: ; @_ZN2at6native32elementwise_kernel_manual_unrollILi128ELi4EZNS0_22gpu_kernel_impl_nocastIZZZNS0_12_GLOBAL__N_137scaled_modified_bessel_k1_kernel_cudaERNS_18TensorIteratorBaseEENKUlvE_clEvENKUlvE_clEvEUldE_EEvS5_RKT_EUlibE_EEviT1_
; %bb.0:
	s_clause 0x1
	s_load_b32 s22, s[0:1], 0x8
	s_load_b32 s27, s[0:1], 0x0
	v_lshl_or_b32 v9, s15, 9, v0
	s_or_b32 s0, s0, 8
	s_mov_b32 s2, exec_lo
	s_delay_alu instid0(VALU_DEP_1) | instskip(SKIP_2) | instid1(SALU_CYCLE_1)
	v_or_b32_e32 v6, 0x180, v9
	s_waitcnt lgkmcnt(0)
	s_add_i32 s23, s22, -1
	s_cmp_gt_u32 s23, 1
	s_cselect_b32 s24, -1, 0
	v_cmpx_le_i32_e64 s27, v6
	s_xor_b32 s25, exec_lo, s2
	s_cbranch_execz .LBB7_7
; %bb.1:
	s_clause 0x3
	s_load_b128 s[12:15], s[0:1], 0x4
	s_load_b64 s[16:17], s[0:1], 0x14
	s_load_b128 s[8:11], s[0:1], 0xc4
	s_load_b128 s[4:7], s[0:1], 0x148
	s_cmp_lg_u32 s22, 0
	s_mov_b32 s30, exec_lo
	s_cselect_b32 s29, -1, 0
	s_add_u32 s18, s0, 0xc4
	s_addc_u32 s19, s1, 0
	s_min_u32 s28, s23, 15
	s_cmp_gt_u32 s22, 1
	s_cselect_b32 s26, -1, 0
	v_cmpx_gt_i32_e64 s27, v9
	s_cbranch_execz .LBB7_14
; %bb.2:
	s_and_not1_b32 vcc_lo, exec_lo, s24
	s_cbranch_vccnz .LBB7_21
; %bb.3:
	v_dual_mov_b32 v0, 0 :: v_dual_mov_b32 v1, 0
	s_and_not1_b32 vcc_lo, exec_lo, s29
	s_mov_b32 s31, 0
	s_cbranch_vccnz .LBB7_121
; %bb.4:
	v_mov_b32_e32 v0, 0
	s_add_i32 s34, s28, 1
	s_cmp_eq_u32 s23, 2
	s_mov_b32 s33, 0
	s_cbranch_scc1 .LBB7_117
; %bb.5:
	v_dual_mov_b32 v1, 0 :: v_dual_mov_b32 v0, 0
	v_mov_b32_e32 v2, v9
	s_and_b32 s33, s34, 28
	s_mov_b32 s35, 0
	s_mov_b64 s[2:3], s[18:19]
	s_mov_b64 s[20:21], s[0:1]
.LBB7_6:                                ; =>This Inner Loop Header: Depth=1
	s_clause 0x1
	s_load_b256 s[36:43], s[20:21], 0x4
	s_load_b128 s[52:55], s[20:21], 0x24
	s_load_b256 s[44:51], s[2:3], 0x0
	s_add_u32 s20, s20, 48
	s_addc_u32 s21, s21, 0
	s_add_i32 s35, s35, 4
	s_add_u32 s2, s2, 32
	s_addc_u32 s3, s3, 0
	s_cmp_lg_u32 s33, s35
	s_waitcnt lgkmcnt(0)
	v_mul_hi_u32 v3, s37, v2
	s_delay_alu instid0(VALU_DEP_1) | instskip(NEXT) | instid1(VALU_DEP_1)
	v_add_nc_u32_e32 v3, v2, v3
	v_lshrrev_b32_e32 v3, s38, v3
	s_delay_alu instid0(VALU_DEP_1) | instskip(SKIP_1) | instid1(VALU_DEP_2)
	v_mul_hi_u32 v4, s40, v3
	v_mul_lo_u32 v6, v3, s36
	v_add_nc_u32_e32 v4, v3, v4
	s_delay_alu instid0(VALU_DEP_2) | instskip(NEXT) | instid1(VALU_DEP_2)
	v_sub_nc_u32_e32 v2, v2, v6
	v_lshrrev_b32_e32 v4, s41, v4
	s_delay_alu instid0(VALU_DEP_2) | instskip(SKIP_1) | instid1(VALU_DEP_3)
	v_mul_lo_u32 v6, v2, s44
	v_mul_lo_u32 v8, v2, s45
	v_mul_hi_u32 v5, s43, v4
	s_delay_alu instid0(VALU_DEP_1) | instskip(NEXT) | instid1(VALU_DEP_1)
	v_add_nc_u32_e32 v5, v4, v5
	v_lshrrev_b32_e32 v5, s52, v5
	s_delay_alu instid0(VALU_DEP_1) | instskip(SKIP_1) | instid1(VALU_DEP_2)
	v_mul_hi_u32 v7, s54, v5
	v_mul_lo_u32 v10, v5, s42
	v_add_nc_u32_e32 v2, v5, v7
	v_mul_lo_u32 v7, v4, s39
	s_delay_alu instid0(VALU_DEP_3) | instskip(NEXT) | instid1(VALU_DEP_3)
	v_sub_nc_u32_e32 v4, v4, v10
	v_lshrrev_b32_e32 v2, s55, v2
	s_delay_alu instid0(VALU_DEP_2) | instskip(SKIP_2) | instid1(VALU_DEP_4)
	v_mul_lo_u32 v10, v4, s48
	v_mul_lo_u32 v4, v4, s49
	v_sub_nc_u32_e32 v3, v3, v7
	v_mul_lo_u32 v11, v2, s53
	s_delay_alu instid0(VALU_DEP_2) | instskip(SKIP_1) | instid1(VALU_DEP_3)
	v_mul_lo_u32 v7, v3, s46
	v_mul_lo_u32 v3, v3, s47
	v_sub_nc_u32_e32 v5, v5, v11
	s_delay_alu instid0(VALU_DEP_3) | instskip(NEXT) | instid1(VALU_DEP_2)
	v_add3_u32 v0, v6, v0, v7
	v_mul_lo_u32 v11, v5, s50
	v_mul_lo_u32 v5, v5, s51
	v_add3_u32 v1, v8, v1, v3
	s_delay_alu instid0(VALU_DEP_3) | instskip(NEXT) | instid1(VALU_DEP_2)
	v_add3_u32 v0, v10, v0, v11
	v_add3_u32 v1, v4, v1, v5
	s_cbranch_scc1 .LBB7_6
	s_branch .LBB7_118
.LBB7_7:
	s_and_not1_saveexec_b32 s2, s25
	s_cbranch_execz .LBB7_166
.LBB7_8:
	v_cndmask_b32_e64 v3, 0, 1, s24
	s_and_not1_b32 vcc_lo, exec_lo, s24
	s_cbranch_vccnz .LBB7_20
; %bb.9:
	v_dual_mov_b32 v0, 0 :: v_dual_mov_b32 v5, 0
	s_cmp_lg_u32 s22, 0
	s_waitcnt lgkmcnt(0)
	s_mov_b32 s6, 0
	s_cbranch_scc0 .LBB7_26
; %bb.10:
	s_min_u32 s7, s23, 15
	v_mov_b32_e32 v0, 0
	s_add_i32 s7, s7, 1
	s_cmp_eq_u32 s23, 2
	s_mov_b32 s8, 0
	s_cbranch_scc1 .LBB7_23
; %bb.11:
	v_dual_mov_b32 v5, 0 :: v_dual_mov_b32 v0, 0
	v_mov_b32_e32 v1, v9
	s_add_u32 s2, s0, 0xc4
	s_addc_u32 s3, s1, 0
	s_and_b32 s8, s7, 28
	s_mov_b32 s9, 0
	s_mov_b64 s[4:5], s[0:1]
.LBB7_12:                               ; =>This Inner Loop Header: Depth=1
	s_clause 0x1
	s_load_b256 s[12:19], s[4:5], 0x4
	s_load_b128 s[36:39], s[4:5], 0x24
	s_load_b256 s[24:31], s[2:3], 0x0
	s_add_u32 s4, s4, 48
	s_addc_u32 s5, s5, 0
	s_add_i32 s9, s9, 4
	s_add_u32 s2, s2, 32
	s_addc_u32 s3, s3, 0
	s_cmp_lg_u32 s8, s9
	s_waitcnt lgkmcnt(0)
	v_mul_hi_u32 v2, s13, v1
	s_delay_alu instid0(VALU_DEP_1) | instskip(NEXT) | instid1(VALU_DEP_1)
	v_add_nc_u32_e32 v2, v1, v2
	v_lshrrev_b32_e32 v2, s14, v2
	s_delay_alu instid0(VALU_DEP_1) | instskip(SKIP_1) | instid1(VALU_DEP_2)
	v_mul_hi_u32 v4, s16, v2
	v_mul_lo_u32 v8, v2, s12
	v_add_nc_u32_e32 v4, v2, v4
	s_delay_alu instid0(VALU_DEP_2) | instskip(NEXT) | instid1(VALU_DEP_2)
	v_sub_nc_u32_e32 v1, v1, v8
	v_lshrrev_b32_e32 v4, s17, v4
	s_delay_alu instid0(VALU_DEP_2) | instskip(SKIP_1) | instid1(VALU_DEP_3)
	v_mul_lo_u32 v8, v1, s24
	v_mul_lo_u32 v11, v1, s25
	v_mul_hi_u32 v7, s19, v4
	s_delay_alu instid0(VALU_DEP_1) | instskip(NEXT) | instid1(VALU_DEP_1)
	v_add_nc_u32_e32 v7, v4, v7
	v_lshrrev_b32_e32 v7, s36, v7
	s_delay_alu instid0(VALU_DEP_1) | instskip(SKIP_1) | instid1(VALU_DEP_2)
	v_mul_hi_u32 v10, s38, v7
	v_mul_lo_u32 v12, v7, s18
	v_add_nc_u32_e32 v1, v7, v10
	v_mul_lo_u32 v10, v4, s15
	s_delay_alu instid0(VALU_DEP_3) | instskip(NEXT) | instid1(VALU_DEP_3)
	v_sub_nc_u32_e32 v4, v4, v12
	v_lshrrev_b32_e32 v1, s39, v1
	s_delay_alu instid0(VALU_DEP_2) | instskip(SKIP_2) | instid1(VALU_DEP_4)
	v_mul_lo_u32 v12, v4, s28
	v_mul_lo_u32 v4, v4, s29
	v_sub_nc_u32_e32 v2, v2, v10
	v_mul_lo_u32 v13, v1, s37
	s_delay_alu instid0(VALU_DEP_2) | instskip(SKIP_1) | instid1(VALU_DEP_3)
	v_mul_lo_u32 v10, v2, s26
	v_mul_lo_u32 v2, v2, s27
	v_sub_nc_u32_e32 v7, v7, v13
	s_delay_alu instid0(VALU_DEP_3) | instskip(NEXT) | instid1(VALU_DEP_2)
	v_add3_u32 v0, v8, v0, v10
	v_mul_lo_u32 v13, v7, s30
	v_mul_lo_u32 v7, v7, s31
	v_add3_u32 v2, v11, v5, v2
	s_delay_alu instid0(VALU_DEP_3) | instskip(NEXT) | instid1(VALU_DEP_2)
	v_add3_u32 v0, v12, v0, v13
	v_add3_u32 v5, v4, v2, v7
	s_cbranch_scc1 .LBB7_12
; %bb.13:
	s_and_b32 s7, s7, 3
	s_delay_alu instid0(SALU_CYCLE_1)
	s_cmp_eq_u32 s7, 0
	s_cbranch_scc0 .LBB7_24
	s_branch .LBB7_26
.LBB7_14:
	s_or_b32 exec_lo, exec_lo, s30
	s_delay_alu instid0(SALU_CYCLE_1)
	s_mov_b32 s30, exec_lo
	v_cmpx_gt_i32_e64 s27, v9
	s_cbranch_execz .LBB7_137
.LBB7_15:
	s_and_not1_b32 vcc_lo, exec_lo, s24
	s_cbranch_vccnz .LBB7_22
; %bb.16:
	v_dual_mov_b32 v0, 0 :: v_dual_mov_b32 v1, 0
	s_and_not1_b32 vcc_lo, exec_lo, s29
	s_mov_b32 s31, 0
	s_cbranch_vccnz .LBB7_148
; %bb.17:
	v_mov_b32_e32 v0, 0
	s_add_i32 s34, s28, 1
	s_cmp_eq_u32 s23, 2
	s_mov_b32 s33, 0
	s_cbranch_scc1 .LBB7_144
; %bb.18:
	v_dual_mov_b32 v1, 0 :: v_dual_mov_b32 v0, 0
	v_mov_b32_e32 v2, v9
	s_and_b32 s33, s34, 28
	s_mov_b32 s35, 0
	s_mov_b64 s[2:3], s[18:19]
	s_mov_b64 s[20:21], s[0:1]
.LBB7_19:                               ; =>This Inner Loop Header: Depth=1
	s_clause 0x1
	s_load_b256 s[36:43], s[20:21], 0x4
	s_load_b128 s[52:55], s[20:21], 0x24
	s_load_b256 s[44:51], s[2:3], 0x0
	s_add_u32 s20, s20, 48
	s_addc_u32 s21, s21, 0
	s_add_i32 s35, s35, 4
	s_add_u32 s2, s2, 32
	s_addc_u32 s3, s3, 0
	s_cmp_eq_u32 s33, s35
	s_waitcnt lgkmcnt(0)
	v_mul_hi_u32 v3, s37, v2
	s_delay_alu instid0(VALU_DEP_1) | instskip(NEXT) | instid1(VALU_DEP_1)
	v_add_nc_u32_e32 v3, v2, v3
	v_lshrrev_b32_e32 v3, s38, v3
	s_delay_alu instid0(VALU_DEP_1) | instskip(SKIP_1) | instid1(VALU_DEP_2)
	v_mul_hi_u32 v4, s40, v3
	v_mul_lo_u32 v6, v3, s36
	v_add_nc_u32_e32 v4, v3, v4
	s_delay_alu instid0(VALU_DEP_2) | instskip(NEXT) | instid1(VALU_DEP_2)
	v_sub_nc_u32_e32 v2, v2, v6
	v_lshrrev_b32_e32 v4, s41, v4
	s_delay_alu instid0(VALU_DEP_2) | instskip(SKIP_1) | instid1(VALU_DEP_3)
	v_mul_lo_u32 v6, v2, s44
	v_mul_lo_u32 v8, v2, s45
	v_mul_hi_u32 v5, s43, v4
	s_delay_alu instid0(VALU_DEP_1) | instskip(NEXT) | instid1(VALU_DEP_1)
	v_add_nc_u32_e32 v5, v4, v5
	v_lshrrev_b32_e32 v5, s52, v5
	s_delay_alu instid0(VALU_DEP_1) | instskip(SKIP_1) | instid1(VALU_DEP_2)
	v_mul_hi_u32 v7, s54, v5
	v_mul_lo_u32 v10, v5, s42
	v_add_nc_u32_e32 v2, v5, v7
	v_mul_lo_u32 v7, v4, s39
	s_delay_alu instid0(VALU_DEP_3) | instskip(NEXT) | instid1(VALU_DEP_3)
	v_sub_nc_u32_e32 v4, v4, v10
	v_lshrrev_b32_e32 v2, s55, v2
	s_delay_alu instid0(VALU_DEP_2) | instskip(SKIP_2) | instid1(VALU_DEP_4)
	v_mul_lo_u32 v10, v4, s48
	v_mul_lo_u32 v4, v4, s49
	v_sub_nc_u32_e32 v3, v3, v7
	v_mul_lo_u32 v11, v2, s53
	s_delay_alu instid0(VALU_DEP_2) | instskip(SKIP_1) | instid1(VALU_DEP_3)
	v_mul_lo_u32 v7, v3, s46
	v_mul_lo_u32 v3, v3, s47
	v_sub_nc_u32_e32 v5, v5, v11
	s_delay_alu instid0(VALU_DEP_3) | instskip(NEXT) | instid1(VALU_DEP_2)
	v_add3_u32 v0, v6, v0, v7
	v_mul_lo_u32 v11, v5, s50
	v_mul_lo_u32 v5, v5, s51
	v_add3_u32 v1, v8, v1, v3
	s_delay_alu instid0(VALU_DEP_3) | instskip(NEXT) | instid1(VALU_DEP_2)
	v_add3_u32 v0, v10, v0, v11
	v_add3_u32 v1, v4, v1, v5
	s_cbranch_scc0 .LBB7_19
	s_branch .LBB7_145
.LBB7_20:
	s_waitcnt lgkmcnt(0)
	s_mov_b32 s6, -1
                                        ; implicit-def: $vgpr0
                                        ; implicit-def: $vgpr5
	s_branch .LBB7_26
.LBB7_21:
	s_mov_b32 s31, -1
                                        ; implicit-def: $vgpr0
                                        ; implicit-def: $vgpr1
	s_branch .LBB7_121
.LBB7_22:
	s_mov_b32 s31, -1
                                        ; implicit-def: $vgpr0
                                        ; implicit-def: $vgpr1
	s_branch .LBB7_148
.LBB7_23:
	v_mov_b32_e32 v1, v9
	v_mov_b32_e32 v5, 0
	s_and_b32 s7, s7, 3
	s_delay_alu instid0(SALU_CYCLE_1)
	s_cmp_eq_u32 s7, 0
	s_cbranch_scc1 .LBB7_26
.LBB7_24:
	s_lshl_b32 s2, s8, 3
	s_mul_i32 s4, s8, 12
	s_add_u32 s2, s2, s0
	s_addc_u32 s3, 0, s1
	s_add_u32 s2, s2, 0xc4
	s_addc_u32 s3, s3, 0
	;; [unrolled: 2-line block ×3, first 2 shown]
	.p2align	6
.LBB7_25:                               ; =>This Inner Loop Header: Depth=1
	s_clause 0x1
	s_load_b64 s[8:9], s[4:5], 0x4
	s_load_b32 s12, s[4:5], 0xc
	s_load_b64 s[10:11], s[2:3], 0x0
	s_add_u32 s4, s4, 12
	s_addc_u32 s5, s5, 0
	s_add_u32 s2, s2, 8
	s_addc_u32 s3, s3, 0
	s_add_i32 s7, s7, -1
	s_delay_alu instid0(SALU_CYCLE_1) | instskip(SKIP_2) | instid1(VALU_DEP_1)
	s_cmp_lg_u32 s7, 0
	s_waitcnt lgkmcnt(0)
	v_mul_hi_u32 v2, s9, v1
	v_add_nc_u32_e32 v2, v1, v2
	s_delay_alu instid0(VALU_DEP_1) | instskip(NEXT) | instid1(VALU_DEP_1)
	v_lshrrev_b32_e32 v2, s12, v2
	v_mul_lo_u32 v4, v2, s8
	s_delay_alu instid0(VALU_DEP_1) | instskip(NEXT) | instid1(VALU_DEP_1)
	v_sub_nc_u32_e32 v1, v1, v4
	v_mad_u64_u32 v[7:8], null, v1, s10, v[0:1]
	v_mad_u64_u32 v[10:11], null, v1, s11, v[5:6]
	s_delay_alu instid0(VALU_DEP_2) | instskip(NEXT) | instid1(VALU_DEP_2)
	v_dual_mov_b32 v1, v2 :: v_dual_mov_b32 v0, v7
	v_mov_b32_e32 v5, v10
	s_cbranch_scc1 .LBB7_25
.LBB7_26:
	s_and_not1_b32 vcc_lo, exec_lo, s6
	s_cbranch_vccnz .LBB7_29
; %bb.27:
	s_clause 0x1
	s_load_b128 s[4:7], s[0:1], 0x4
	s_load_b64 s[2:3], s[0:1], 0xc4
	s_cmp_lt_u32 s22, 2
	s_waitcnt lgkmcnt(0)
	v_mul_hi_u32 v0, s5, v9
	s_delay_alu instid0(VALU_DEP_1) | instskip(NEXT) | instid1(VALU_DEP_1)
	v_add_nc_u32_e32 v0, v9, v0
	v_lshrrev_b32_e32 v1, s6, v0
	s_delay_alu instid0(VALU_DEP_1) | instskip(NEXT) | instid1(VALU_DEP_1)
	v_mul_lo_u32 v0, v1, s4
	v_sub_nc_u32_e32 v2, v9, v0
	s_delay_alu instid0(VALU_DEP_1)
	v_mul_lo_u32 v0, v2, s2
	v_mul_lo_u32 v5, v2, s3
	s_cbranch_scc1 .LBB7_29
; %bb.28:
	s_clause 0x1
	s_load_b128 s[4:7], s[0:1], 0x10
	s_load_b64 s[2:3], s[0:1], 0xcc
	s_waitcnt lgkmcnt(0)
	v_mul_hi_u32 v2, s5, v1
	s_delay_alu instid0(VALU_DEP_1) | instskip(NEXT) | instid1(VALU_DEP_1)
	v_add_nc_u32_e32 v2, v1, v2
	v_lshrrev_b32_e32 v2, s6, v2
	s_delay_alu instid0(VALU_DEP_1) | instskip(NEXT) | instid1(VALU_DEP_1)
	v_mul_lo_u32 v2, v2, s4
	v_sub_nc_u32_e32 v4, v1, v2
	s_delay_alu instid0(VALU_DEP_1) | instskip(SKIP_1) | instid1(VALU_DEP_1)
	v_mad_u64_u32 v[1:2], null, v4, s2, v[0:1]
	v_mad_u64_u32 v[7:8], null, v4, s3, v[5:6]
	v_dual_mov_b32 v0, v1 :: v_dual_mov_b32 v5, v7
.LBB7_29:
	v_cmp_ne_u32_e32 vcc_lo, 1, v3
	v_add_nc_u32_e32 v2, 0x80, v9
	s_cbranch_vccnz .LBB7_35
; %bb.30:
	v_dual_mov_b32 v1, 0 :: v_dual_mov_b32 v10, 0
	s_cmp_lg_u32 s22, 0
	s_mov_b32 s6, 0
	s_cbranch_scc0 .LBB7_39
; %bb.31:
	s_min_u32 s7, s23, 15
	v_mov_b32_e32 v1, 0
	s_add_i32 s7, s7, 1
	s_cmp_eq_u32 s23, 2
	s_mov_b32 s8, 0
	s_cbranch_scc1 .LBB7_36
; %bb.32:
	v_dual_mov_b32 v10, 0 :: v_dual_mov_b32 v1, 0
	v_mov_b32_e32 v4, v2
	s_add_u32 s2, s0, 0xc4
	s_addc_u32 s3, s1, 0
	s_and_b32 s8, s7, 28
	s_mov_b32 s9, 0
	s_mov_b64 s[4:5], s[0:1]
.LBB7_33:                               ; =>This Inner Loop Header: Depth=1
	s_clause 0x1
	s_load_b256 s[12:19], s[4:5], 0x4
	s_load_b128 s[36:39], s[4:5], 0x24
	s_load_b256 s[24:31], s[2:3], 0x0
	s_add_u32 s4, s4, 48
	s_addc_u32 s5, s5, 0
	s_add_i32 s9, s9, 4
	s_add_u32 s2, s2, 32
	s_addc_u32 s3, s3, 0
	s_cmp_lg_u32 s8, s9
	s_waitcnt lgkmcnt(0)
	v_mul_hi_u32 v7, s13, v4
	s_delay_alu instid0(VALU_DEP_1) | instskip(NEXT) | instid1(VALU_DEP_1)
	v_add_nc_u32_e32 v7, v4, v7
	v_lshrrev_b32_e32 v7, s14, v7
	s_delay_alu instid0(VALU_DEP_1) | instskip(SKIP_1) | instid1(VALU_DEP_2)
	v_mul_hi_u32 v8, s16, v7
	v_mul_lo_u32 v12, v7, s12
	v_add_nc_u32_e32 v8, v7, v8
	s_delay_alu instid0(VALU_DEP_2) | instskip(NEXT) | instid1(VALU_DEP_2)
	v_sub_nc_u32_e32 v4, v4, v12
	v_lshrrev_b32_e32 v8, s17, v8
	s_delay_alu instid0(VALU_DEP_2) | instskip(SKIP_1) | instid1(VALU_DEP_3)
	v_mul_lo_u32 v12, v4, s24
	v_mul_lo_u32 v14, v4, s25
	v_mul_hi_u32 v11, s19, v8
	s_delay_alu instid0(VALU_DEP_1) | instskip(NEXT) | instid1(VALU_DEP_1)
	v_add_nc_u32_e32 v11, v8, v11
	v_lshrrev_b32_e32 v11, s36, v11
	s_delay_alu instid0(VALU_DEP_1) | instskip(SKIP_1) | instid1(VALU_DEP_2)
	v_mul_hi_u32 v13, s38, v11
	v_mul_lo_u32 v15, v11, s18
	v_add_nc_u32_e32 v4, v11, v13
	v_mul_lo_u32 v13, v8, s15
	s_delay_alu instid0(VALU_DEP_3) | instskip(NEXT) | instid1(VALU_DEP_3)
	v_sub_nc_u32_e32 v8, v8, v15
	v_lshrrev_b32_e32 v4, s39, v4
	s_delay_alu instid0(VALU_DEP_2) | instskip(SKIP_2) | instid1(VALU_DEP_4)
	v_mul_lo_u32 v15, v8, s28
	v_mul_lo_u32 v8, v8, s29
	v_sub_nc_u32_e32 v7, v7, v13
	v_mul_lo_u32 v16, v4, s37
	s_delay_alu instid0(VALU_DEP_2) | instskip(SKIP_1) | instid1(VALU_DEP_3)
	v_mul_lo_u32 v13, v7, s26
	v_mul_lo_u32 v7, v7, s27
	v_sub_nc_u32_e32 v11, v11, v16
	s_delay_alu instid0(VALU_DEP_3) | instskip(NEXT) | instid1(VALU_DEP_2)
	v_add3_u32 v1, v12, v1, v13
	v_mul_lo_u32 v16, v11, s30
	v_mul_lo_u32 v11, v11, s31
	v_add3_u32 v7, v14, v10, v7
	s_delay_alu instid0(VALU_DEP_3) | instskip(NEXT) | instid1(VALU_DEP_2)
	v_add3_u32 v1, v15, v1, v16
	v_add3_u32 v10, v8, v7, v11
	s_cbranch_scc1 .LBB7_33
; %bb.34:
	s_and_b32 s7, s7, 3
	s_delay_alu instid0(SALU_CYCLE_1)
	s_cmp_eq_u32 s7, 0
	s_cbranch_scc0 .LBB7_37
	s_branch .LBB7_39
.LBB7_35:
	s_mov_b32 s6, -1
                                        ; implicit-def: $vgpr1
                                        ; implicit-def: $vgpr10
	s_branch .LBB7_39
.LBB7_36:
	v_mov_b32_e32 v4, v2
	v_mov_b32_e32 v10, 0
	s_and_b32 s7, s7, 3
	s_delay_alu instid0(SALU_CYCLE_1)
	s_cmp_eq_u32 s7, 0
	s_cbranch_scc1 .LBB7_39
.LBB7_37:
	s_lshl_b32 s2, s8, 3
	s_mul_i32 s4, s8, 12
	s_add_u32 s2, s2, s0
	s_addc_u32 s3, 0, s1
	s_add_u32 s2, s2, 0xc4
	s_addc_u32 s3, s3, 0
	;; [unrolled: 2-line block ×3, first 2 shown]
	.p2align	6
.LBB7_38:                               ; =>This Inner Loop Header: Depth=1
	s_clause 0x1
	s_load_b64 s[8:9], s[4:5], 0x4
	s_load_b32 s12, s[4:5], 0xc
	s_load_b64 s[10:11], s[2:3], 0x0
	s_add_u32 s4, s4, 12
	s_addc_u32 s5, s5, 0
	s_add_u32 s2, s2, 8
	s_addc_u32 s3, s3, 0
	s_add_i32 s7, s7, -1
	s_delay_alu instid0(SALU_CYCLE_1) | instskip(SKIP_2) | instid1(VALU_DEP_1)
	s_cmp_lg_u32 s7, 0
	s_waitcnt lgkmcnt(0)
	v_mul_hi_u32 v7, s9, v4
	v_add_nc_u32_e32 v7, v4, v7
	s_delay_alu instid0(VALU_DEP_1) | instskip(NEXT) | instid1(VALU_DEP_1)
	v_lshrrev_b32_e32 v13, s12, v7
	v_mul_lo_u32 v7, v13, s8
	s_delay_alu instid0(VALU_DEP_1) | instskip(NEXT) | instid1(VALU_DEP_1)
	v_sub_nc_u32_e32 v4, v4, v7
	v_mad_u64_u32 v[7:8], null, v4, s10, v[1:2]
	v_mad_u64_u32 v[11:12], null, v4, s11, v[10:11]
	s_delay_alu instid0(VALU_DEP_2) | instskip(NEXT) | instid1(VALU_DEP_2)
	v_dual_mov_b32 v4, v13 :: v_dual_mov_b32 v1, v7
	v_mov_b32_e32 v10, v11
	s_cbranch_scc1 .LBB7_38
.LBB7_39:
	s_and_not1_b32 vcc_lo, exec_lo, s6
	s_cbranch_vccnz .LBB7_42
; %bb.40:
	s_clause 0x1
	s_load_b128 s[4:7], s[0:1], 0x4
	s_load_b64 s[2:3], s[0:1], 0xc4
	s_cmp_lt_u32 s22, 2
	s_waitcnt lgkmcnt(0)
	v_mul_hi_u32 v1, s5, v2
	s_delay_alu instid0(VALU_DEP_1) | instskip(NEXT) | instid1(VALU_DEP_1)
	v_add_nc_u32_e32 v1, v2, v1
	v_lshrrev_b32_e32 v4, s6, v1
	s_delay_alu instid0(VALU_DEP_1) | instskip(NEXT) | instid1(VALU_DEP_1)
	v_mul_lo_u32 v1, v4, s4
	v_sub_nc_u32_e32 v2, v2, v1
	s_delay_alu instid0(VALU_DEP_1)
	v_mul_lo_u32 v1, v2, s2
	v_mul_lo_u32 v10, v2, s3
	s_cbranch_scc1 .LBB7_42
; %bb.41:
	s_clause 0x1
	s_load_b128 s[4:7], s[0:1], 0x10
	s_load_b64 s[2:3], s[0:1], 0xcc
	s_waitcnt lgkmcnt(0)
	v_mul_hi_u32 v2, s5, v4
	s_delay_alu instid0(VALU_DEP_1) | instskip(NEXT) | instid1(VALU_DEP_1)
	v_add_nc_u32_e32 v2, v4, v2
	v_lshrrev_b32_e32 v2, s6, v2
	s_delay_alu instid0(VALU_DEP_1) | instskip(NEXT) | instid1(VALU_DEP_1)
	v_mul_lo_u32 v2, v2, s4
	v_sub_nc_u32_e32 v2, v4, v2
	s_delay_alu instid0(VALU_DEP_1) | instskip(SKIP_1) | instid1(VALU_DEP_2)
	v_mad_u64_u32 v[7:8], null, v2, s2, v[1:2]
	v_mad_u64_u32 v[11:12], null, v2, s3, v[10:11]
	v_mov_b32_e32 v1, v7
	s_delay_alu instid0(VALU_DEP_2)
	v_mov_b32_e32 v10, v11
.LBB7_42:
	v_cmp_ne_u32_e32 vcc_lo, 1, v3
	v_add_nc_u32_e32 v4, 0x100, v9
	s_cbranch_vccnz .LBB7_48
; %bb.43:
	v_dual_mov_b32 v2, 0 :: v_dual_mov_b32 v9, 0
	s_cmp_lg_u32 s22, 0
	s_mov_b32 s6, 0
	s_cbranch_scc0 .LBB7_52
; %bb.44:
	s_min_u32 s7, s23, 15
	v_mov_b32_e32 v2, 0
	s_add_i32 s7, s7, 1
	s_cmp_eq_u32 s23, 2
	s_mov_b32 s8, 0
	s_cbranch_scc1 .LBB7_49
; %bb.45:
	v_dual_mov_b32 v9, 0 :: v_dual_mov_b32 v2, 0
	v_mov_b32_e32 v7, v4
	s_add_u32 s2, s0, 0xc4
	s_addc_u32 s3, s1, 0
	s_and_b32 s8, s7, 28
	s_mov_b32 s9, 0
	s_mov_b64 s[4:5], s[0:1]
.LBB7_46:                               ; =>This Inner Loop Header: Depth=1
	s_clause 0x1
	s_load_b256 s[12:19], s[4:5], 0x4
	s_load_b128 s[36:39], s[4:5], 0x24
	s_load_b256 s[24:31], s[2:3], 0x0
	s_add_u32 s4, s4, 48
	s_addc_u32 s5, s5, 0
	s_add_i32 s9, s9, 4
	s_add_u32 s2, s2, 32
	s_addc_u32 s3, s3, 0
	s_cmp_lg_u32 s8, s9
	s_waitcnt lgkmcnt(0)
	v_mul_hi_u32 v8, s13, v7
	s_delay_alu instid0(VALU_DEP_1) | instskip(NEXT) | instid1(VALU_DEP_1)
	v_add_nc_u32_e32 v8, v7, v8
	v_lshrrev_b32_e32 v8, s14, v8
	s_delay_alu instid0(VALU_DEP_1) | instskip(SKIP_1) | instid1(VALU_DEP_2)
	v_mul_hi_u32 v11, s16, v8
	v_mul_lo_u32 v13, v8, s12
	v_add_nc_u32_e32 v11, v8, v11
	s_delay_alu instid0(VALU_DEP_2) | instskip(NEXT) | instid1(VALU_DEP_2)
	v_sub_nc_u32_e32 v7, v7, v13
	v_lshrrev_b32_e32 v11, s17, v11
	s_delay_alu instid0(VALU_DEP_2) | instskip(SKIP_1) | instid1(VALU_DEP_3)
	v_mul_lo_u32 v13, v7, s24
	v_mul_lo_u32 v15, v7, s25
	v_mul_hi_u32 v12, s19, v11
	s_delay_alu instid0(VALU_DEP_1) | instskip(NEXT) | instid1(VALU_DEP_1)
	v_add_nc_u32_e32 v12, v11, v12
	v_lshrrev_b32_e32 v12, s36, v12
	s_delay_alu instid0(VALU_DEP_1) | instskip(SKIP_1) | instid1(VALU_DEP_2)
	v_mul_hi_u32 v14, s38, v12
	v_mul_lo_u32 v16, v12, s18
	v_add_nc_u32_e32 v7, v12, v14
	v_mul_lo_u32 v14, v11, s15
	s_delay_alu instid0(VALU_DEP_3) | instskip(NEXT) | instid1(VALU_DEP_3)
	v_sub_nc_u32_e32 v11, v11, v16
	v_lshrrev_b32_e32 v7, s39, v7
	s_delay_alu instid0(VALU_DEP_2) | instskip(SKIP_2) | instid1(VALU_DEP_4)
	v_mul_lo_u32 v16, v11, s28
	v_mul_lo_u32 v11, v11, s29
	v_sub_nc_u32_e32 v8, v8, v14
	v_mul_lo_u32 v17, v7, s37
	s_delay_alu instid0(VALU_DEP_2) | instskip(SKIP_1) | instid1(VALU_DEP_3)
	v_mul_lo_u32 v14, v8, s26
	v_mul_lo_u32 v8, v8, s27
	v_sub_nc_u32_e32 v12, v12, v17
	s_delay_alu instid0(VALU_DEP_3) | instskip(NEXT) | instid1(VALU_DEP_2)
	v_add3_u32 v2, v13, v2, v14
	v_mul_lo_u32 v17, v12, s30
	v_mul_lo_u32 v12, v12, s31
	v_add3_u32 v8, v15, v9, v8
	s_delay_alu instid0(VALU_DEP_3) | instskip(NEXT) | instid1(VALU_DEP_2)
	v_add3_u32 v2, v16, v2, v17
	v_add3_u32 v9, v11, v8, v12
	s_cbranch_scc1 .LBB7_46
; %bb.47:
	s_and_b32 s7, s7, 3
	s_delay_alu instid0(SALU_CYCLE_1)
	s_cmp_eq_u32 s7, 0
	s_cbranch_scc0 .LBB7_50
	s_branch .LBB7_52
.LBB7_48:
	s_mov_b32 s6, -1
                                        ; implicit-def: $vgpr2
                                        ; implicit-def: $vgpr9
	s_branch .LBB7_52
.LBB7_49:
	v_mov_b32_e32 v7, v4
	v_mov_b32_e32 v9, 0
	s_and_b32 s7, s7, 3
	s_delay_alu instid0(SALU_CYCLE_1)
	s_cmp_eq_u32 s7, 0
	s_cbranch_scc1 .LBB7_52
.LBB7_50:
	s_lshl_b32 s2, s8, 3
	s_mul_i32 s4, s8, 12
	s_add_u32 s2, s2, s0
	s_addc_u32 s3, 0, s1
	s_add_u32 s2, s2, 0xc4
	s_addc_u32 s3, s3, 0
	;; [unrolled: 2-line block ×3, first 2 shown]
	.p2align	6
.LBB7_51:                               ; =>This Inner Loop Header: Depth=1
	s_clause 0x1
	s_load_b64 s[8:9], s[4:5], 0x4
	s_load_b32 s12, s[4:5], 0xc
	s_load_b64 s[10:11], s[2:3], 0x0
	s_add_u32 s4, s4, 12
	s_addc_u32 s5, s5, 0
	s_add_u32 s2, s2, 8
	s_addc_u32 s3, s3, 0
	s_add_i32 s7, s7, -1
	s_delay_alu instid0(SALU_CYCLE_1) | instskip(SKIP_2) | instid1(VALU_DEP_1)
	s_cmp_lg_u32 s7, 0
	s_waitcnt lgkmcnt(0)
	v_mul_hi_u32 v8, s9, v7
	v_add_nc_u32_e32 v8, v7, v8
	s_delay_alu instid0(VALU_DEP_1) | instskip(NEXT) | instid1(VALU_DEP_1)
	v_lshrrev_b32_e32 v8, s12, v8
	v_mul_lo_u32 v11, v8, s8
	s_delay_alu instid0(VALU_DEP_1) | instskip(NEXT) | instid1(VALU_DEP_1)
	v_sub_nc_u32_e32 v7, v7, v11
	v_mad_u64_u32 v[11:12], null, v7, s10, v[2:3]
	v_mad_u64_u32 v[12:13], null, v7, s11, v[9:10]
	s_delay_alu instid0(VALU_DEP_2) | instskip(NEXT) | instid1(VALU_DEP_2)
	v_dual_mov_b32 v7, v8 :: v_dual_mov_b32 v2, v11
	v_mov_b32_e32 v9, v12
	s_cbranch_scc1 .LBB7_51
.LBB7_52:
	s_and_not1_b32 vcc_lo, exec_lo, s6
	s_cbranch_vccnz .LBB7_55
; %bb.53:
	s_clause 0x1
	s_load_b128 s[4:7], s[0:1], 0x4
	s_load_b64 s[2:3], s[0:1], 0xc4
	s_cmp_lt_u32 s22, 2
	s_waitcnt lgkmcnt(0)
	v_mul_hi_u32 v2, s5, v4
	s_delay_alu instid0(VALU_DEP_1) | instskip(NEXT) | instid1(VALU_DEP_1)
	v_add_nc_u32_e32 v2, v4, v2
	v_lshrrev_b32_e32 v7, s6, v2
	s_delay_alu instid0(VALU_DEP_1) | instskip(NEXT) | instid1(VALU_DEP_1)
	v_mul_lo_u32 v2, v7, s4
	v_sub_nc_u32_e32 v4, v4, v2
	s_delay_alu instid0(VALU_DEP_1)
	v_mul_lo_u32 v2, v4, s2
	v_mul_lo_u32 v9, v4, s3
	s_cbranch_scc1 .LBB7_55
; %bb.54:
	s_clause 0x1
	s_load_b128 s[4:7], s[0:1], 0x10
	s_load_b64 s[2:3], s[0:1], 0xcc
	s_waitcnt lgkmcnt(0)
	v_mul_hi_u32 v4, s5, v7
	s_delay_alu instid0(VALU_DEP_1) | instskip(NEXT) | instid1(VALU_DEP_1)
	v_add_nc_u32_e32 v4, v7, v4
	v_lshrrev_b32_e32 v4, s6, v4
	s_delay_alu instid0(VALU_DEP_1) | instskip(NEXT) | instid1(VALU_DEP_1)
	v_mul_lo_u32 v4, v4, s4
	v_sub_nc_u32_e32 v4, v7, v4
	s_delay_alu instid0(VALU_DEP_1) | instskip(SKIP_1) | instid1(VALU_DEP_2)
	v_mad_u64_u32 v[7:8], null, v4, s2, v[2:3]
	v_mad_u64_u32 v[11:12], null, v4, s3, v[9:10]
	v_mov_b32_e32 v2, v7
	s_delay_alu instid0(VALU_DEP_2)
	v_mov_b32_e32 v9, v11
.LBB7_55:
	v_cmp_ne_u32_e32 vcc_lo, 1, v3
	s_cbranch_vccnz .LBB7_61
; %bb.56:
	v_dual_mov_b32 v3, 0 :: v_dual_mov_b32 v4, 0
	s_cmp_lg_u32 s22, 0
	s_mov_b32 s6, 0
	s_cbranch_scc0 .LBB7_65
; %bb.57:
	s_min_u32 s7, s23, 15
	v_mov_b32_e32 v3, 0
	s_add_i32 s7, s7, 1
	s_cmp_eq_u32 s23, 2
	s_mov_b32 s8, 0
	s_cbranch_scc1 .LBB7_62
; %bb.58:
	v_dual_mov_b32 v4, 0 :: v_dual_mov_b32 v3, 0
	v_mov_b32_e32 v7, v6
	s_add_u32 s2, s0, 0xc4
	s_addc_u32 s3, s1, 0
	s_and_b32 s8, s7, 28
	s_mov_b32 s9, 0
	s_mov_b64 s[4:5], s[0:1]
.LBB7_59:                               ; =>This Inner Loop Header: Depth=1
	s_clause 0x1
	s_load_b256 s[12:19], s[4:5], 0x4
	s_load_b128 s[36:39], s[4:5], 0x24
	s_load_b256 s[24:31], s[2:3], 0x0
	s_add_u32 s4, s4, 48
	s_addc_u32 s5, s5, 0
	s_add_i32 s9, s9, 4
	s_add_u32 s2, s2, 32
	s_addc_u32 s3, s3, 0
	s_cmp_lg_u32 s8, s9
	s_waitcnt lgkmcnt(0)
	v_mul_hi_u32 v8, s13, v7
	s_delay_alu instid0(VALU_DEP_1) | instskip(NEXT) | instid1(VALU_DEP_1)
	v_add_nc_u32_e32 v8, v7, v8
	v_lshrrev_b32_e32 v8, s14, v8
	s_delay_alu instid0(VALU_DEP_1) | instskip(SKIP_1) | instid1(VALU_DEP_2)
	v_mul_hi_u32 v11, s16, v8
	v_mul_lo_u32 v13, v8, s12
	v_add_nc_u32_e32 v11, v8, v11
	s_delay_alu instid0(VALU_DEP_2) | instskip(NEXT) | instid1(VALU_DEP_2)
	v_sub_nc_u32_e32 v7, v7, v13
	v_lshrrev_b32_e32 v11, s17, v11
	s_delay_alu instid0(VALU_DEP_2) | instskip(SKIP_1) | instid1(VALU_DEP_3)
	v_mul_lo_u32 v13, v7, s24
	v_mul_lo_u32 v15, v7, s25
	v_mul_hi_u32 v12, s19, v11
	s_delay_alu instid0(VALU_DEP_1) | instskip(NEXT) | instid1(VALU_DEP_1)
	v_add_nc_u32_e32 v12, v11, v12
	v_lshrrev_b32_e32 v12, s36, v12
	s_delay_alu instid0(VALU_DEP_1) | instskip(SKIP_1) | instid1(VALU_DEP_2)
	v_mul_hi_u32 v14, s38, v12
	v_mul_lo_u32 v16, v12, s18
	v_add_nc_u32_e32 v7, v12, v14
	v_mul_lo_u32 v14, v11, s15
	s_delay_alu instid0(VALU_DEP_3) | instskip(NEXT) | instid1(VALU_DEP_3)
	v_sub_nc_u32_e32 v11, v11, v16
	v_lshrrev_b32_e32 v7, s39, v7
	s_delay_alu instid0(VALU_DEP_2) | instskip(SKIP_2) | instid1(VALU_DEP_4)
	v_mul_lo_u32 v16, v11, s28
	v_mul_lo_u32 v11, v11, s29
	v_sub_nc_u32_e32 v8, v8, v14
	v_mul_lo_u32 v17, v7, s37
	s_delay_alu instid0(VALU_DEP_2) | instskip(SKIP_1) | instid1(VALU_DEP_3)
	v_mul_lo_u32 v14, v8, s26
	v_mul_lo_u32 v8, v8, s27
	v_sub_nc_u32_e32 v12, v12, v17
	s_delay_alu instid0(VALU_DEP_3) | instskip(NEXT) | instid1(VALU_DEP_2)
	v_add3_u32 v3, v13, v3, v14
	v_mul_lo_u32 v17, v12, s30
	v_mul_lo_u32 v12, v12, s31
	v_add3_u32 v4, v15, v4, v8
	s_delay_alu instid0(VALU_DEP_3) | instskip(NEXT) | instid1(VALU_DEP_2)
	v_add3_u32 v3, v16, v3, v17
	v_add3_u32 v4, v11, v4, v12
	s_cbranch_scc1 .LBB7_59
; %bb.60:
	s_and_b32 s7, s7, 3
	s_delay_alu instid0(SALU_CYCLE_1)
	s_cmp_eq_u32 s7, 0
	s_cbranch_scc0 .LBB7_63
	s_branch .LBB7_65
.LBB7_61:
	s_mov_b32 s6, -1
                                        ; implicit-def: $vgpr3
                                        ; implicit-def: $vgpr4
	s_branch .LBB7_65
.LBB7_62:
	v_dual_mov_b32 v7, v6 :: v_dual_mov_b32 v4, 0
	s_and_b32 s7, s7, 3
	s_delay_alu instid0(SALU_CYCLE_1)
	s_cmp_eq_u32 s7, 0
	s_cbranch_scc1 .LBB7_65
.LBB7_63:
	s_lshl_b32 s2, s8, 3
	s_mul_i32 s4, s8, 12
	s_add_u32 s2, s2, s0
	s_addc_u32 s3, 0, s1
	s_add_u32 s2, s2, 0xc4
	s_addc_u32 s3, s3, 0
	;; [unrolled: 2-line block ×3, first 2 shown]
	.p2align	6
.LBB7_64:                               ; =>This Inner Loop Header: Depth=1
	s_clause 0x1
	s_load_b64 s[8:9], s[4:5], 0x4
	s_load_b32 s12, s[4:5], 0xc
	s_load_b64 s[10:11], s[2:3], 0x0
	s_add_u32 s4, s4, 12
	s_addc_u32 s5, s5, 0
	s_add_u32 s2, s2, 8
	s_addc_u32 s3, s3, 0
	s_add_i32 s7, s7, -1
	s_delay_alu instid0(SALU_CYCLE_1) | instskip(SKIP_2) | instid1(VALU_DEP_1)
	s_cmp_lg_u32 s7, 0
	s_waitcnt lgkmcnt(0)
	v_mul_hi_u32 v8, s9, v7
	v_add_nc_u32_e32 v8, v7, v8
	s_delay_alu instid0(VALU_DEP_1) | instskip(NEXT) | instid1(VALU_DEP_1)
	v_lshrrev_b32_e32 v8, s12, v8
	v_mul_lo_u32 v11, v8, s8
	s_delay_alu instid0(VALU_DEP_1) | instskip(NEXT) | instid1(VALU_DEP_1)
	v_sub_nc_u32_e32 v7, v7, v11
	v_mad_u64_u32 v[11:12], null, v7, s10, v[3:4]
	v_mad_u64_u32 v[12:13], null, v7, s11, v[4:5]
	v_mov_b32_e32 v7, v8
	s_delay_alu instid0(VALU_DEP_2)
	v_dual_mov_b32 v3, v11 :: v_dual_mov_b32 v4, v12
	s_cbranch_scc1 .LBB7_64
.LBB7_65:
	s_and_not1_b32 vcc_lo, exec_lo, s6
	s_cbranch_vccnz .LBB7_68
; %bb.66:
	s_clause 0x1
	s_load_b128 s[4:7], s[0:1], 0x4
	s_load_b64 s[2:3], s[0:1], 0xc4
	s_cmp_lt_u32 s22, 2
	s_waitcnt lgkmcnt(0)
	v_mul_hi_u32 v3, s5, v6
	s_delay_alu instid0(VALU_DEP_1) | instskip(NEXT) | instid1(VALU_DEP_1)
	v_add_nc_u32_e32 v3, v6, v3
	v_lshrrev_b32_e32 v7, s6, v3
	s_delay_alu instid0(VALU_DEP_1) | instskip(NEXT) | instid1(VALU_DEP_1)
	v_mul_lo_u32 v3, v7, s4
	v_sub_nc_u32_e32 v4, v6, v3
	s_delay_alu instid0(VALU_DEP_1)
	v_mul_lo_u32 v3, v4, s2
	v_mul_lo_u32 v4, v4, s3
	s_cbranch_scc1 .LBB7_68
; %bb.67:
	s_clause 0x1
	s_load_b128 s[4:7], s[0:1], 0x10
	s_load_b64 s[2:3], s[0:1], 0xcc
	s_waitcnt lgkmcnt(0)
	v_mul_hi_u32 v6, s5, v7
	s_delay_alu instid0(VALU_DEP_1) | instskip(NEXT) | instid1(VALU_DEP_1)
	v_add_nc_u32_e32 v6, v7, v6
	v_lshrrev_b32_e32 v6, s6, v6
	s_delay_alu instid0(VALU_DEP_1) | instskip(NEXT) | instid1(VALU_DEP_1)
	v_mul_lo_u32 v6, v6, s4
	v_sub_nc_u32_e32 v11, v7, v6
	s_delay_alu instid0(VALU_DEP_1) | instskip(SKIP_1) | instid1(VALU_DEP_1)
	v_mad_u64_u32 v[6:7], null, v11, s2, v[3:4]
	v_mad_u64_u32 v[7:8], null, v11, s3, v[4:5]
	v_dual_mov_b32 v3, v6 :: v_dual_mov_b32 v4, v7
.LBB7_68:
	s_load_b128 s[4:7], s[0:1], 0x148
	s_mov_b32 s2, exec_lo
	s_waitcnt lgkmcnt(0)
	global_load_b64 v[11:12], v5, s[6:7]
	v_mov_b32_e32 v5, 0
	v_mov_b32_e32 v6, 0x7ff00000
	s_delay_alu instid0(VALU_DEP_1)
	v_dual_mov_b32 v8, v6 :: v_dual_mov_b32 v7, v5
	s_waitcnt vmcnt(0)
	v_cmpx_neq_f64_e32 0, v[11:12]
	s_cbranch_execz .LBB7_80
; %bb.69:
	v_mov_b32_e32 v7, 0
	v_mov_b32_e32 v8, 0x7ff80000
	s_mov_b32 s3, exec_lo
	v_cmpx_ngt_f64_e32 0, v[11:12]
	s_cbranch_execz .LBB7_79
; %bb.70:
                                        ; implicit-def: $vgpr7_vgpr8
	s_mov_b32 s0, exec_lo
	v_cmpx_ge_f64_e32 2.0, v[11:12]
	s_xor_b32 s8, exec_lo, s0
	s_cbranch_execz .LBB7_76
; %bb.71:
	v_mul_f64 v[7:8], v[11:12], 0.5
	s_mov_b32 s0, exec_lo
                                        ; implicit-def: $vgpr15_vgpr16
                                        ; implicit-def: $vgpr13_vgpr14
	v_cmpx_ge_f64_e32 0x40200000, v[11:12]
	s_xor_b32 s0, exec_lo, s0
	s_cbranch_execz .LBB7_73
; %bb.72:
	s_delay_alu instid0(VALU_DEP_2)
	v_add_f64 v[13:14], v[7:8], -2.0
	s_mov_b32 s10, 0xc38a0576
	s_mov_b32 s11, 0xbc7857d0
	;; [unrolled: 1-line block ×4, first 2 shown]
	v_cmp_nlt_f64_e32 vcc_lo, 0x40900000, v[11:12]
	s_delay_alu instid0(VALU_DEP_2) | instskip(SKIP_3) | instid1(VALU_DEP_1)
	v_fma_f64 v[15:16], v[13:14], s[12:13], s[10:11]
	s_mov_b32 s13, 0xbc499f2a
	s_mov_b32 s10, 0xe593bfac
	;; [unrolled: 1-line block ×3, first 2 shown]
	v_fma_f64 v[17:18], v[13:14], v[15:16], s[12:13]
	s_mov_b32 s12, 0x6a5dcb37
	s_mov_b32 s13, 0x3e5ade15
	s_delay_alu instid0(VALU_DEP_1) | instskip(SKIP_2) | instid1(VALU_DEP_1)
	v_add_f64 v[17:18], v[17:18], s[10:11]
	s_mov_b32 s10, 0x7e0d1573
	s_mov_b32 s11, 0xbcd3eaaa
	v_fma_f64 v[15:16], v[13:14], v[17:18], -v[15:16]
	s_delay_alu instid0(VALU_DEP_1) | instskip(SKIP_2) | instid1(VALU_DEP_1)
	v_add_f64 v[15:16], v[15:16], s[10:11]
	s_mov_b32 s10, 0x615290c
	s_mov_b32 s11, 0x3d011d7f
	v_fma_f64 v[17:18], v[13:14], v[15:16], -v[17:18]
	;; [unrolled: 5-line block ×19, first 2 shown]
	s_delay_alu instid0(VALU_DEP_1) | instskip(SKIP_2) | instid1(SALU_CYCLE_1)
	v_add_f64 v[15:16], v[15:16], s[10:11]
	s_mov_b32 s10, 0x652b82fe
	s_mov_b32 s11, 0x3ff71547
	v_mul_f64 v[19:20], v[11:12], s[10:11]
	s_mov_b32 s10, 0x49d3a1b4
	s_mov_b32 s11, 0x3f710653
	s_delay_alu instid0(VALU_DEP_2) | instskip(NEXT) | instid1(VALU_DEP_2)
	v_fma_f64 v[17:18], v[13:14], v[15:16], -v[17:18]
	v_rndne_f64_e32 v[19:20], v[19:20]
	s_delay_alu instid0(VALU_DEP_2)
	v_add_f64 v[17:18], v[17:18], s[10:11]
	s_mov_b32 s10, 0xfefa39ef
	s_mov_b32 s11, 0xbfe62e42
	s_delay_alu instid0(VALU_DEP_2) | instid1(SALU_CYCLE_1)
	v_fma_f64 v[21:22], v[19:20], s[10:11], v[11:12]
	s_mov_b32 s10, 0x7913a26a
	s_mov_b32 s11, 0xbf85a29f
	s_delay_alu instid0(VALU_DEP_2) | instskip(NEXT) | instid1(VALU_DEP_1)
	v_fma_f64 v[15:16], v[13:14], v[17:18], -v[15:16]
	v_add_f64 v[15:16], v[15:16], s[10:11]
	s_mov_b32 s10, 0x3b39803f
	s_mov_b32 s11, 0xbc7abc9e
	s_delay_alu instid0(VALU_DEP_3) | instid1(SALU_CYCLE_1)
	v_fma_f64 v[21:22], v[19:20], s[10:11], v[21:22]
	s_mov_b32 s10, 0xfca7ab0c
	s_mov_b32 s11, 0x3e928af3
	s_delay_alu instid0(VALU_DEP_2) | instskip(NEXT) | instid1(VALU_DEP_2)
	v_fma_f64 v[17:18], v[13:14], v[15:16], -v[17:18]
	v_fma_f64 v[23:24], v[21:22], s[12:13], s[10:11]
	s_mov_b32 s10, 0xe7bb2349
	s_mov_b32 s11, 0x3f9951e3
	s_delay_alu instid0(VALU_DEP_2) | instid1(SALU_CYCLE_1)
	v_add_f64 v[17:18], v[17:18], s[10:11]
	s_mov_b32 s10, 0x623fde64
	s_mov_b32 s11, 0x3ec71dee
	s_delay_alu instid0(VALU_DEP_2) | instid1(SALU_CYCLE_1)
	v_fma_f64 v[23:24], v[21:22], v[23:24], s[10:11]
	s_mov_b32 s10, 0x7c89e6b0
	s_mov_b32 s11, 0x3efa0199
	s_delay_alu instid0(VALU_DEP_2) | instskip(NEXT) | instid1(VALU_DEP_2)
	v_fma_f64 v[15:16], v[13:14], v[17:18], -v[15:16]
	v_fma_f64 v[23:24], v[21:22], v[23:24], s[10:11]
	s_mov_b32 s10, 0x537c9ebc
	s_mov_b32 s11, 0xbfab1bbc
	s_delay_alu instid0(VALU_DEP_2) | instid1(SALU_CYCLE_1)
	v_add_f64 v[15:16], v[15:16], s[10:11]
	s_mov_b32 s10, 0x14761f6e
	s_mov_b32 s11, 0x3f2a01a0
	s_delay_alu instid0(VALU_DEP_2) | instid1(SALU_CYCLE_1)
	;; [unrolled: 13-line block ×4, first 2 shown]
	v_fma_f64 v[23:24], v[21:22], v[23:24], s[10:11]
	s_mov_b32 s10, 11
	s_mov_b32 s11, 0x3fe00000
	s_delay_alu instid0(VALU_DEP_2) | instskip(NEXT) | instid1(VALU_DEP_2)
	v_fma_f64 v[13:14], v[13:14], v[15:16], -v[17:18]
	v_fma_f64 v[15:16], v[21:22], v[23:24], s[10:11]
	s_mov_b32 s10, 0x724a7ffa
	s_mov_b32 s11, 0x3fd02a63
	s_delay_alu instid0(VALU_DEP_2) | instid1(SALU_CYCLE_1)
	v_add_f64 v[13:14], v[13:14], s[10:11]
	s_delay_alu instid0(VALU_DEP_2) | instskip(NEXT) | instid1(VALU_DEP_2)
	v_fma_f64 v[15:16], v[21:22], v[15:16], 1.0
	v_add_f64 v[13:14], v[13:14], -v[17:18]
	v_cvt_i32_f64_e32 v17, v[19:20]
	s_delay_alu instid0(VALU_DEP_3) | instskip(NEXT) | instid1(VALU_DEP_3)
	v_fma_f64 v[15:16], v[21:22], v[15:16], 1.0
	v_mul_f64 v[13:14], v[13:14], 0.5
	s_delay_alu instid0(VALU_DEP_2) | instskip(NEXT) | instid1(VALU_DEP_2)
	v_ldexp_f64 v[15:16], v[15:16], v17
	v_mul_f64 v[17:18], v[11:12], v[13:14]
	s_delay_alu instid0(VALU_DEP_2) | instskip(NEXT) | instid1(VALU_DEP_3)
	v_cndmask_b32_e32 v14, 0x7ff00000, v16, vcc_lo
	v_cndmask_b32_e32 v13, 0, v15, vcc_lo
	s_delay_alu instid0(VALU_DEP_1)
	v_mul_f64 v[15:16], v[13:14], v[17:18]
.LBB7_73:
	s_and_not1_saveexec_b32 s1, s0
	s_cbranch_execz .LBB7_75
; %bb.74:
	v_div_scale_f64 v[13:14], null, v[11:12], v[11:12], 0x40400000
	v_div_scale_f64 v[19:20], vcc_lo, 0x40400000, v[11:12], 0x40400000
	s_mov_b32 s10, 0xea87b950
	s_mov_b32 s11, 0x3c545b8a
	;; [unrolled: 1-line block ×4, first 2 shown]
	v_cmp_nlt_f64_e64 s0, 0x40900000, v[11:12]
	s_delay_alu instid0(VALU_DEP_3) | instskip(SKIP_2) | instid1(VALU_DEP_1)
	v_rcp_f64_e32 v[15:16], v[13:14]
	s_waitcnt_depctr 0xfff
	v_fma_f64 v[17:18], -v[13:14], v[15:16], 1.0
	v_fma_f64 v[15:16], v[15:16], v[17:18], v[15:16]
	s_delay_alu instid0(VALU_DEP_1) | instskip(NEXT) | instid1(VALU_DEP_1)
	v_fma_f64 v[17:18], -v[13:14], v[15:16], 1.0
	v_fma_f64 v[15:16], v[15:16], v[17:18], v[15:16]
	s_delay_alu instid0(VALU_DEP_1) | instskip(NEXT) | instid1(VALU_DEP_1)
	v_mul_f64 v[17:18], v[19:20], v[15:16]
	v_fma_f64 v[13:14], -v[13:14], v[17:18], v[19:20]
	s_delay_alu instid0(VALU_DEP_1) | instskip(SKIP_1) | instid1(VALU_DEP_2)
	v_div_fmas_f64 v[13:14], v[13:14], v[15:16], v[17:18]
	v_cmp_gt_f64_e32 vcc_lo, 0x10000000, v[11:12]
	v_div_fixup_f64 v[13:14], v[13:14], v[11:12], 0x40400000
	v_cndmask_b32_e64 v25, 0, 1, vcc_lo
	s_delay_alu instid0(VALU_DEP_1) | instskip(NEXT) | instid1(VALU_DEP_1)
	v_lshlrev_b32_e32 v25, 8, v25
	v_ldexp_f64 v[25:26], v[11:12], v25
	s_delay_alu instid0(VALU_DEP_4) | instskip(NEXT) | instid1(VALU_DEP_2)
	v_add_f64 v[13:14], v[13:14], -2.0
	v_rsq_f64_e32 v[27:28], v[25:26]
	s_delay_alu instid0(VALU_DEP_1)
	v_fma_f64 v[15:16], v[13:14], s[12:13], s[10:11]
	s_mov_b32 s13, 0xbc61556d
	s_mov_b32 s10, 0xb2532277
	;; [unrolled: 1-line block ×3, first 2 shown]
	s_waitcnt_depctr 0xfff
	v_mul_f64 v[29:30], v[25:26], v[27:28]
	v_mul_f64 v[27:28], v[27:28], 0.5
	v_fma_f64 v[17:18], v[13:14], v[15:16], s[12:13]
	s_mov_b32 s12, 0x6a5dcb37
	s_mov_b32 s13, 0x3e5ade15
	s_delay_alu instid0(VALU_DEP_2) | instskip(NEXT) | instid1(VALU_DEP_2)
	v_fma_f64 v[31:32], -v[27:28], v[29:30], 0.5
	v_add_f64 v[17:18], v[17:18], s[10:11]
	s_mov_b32 s10, 0x9c773320
	s_mov_b32 s11, 0xbc82806c
	s_delay_alu instid0(VALU_DEP_2) | instskip(SKIP_1) | instid1(VALU_DEP_3)
	v_fma_f64 v[29:30], v[29:30], v[31:32], v[29:30]
	v_fma_f64 v[27:28], v[27:28], v[31:32], v[27:28]
	v_fma_f64 v[15:16], v[13:14], v[17:18], -v[15:16]
	s_delay_alu instid0(VALU_DEP_3) | instskip(NEXT) | instid1(VALU_DEP_2)
	v_fma_f64 v[31:32], -v[29:30], v[29:30], v[25:26]
	v_add_f64 v[15:16], v[15:16], s[10:11]
	s_mov_b32 s10, 0xfceb588a
	s_mov_b32 s11, 0x3cb55915
	s_delay_alu instid0(VALU_DEP_1) | instskip(NEXT) | instid1(VALU_DEP_1)
	v_fma_f64 v[17:18], v[13:14], v[15:16], -v[17:18]
	v_add_f64 v[17:18], v[17:18], s[10:11]
	s_mov_b32 s10, 0x5f04a2d1
	s_mov_b32 s11, 0x3cb7d68e
	s_delay_alu instid0(VALU_DEP_1) | instskip(NEXT) | instid1(VALU_DEP_1)
	v_fma_f64 v[15:16], v[13:14], v[17:18], -v[15:16]
	v_add_f64 v[15:16], v[15:16], s[10:11]
	s_mov_b32 s10, 0x8bc4d22a
	s_mov_b32 s11, 0xbce0efcd
	s_delay_alu instid0(VALU_DEP_1) | instskip(NEXT) | instid1(VALU_DEP_1)
	v_fma_f64 v[17:18], v[13:14], v[15:16], -v[17:18]
	v_add_f64 v[17:18], v[17:18], s[10:11]
	s_mov_b32 s10, 0x138afbc7
	s_mov_b32 s11, 0xbcf12db5
	s_delay_alu instid0(VALU_DEP_1) | instskip(NEXT) | instid1(VALU_DEP_1)
	v_fma_f64 v[15:16], v[13:14], v[17:18], -v[15:16]
	v_add_f64 v[15:16], v[15:16], s[10:11]
	s_mov_b32 s10, 0x762d31e8
	s_mov_b32 s11, 0x3d0776e1
	s_delay_alu instid0(VALU_DEP_1) | instskip(NEXT) | instid1(VALU_DEP_1)
	v_fma_f64 v[17:18], v[13:14], v[15:16], -v[17:18]
	v_add_f64 v[17:18], v[17:18], s[10:11]
	s_mov_b32 s10, 0x26b3281e
	s_mov_b32 s11, 0x3d280d3c
	s_delay_alu instid0(VALU_DEP_1) | instskip(NEXT) | instid1(VALU_DEP_1)
	v_fma_f64 v[15:16], v[13:14], v[17:18], -v[15:16]
	v_add_f64 v[15:16], v[15:16], s[10:11]
	s_mov_b32 s10, 0x2e6d22a0
	s_mov_b32 s11, 0xbd17a948
	s_delay_alu instid0(VALU_DEP_1) | instskip(NEXT) | instid1(VALU_DEP_1)
	v_fma_f64 v[17:18], v[13:14], v[15:16], -v[17:18]
	v_add_f64 v[17:18], v[17:18], s[10:11]
	s_mov_b32 s10, 0x8e73e255
	s_mov_b32 s11, 0xbd5cbc45
	s_delay_alu instid0(VALU_DEP_1) | instskip(NEXT) | instid1(VALU_DEP_1)
	v_fma_f64 v[15:16], v[13:14], v[17:18], -v[15:16]
	v_add_f64 v[15:16], v[15:16], s[10:11]
	s_mov_b32 s10, 0x76ab493
	s_mov_b32 s11, 0xbd6953e1
	s_delay_alu instid0(VALU_DEP_1) | instskip(NEXT) | instid1(VALU_DEP_1)
	v_fma_f64 v[17:18], v[13:14], v[15:16], -v[17:18]
	v_add_f64 v[17:18], v[17:18], s[10:11]
	s_mov_b32 s10, 0xf6439fa3
	s_mov_b32 s11, 0x3d81e7d3
	s_delay_alu instid0(VALU_DEP_1) | instskip(NEXT) | instid1(VALU_DEP_1)
	v_fma_f64 v[15:16], v[13:14], v[17:18], -v[15:16]
	v_add_f64 v[15:16], v[15:16], s[10:11]
	s_mov_b32 s10, 0x653c457b
	s_mov_b32 s11, 0x3daf101f
	s_delay_alu instid0(VALU_DEP_1) | instskip(NEXT) | instid1(VALU_DEP_1)
	v_fma_f64 v[17:18], v[13:14], v[15:16], -v[17:18]
	v_add_f64 v[17:18], v[17:18], s[10:11]
	s_mov_b32 s10, 0xf1587865
	s_mov_b32 s11, 0x3dc1e1a1
	s_delay_alu instid0(VALU_DEP_1) | instskip(NEXT) | instid1(VALU_DEP_1)
	v_fma_f64 v[15:16], v[13:14], v[17:18], -v[15:16]
	v_add_f64 v[15:16], v[15:16], s[10:11]
	s_mov_b32 s10, 0xd4504c0c
	s_mov_b32 s11, 0xbdb4dcf9
	s_delay_alu instid0(VALU_DEP_1) | instskip(NEXT) | instid1(VALU_DEP_1)
	v_fma_f64 v[17:18], v[13:14], v[15:16], -v[17:18]
	v_add_f64 v[17:18], v[17:18], s[10:11]
	s_mov_b32 s10, 0x5423dd80
	s_mov_b32 s11, 0xbe0334ca
	s_delay_alu instid0(VALU_DEP_1) | instskip(NEXT) | instid1(VALU_DEP_1)
	v_fma_f64 v[15:16], v[13:14], v[17:18], -v[15:16]
	v_add_f64 v[15:16], v[15:16], s[10:11]
	s_mov_b32 s10, 0x652b82fe
	s_mov_b32 s11, 0x3ff71547
	s_delay_alu instid0(SALU_CYCLE_1) | instskip(SKIP_2) | instid1(VALU_DEP_2)
	v_mul_f64 v[19:20], v[11:12], s[10:11]
	s_mov_b32 s10, 0x9ad53528
	s_mov_b32 s11, 0xbe30790b
	v_fma_f64 v[17:18], v[13:14], v[15:16], -v[17:18]
	s_delay_alu instid0(VALU_DEP_2) | instskip(NEXT) | instid1(VALU_DEP_2)
	v_rndne_f64_e32 v[19:20], v[19:20]
	v_add_f64 v[17:18], v[17:18], s[10:11]
	s_mov_b32 s10, 0xfefa39ef
	s_mov_b32 s11, 0xbfe62e42
	s_delay_alu instid0(VALU_DEP_2) | instid1(SALU_CYCLE_1)
	v_fma_f64 v[21:22], v[19:20], s[10:11], v[11:12]
	s_mov_b32 s10, 0x3b39803f
	s_mov_b32 s11, 0xbc7abc9e
	s_delay_alu instid0(VALU_DEP_2) | instskip(NEXT) | instid1(VALU_DEP_2)
	v_fma_f64 v[15:16], v[13:14], v[17:18], -v[15:16]
	v_fma_f64 v[21:22], v[19:20], s[10:11], v[21:22]
	s_mov_b32 s10, 0x94bb46c1
	s_mov_b32 s11, 0xbe5c4153
	s_delay_alu instid0(VALU_DEP_2) | instid1(SALU_CYCLE_1)
	v_add_f64 v[15:16], v[15:16], s[10:11]
	s_mov_b32 s10, 0xfca7ab0c
	s_mov_b32 s11, 0x3e928af3
	s_delay_alu instid0(VALU_DEP_2) | instid1(SALU_CYCLE_1)
	v_fma_f64 v[23:24], v[21:22], s[12:13], s[10:11]
	s_mov_b32 s10, 0x623fde64
	s_mov_b32 s11, 0x3ec71dee
	s_delay_alu instid0(VALU_DEP_2) | instskip(NEXT) | instid1(VALU_DEP_2)
	v_fma_f64 v[17:18], v[13:14], v[15:16], -v[17:18]
	v_fma_f64 v[23:24], v[21:22], v[23:24], s[10:11]
	s_mov_b32 s10, 0x2e9e5443
	s_mov_b32 s11, 0xbe90dbfd
	s_delay_alu instid0(VALU_DEP_2) | instid1(SALU_CYCLE_1)
	;; [unrolled: 13-line block ×5, first 2 shown]
	v_add_f64 v[15:16], v[15:16], s[10:11]
	s_mov_b32 s10, 11
	s_mov_b32 s11, 0x3fe00000
	s_delay_alu instid0(VALU_DEP_2) | instid1(SALU_CYCLE_1)
	v_fma_f64 v[23:24], v[21:22], v[23:24], s[10:11]
	s_mov_b32 s10, 0xb55b1514
	s_mov_b32 s11, 0x3fe8ea18
	s_delay_alu instid0(VALU_DEP_2) | instskip(SKIP_2) | instid1(VALU_DEP_4)
	v_fma_f64 v[13:14], v[13:14], v[15:16], -v[17:18]
	v_fma_f64 v[15:16], v[31:32], v[27:28], v[29:30]
	v_cvt_i32_f64_e32 v29, v[19:20]
	v_fma_f64 v[23:24], v[21:22], v[23:24], 1.0
	s_delay_alu instid0(VALU_DEP_4) | instskip(NEXT) | instid1(VALU_DEP_4)
	v_add_f64 v[13:14], v[13:14], s[10:11]
	v_fma_f64 v[19:20], -v[15:16], v[15:16], v[25:26]
	s_delay_alu instid0(VALU_DEP_3) | instskip(NEXT) | instid1(VALU_DEP_3)
	v_fma_f64 v[21:22], v[21:22], v[23:24], 1.0
	v_add_f64 v[13:14], v[13:14], -v[17:18]
	s_delay_alu instid0(VALU_DEP_3) | instskip(NEXT) | instid1(VALU_DEP_3)
	v_fma_f64 v[15:16], v[19:20], v[27:28], v[15:16]
	v_ldexp_f64 v[17:18], v[21:22], v29
	s_delay_alu instid0(VALU_DEP_3) | instskip(SKIP_2) | instid1(VALU_DEP_4)
	v_mul_f64 v[19:20], v[13:14], 0.5
	v_cndmask_b32_e64 v13, 0, 0xffffff80, vcc_lo
	v_cmp_class_f64_e64 vcc_lo, v[25:26], 0x260
	v_cndmask_b32_e64 v14, 0x7ff00000, v18, s0
	s_delay_alu instid0(VALU_DEP_3) | instskip(SKIP_1) | instid1(VALU_DEP_1)
	v_ldexp_f64 v[15:16], v[15:16], v13
	v_cndmask_b32_e64 v13, 0, v17, s0
	v_mul_f64 v[17:18], v[13:14], v[19:20]
	s_delay_alu instid0(VALU_DEP_3) | instskip(NEXT) | instid1(VALU_DEP_1)
	v_dual_cndmask_b32 v16, v16, v26 :: v_dual_cndmask_b32 v15, v15, v25
	v_div_scale_f64 v[19:20], null, v[15:16], v[15:16], v[17:18]
	s_delay_alu instid0(VALU_DEP_1) | instskip(SKIP_2) | instid1(VALU_DEP_1)
	v_rcp_f64_e32 v[21:22], v[19:20]
	s_waitcnt_depctr 0xfff
	v_fma_f64 v[23:24], -v[19:20], v[21:22], 1.0
	v_fma_f64 v[21:22], v[21:22], v[23:24], v[21:22]
	s_delay_alu instid0(VALU_DEP_1) | instskip(NEXT) | instid1(VALU_DEP_1)
	v_fma_f64 v[23:24], -v[19:20], v[21:22], 1.0
	v_fma_f64 v[21:22], v[21:22], v[23:24], v[21:22]
	v_div_scale_f64 v[23:24], vcc_lo, v[17:18], v[15:16], v[17:18]
	s_delay_alu instid0(VALU_DEP_1) | instskip(NEXT) | instid1(VALU_DEP_1)
	v_mul_f64 v[25:26], v[23:24], v[21:22]
	v_fma_f64 v[19:20], -v[19:20], v[25:26], v[23:24]
	s_delay_alu instid0(VALU_DEP_1) | instskip(NEXT) | instid1(VALU_DEP_1)
	v_div_fmas_f64 v[19:20], v[19:20], v[21:22], v[25:26]
	v_div_fixup_f64 v[15:16], v[19:20], v[15:16], v[17:18]
.LBB7_75:
	s_or_b32 exec_lo, exec_lo, s1
	s_delay_alu instid0(VALU_DEP_2)
	v_frexp_mant_f64_e32 v[17:18], v[7:8]
	s_mov_b32 s1, 0x3fe55555
	s_mov_b32 s0, 0x55555555
	v_mov_b32_e32 v19, 0
	v_fma_f64 v[31:32], v[11:12], v[11:12], -2.0
	s_mov_b32 s10, 0x7a0399e0
	s_mov_b32 s11, 0xbce5dd51
	;; [unrolled: 1-line block ×4, first 2 shown]
	v_frexp_exp_i32_f64_e32 v35, v[7:8]
	s_delay_alu instid0(VALU_DEP_4) | instskip(SKIP_1) | instid1(VALU_DEP_3)
	v_cmp_gt_f64_e32 vcc_lo, s[0:1], v[17:18]
	s_mov_b32 s0, 0x55555780
	v_fma_f64 v[33:34], v[31:32], s[12:13], s[10:11]
	s_mov_b32 s13, 0x3c603228
	s_mov_b32 s10, 0xddd0e045
	;; [unrolled: 1-line block ×3, first 2 shown]
	v_cndmask_b32_e64 v20, 0x3ff00000, 2.0, vcc_lo
	s_delay_alu instid0(VALU_DEP_1) | instskip(NEXT) | instid1(VALU_DEP_1)
	v_mul_f64 v[17:18], v[17:18], v[19:20]
	v_add_f64 v[19:20], v[17:18], 1.0
	v_add_f64 v[25:26], v[17:18], -1.0
	s_delay_alu instid0(VALU_DEP_2) | instskip(SKIP_1) | instid1(VALU_DEP_1)
	v_rcp_f64_e32 v[21:22], v[19:20]
	v_add_f64 v[27:28], v[19:20], -1.0
	v_add_f64 v[17:18], v[17:18], -v[27:28]
	s_waitcnt_depctr 0xfff
	v_fma_f64 v[23:24], -v[19:20], v[21:22], 1.0
	s_delay_alu instid0(VALU_DEP_1) | instskip(NEXT) | instid1(VALU_DEP_1)
	v_fma_f64 v[21:22], v[23:24], v[21:22], v[21:22]
	v_fma_f64 v[23:24], -v[19:20], v[21:22], 1.0
	s_delay_alu instid0(VALU_DEP_1) | instskip(NEXT) | instid1(VALU_DEP_1)
	v_fma_f64 v[21:22], v[23:24], v[21:22], v[21:22]
	v_mul_f64 v[23:24], v[25:26], v[21:22]
	s_delay_alu instid0(VALU_DEP_1) | instskip(NEXT) | instid1(VALU_DEP_1)
	v_mul_f64 v[29:30], v[19:20], v[23:24]
	v_fma_f64 v[19:20], v[23:24], v[19:20], -v[29:30]
	s_delay_alu instid0(VALU_DEP_1) | instskip(NEXT) | instid1(VALU_DEP_1)
	v_fma_f64 v[17:18], v[23:24], v[17:18], v[19:20]
	v_add_f64 v[19:20], v[29:30], v[17:18]
	s_delay_alu instid0(VALU_DEP_1) | instskip(SKIP_1) | instid1(VALU_DEP_2)
	v_add_f64 v[27:28], v[25:26], -v[19:20]
	v_add_f64 v[29:30], v[19:20], -v[29:30]
	;; [unrolled: 1-line block ×3, first 2 shown]
	s_delay_alu instid0(VALU_DEP_2) | instskip(NEXT) | instid1(VALU_DEP_2)
	v_add_f64 v[17:18], v[29:30], -v[17:18]
	v_add_f64 v[19:20], v[25:26], -v[19:20]
	v_fma_f64 v[25:26], v[31:32], v[33:34], s[12:13]
	s_mov_b32 s12, 0xbf559e2b
	s_mov_b32 s13, 0x3fc3ab76
	s_delay_alu instid0(VALU_DEP_2) | instskip(NEXT) | instid1(VALU_DEP_2)
	v_add_f64 v[17:18], v[17:18], v[19:20]
	v_add_f64 v[19:20], v[25:26], s[10:11]
	s_mov_b32 s10, 0xb84626ca
	s_mov_b32 s11, 0xbde3663b
	s_delay_alu instid0(VALU_DEP_2) | instskip(NEXT) | instid1(VALU_DEP_2)
	v_add_f64 v[17:18], v[27:28], v[17:18]
	v_fma_f64 v[25:26], v[31:32], v[19:20], -v[33:34]
	s_delay_alu instid0(VALU_DEP_2) | instskip(NEXT) | instid1(VALU_DEP_2)
	v_mul_f64 v[17:18], v[21:22], v[17:18]
	v_add_f64 v[21:22], v[25:26], s[10:11]
	s_mov_b32 s10, 0x145c31d0
	s_mov_b32 s11, 0xbe57c41d
	s_delay_alu instid0(VALU_DEP_2) | instskip(NEXT) | instid1(VALU_DEP_2)
	v_add_f64 v[25:26], v[23:24], v[17:18]
	v_fma_f64 v[19:20], v[31:32], v[21:22], -v[19:20]
	s_delay_alu instid0(VALU_DEP_2) | instskip(NEXT) | instid1(VALU_DEP_2)
	v_mul_f64 v[27:28], v[25:26], v[25:26]
	v_add_f64 v[19:20], v[19:20], s[10:11]
	s_mov_b32 s10, 0x6b47b09a
	s_mov_b32 s11, 0x3fc38538
	v_add_f64 v[23:24], v[25:26], -v[23:24]
	s_delay_alu instid0(VALU_DEP_3) | instskip(NEXT) | instid1(VALU_DEP_3)
	v_fma_f64 v[29:30], v[27:28], s[12:13], s[10:11]
	v_fma_f64 v[21:22], v[31:32], v[19:20], -v[21:22]
	s_mov_b32 s10, 0xd7f4df2e
	s_mov_b32 s11, 0x3fc7474d
	v_mul_f64 v[33:34], v[25:26], v[27:28]
	s_delay_alu instid0(VALU_DEP_4) | instskip(NEXT) | instid1(VALU_DEP_4)
	v_add_f64 v[17:18], v[17:18], -v[23:24]
	v_fma_f64 v[29:30], v[27:28], v[29:30], s[10:11]
	s_mov_b32 s10, 0x2c832e3a
	s_mov_b32 s11, 0xbec469b3
	s_delay_alu instid0(VALU_DEP_4) | instid1(SALU_CYCLE_1)
	v_add_f64 v[21:22], v[21:22], s[10:11]
	s_mov_b32 s10, 0x16291751
	s_mov_b32 s11, 0x3fcc71c0
	s_delay_alu instid0(VALU_DEP_3) | instskip(NEXT) | instid1(VALU_DEP_3)
	v_ldexp_f64 v[17:18], v[17:18], 1
	v_fma_f64 v[29:30], v[27:28], v[29:30], s[10:11]
	s_mov_b32 s10, 0x9b27acf1
	s_mov_b32 s11, 0x3fd24924
	s_delay_alu instid0(VALU_DEP_3) | instskip(NEXT) | instid1(VALU_DEP_2)
	v_fma_f64 v[19:20], v[31:32], v[21:22], -v[19:20]
	v_fma_f64 v[29:30], v[27:28], v[29:30], s[10:11]
	s_mov_b32 s10, 0xe5a3bd02
	s_mov_b32 s11, 0xbf26ade2
	s_delay_alu instid0(VALU_DEP_2) | instid1(SALU_CYCLE_1)
	v_add_f64 v[19:20], v[19:20], s[10:11]
	s_mov_b32 s10, 0x998ef7b6
	s_mov_b32 s11, 0x3fd99999
	s_delay_alu instid0(VALU_DEP_2) | instid1(SALU_CYCLE_1)
	v_fma_f64 v[29:30], v[27:28], v[29:30], s[10:11]
	s_delay_alu instid0(VALU_DEP_2) | instskip(NEXT) | instid1(VALU_DEP_2)
	v_fma_f64 v[21:22], v[31:32], v[19:20], -v[21:22]
	v_fma_f64 v[27:28], v[27:28], v[29:30], s[0:1]
	s_mov_b32 s0, 0x9d7d4192
	s_mov_b32 s1, 0xbf7c9293
	v_ldexp_f64 v[29:30], v[25:26], 1
	s_delay_alu instid0(VALU_DEP_3) | instskip(SKIP_2) | instid1(VALU_DEP_3)
	v_add_f64 v[21:22], v[21:22], s[0:1]
	s_mov_b32 s0, 0x43c1db74
	s_mov_b32 s1, 0xbfbf6372
	v_mul_f64 v[27:28], v[33:34], v[27:28]
	v_subrev_co_ci_u32_e32 v33, vcc_lo, 0, v35, vcc_lo
	s_delay_alu instid0(VALU_DEP_3) | instskip(NEXT) | instid1(VALU_DEP_2)
	v_fma_f64 v[19:20], v[31:32], v[21:22], -v[19:20]
	v_cvt_f64_i32_e32 v[33:34], v33
	s_delay_alu instid0(VALU_DEP_4) | instskip(NEXT) | instid1(VALU_DEP_3)
	v_add_f64 v[25:26], v[29:30], v[27:28]
	v_add_f64 v[19:20], v[19:20], s[0:1]
	s_mov_b32 s0, 0xfefa39ef
	s_mov_b32 s1, 0x3fe62e42
	s_delay_alu instid0(VALU_DEP_3) | instid1(SALU_CYCLE_1)
	v_mul_f64 v[35:36], v[33:34], s[0:1]
	s_delay_alu instid0(VALU_DEP_3) | instskip(NEXT) | instid1(VALU_DEP_3)
	v_add_f64 v[23:24], v[25:26], -v[29:30]
	v_fma_f64 v[21:22], v[31:32], v[19:20], -v[21:22]
	s_delay_alu instid0(VALU_DEP_3) | instskip(SKIP_2) | instid1(VALU_DEP_3)
	v_fma_f64 v[29:30], v[33:34], s[0:1], -v[35:36]
	s_mov_b32 s0, 0x757b0dd4
	s_mov_b32 s1, 0xbfd69a1b
	v_add_f64 v[23:24], v[27:28], -v[23:24]
	s_delay_alu instid0(VALU_DEP_3)
	v_add_f64 v[21:22], v[21:22], s[0:1]
	s_mov_b32 s0, 0x3b39803f
	s_mov_b32 s1, 0x3c7abc9e
	s_delay_alu instid0(VALU_DEP_3) | instid1(SALU_CYCLE_1)
	v_fma_f64 v[27:28], v[33:34], s[0:1], v[29:30]
	s_mov_b32 s0, 0x361008ca
	s_mov_b32 s1, 0x3ff867a1
	s_delay_alu instid0(VALU_DEP_3) | instskip(NEXT) | instid1(VALU_DEP_3)
	v_add_f64 v[17:18], v[17:18], v[23:24]
	v_fma_f64 v[21:22], v[31:32], v[21:22], -v[19:20]
	s_delay_alu instid0(VALU_DEP_3) | instskip(NEXT) | instid1(VALU_DEP_3)
	v_add_f64 v[23:24], v[35:36], v[27:28]
	v_add_f64 v[29:30], v[25:26], v[17:18]
	s_delay_alu instid0(VALU_DEP_3) | instskip(SKIP_1) | instid1(VALU_DEP_4)
	v_add_f64 v[21:22], v[21:22], s[0:1]
	v_cmp_eq_f64_e64 s0, 0x7ff00000, v[7:8]
	v_add_f64 v[33:34], v[23:24], -v[35:36]
	s_delay_alu instid0(VALU_DEP_4) | instskip(SKIP_2) | instid1(VALU_DEP_4)
	v_add_f64 v[31:32], v[23:24], v[29:30]
	v_add_f64 v[25:26], v[29:30], -v[25:26]
	v_add_f64 v[19:20], v[21:22], -v[19:20]
	;; [unrolled: 1-line block ×3, first 2 shown]
	s_delay_alu instid0(VALU_DEP_4) | instskip(NEXT) | instid1(VALU_DEP_4)
	v_add_f64 v[21:22], v[31:32], -v[23:24]
	v_add_f64 v[17:18], v[17:18], -v[25:26]
	s_delay_alu instid0(VALU_DEP_4) | instskip(NEXT) | instid1(VALU_DEP_3)
	v_mul_f64 v[19:20], v[19:20], 0.5
	v_add_f64 v[35:36], v[31:32], -v[21:22]
	v_add_f64 v[21:22], v[29:30], -v[21:22]
	s_delay_alu instid0(VALU_DEP_4) | instskip(NEXT) | instid1(VALU_DEP_4)
	v_add_f64 v[29:30], v[27:28], v[17:18]
	v_div_scale_f64 v[37:38], null, v[11:12], v[11:12], v[19:20]
	s_delay_alu instid0(VALU_DEP_4) | instskip(NEXT) | instid1(VALU_DEP_3)
	v_add_f64 v[23:24], v[23:24], -v[35:36]
	v_add_f64 v[33:34], v[29:30], -v[27:28]
	s_delay_alu instid0(VALU_DEP_3) | instskip(NEXT) | instid1(VALU_DEP_2)
	v_rcp_f64_e32 v[25:26], v[37:38]
	v_add_f64 v[21:22], v[21:22], v[23:24]
	s_delay_alu instid0(VALU_DEP_2) | instskip(SKIP_3) | instid1(VALU_DEP_2)
	v_add_f64 v[17:18], v[17:18], -v[33:34]
	s_waitcnt_depctr 0xfff
	v_fma_f64 v[23:24], -v[37:38], v[25:26], 1.0
	v_add_f64 v[21:22], v[29:30], v[21:22]
	v_fma_f64 v[23:24], v[25:26], v[23:24], v[25:26]
	v_add_f64 v[25:26], v[29:30], -v[33:34]
	s_delay_alu instid0(VALU_DEP_3) | instskip(NEXT) | instid1(VALU_DEP_3)
	v_add_f64 v[29:30], v[31:32], v[21:22]
	v_fma_f64 v[35:36], -v[37:38], v[23:24], 1.0
	s_delay_alu instid0(VALU_DEP_3) | instskip(NEXT) | instid1(VALU_DEP_3)
	v_add_f64 v[25:26], v[27:28], -v[25:26]
	v_add_f64 v[27:28], v[29:30], -v[31:32]
	v_div_scale_f64 v[31:32], vcc_lo, v[19:20], v[11:12], v[19:20]
	s_delay_alu instid0(VALU_DEP_4) | instskip(NEXT) | instid1(VALU_DEP_4)
	v_fma_f64 v[23:24], v[23:24], v[35:36], v[23:24]
	v_add_f64 v[17:18], v[17:18], v[25:26]
	s_delay_alu instid0(VALU_DEP_4) | instskip(NEXT) | instid1(VALU_DEP_3)
	v_add_f64 v[21:22], v[21:22], -v[27:28]
	v_mul_f64 v[25:26], v[31:32], v[23:24]
	s_delay_alu instid0(VALU_DEP_2) | instskip(NEXT) | instid1(VALU_DEP_2)
	v_add_f64 v[17:18], v[17:18], v[21:22]
	v_fma_f64 v[21:22], -v[37:38], v[25:26], v[31:32]
	s_delay_alu instid0(VALU_DEP_2) | instskip(NEXT) | instid1(VALU_DEP_2)
	v_add_f64 v[17:18], v[29:30], v[17:18]
	v_div_fmas_f64 v[21:22], v[21:22], v[23:24], v[25:26]
	v_cmp_neq_f64_e32 vcc_lo, 0, v[7:8]
	s_delay_alu instid0(VALU_DEP_3) | instskip(NEXT) | instid1(VALU_DEP_4)
	v_cndmask_b32_e64 v17, v17, v7, s0
	v_cndmask_b32_e64 v18, v18, v8, s0
	s_delay_alu instid0(VALU_DEP_4) | instskip(NEXT) | instid1(VALU_DEP_2)
	v_div_fixup_f64 v[7:8], v[21:22], v[11:12], v[19:20]
	v_cndmask_b32_e32 v12, 0xfff00000, v18, vcc_lo
	s_delay_alu instid0(VALU_DEP_4) | instskip(NEXT) | instid1(VALU_DEP_1)
	v_cndmask_b32_e32 v11, 0, v17, vcc_lo
	v_fma_f64 v[7:8], v[11:12], v[15:16], v[7:8]
                                        ; implicit-def: $vgpr11_vgpr12
	s_delay_alu instid0(VALU_DEP_1)
	v_mul_f64 v[7:8], v[13:14], v[7:8]
.LBB7_76:
	s_and_not1_saveexec_b32 s0, s8
	s_cbranch_execz .LBB7_78
; %bb.77:
	v_div_scale_f64 v[7:8], null, v[11:12], v[11:12], 0x40200000
	v_div_scale_f64 v[17:18], vcc_lo, 0x40200000, v[11:12], 0x40200000
	s_mov_b32 s8, 0x838f5ed3
	s_mov_b32 s9, 0x3c74af1a
	;; [unrolled: 1-line block ×4, first 2 shown]
	s_delay_alu instid0(VALU_DEP_2) | instskip(SKIP_2) | instid1(VALU_DEP_1)
	v_rcp_f64_e32 v[13:14], v[7:8]
	s_waitcnt_depctr 0xfff
	v_fma_f64 v[15:16], -v[7:8], v[13:14], 1.0
	v_fma_f64 v[13:14], v[13:14], v[15:16], v[13:14]
	s_delay_alu instid0(VALU_DEP_1) | instskip(NEXT) | instid1(VALU_DEP_1)
	v_fma_f64 v[15:16], -v[7:8], v[13:14], 1.0
	v_fma_f64 v[13:14], v[13:14], v[15:16], v[13:14]
	s_delay_alu instid0(VALU_DEP_1) | instskip(NEXT) | instid1(VALU_DEP_1)
	v_mul_f64 v[15:16], v[17:18], v[13:14]
	v_fma_f64 v[7:8], -v[7:8], v[15:16], v[17:18]
	s_delay_alu instid0(VALU_DEP_1) | instskip(SKIP_1) | instid1(VALU_DEP_2)
	v_div_fmas_f64 v[7:8], v[7:8], v[13:14], v[15:16]
	v_cmp_gt_f64_e32 vcc_lo, 0x10000000, v[11:12]
	v_div_fixup_f64 v[7:8], v[7:8], v[11:12], 0x40200000
	v_cndmask_b32_e64 v17, 0, 1, vcc_lo
	s_delay_alu instid0(VALU_DEP_1) | instskip(NEXT) | instid1(VALU_DEP_1)
	v_lshlrev_b32_e32 v17, 8, v17
	v_ldexp_f64 v[11:12], v[11:12], v17
	s_delay_alu instid0(VALU_DEP_4) | instskip(NEXT) | instid1(VALU_DEP_2)
	v_add_f64 v[7:8], v[7:8], -2.0
	v_rsq_f64_e32 v[17:18], v[11:12]
	s_delay_alu instid0(VALU_DEP_1)
	v_fma_f64 v[13:14], v[7:8], s[10:11], s[8:9]
	s_mov_b32 s11, 0x3c5a8c5d
	s_mov_b32 s8, 0x17771d52
	;; [unrolled: 1-line block ×3, first 2 shown]
	s_waitcnt_depctr 0xfff
	v_mul_f64 v[19:20], v[11:12], v[17:18]
	v_mul_f64 v[17:18], v[17:18], 0.5
	v_fma_f64 v[15:16], v[7:8], v[13:14], s[10:11]
	s_delay_alu instid0(VALU_DEP_2) | instskip(NEXT) | instid1(VALU_DEP_2)
	v_fma_f64 v[21:22], -v[17:18], v[19:20], 0.5
	v_add_f64 v[15:16], v[15:16], s[8:9]
	s_mov_b32 s8, 0x44ee2c0b
	s_mov_b32 s9, 0x3caa7d5e
	s_delay_alu instid0(VALU_DEP_2) | instskip(SKIP_1) | instid1(VALU_DEP_3)
	v_fma_f64 v[19:20], v[19:20], v[21:22], v[19:20]
	v_fma_f64 v[17:18], v[17:18], v[21:22], v[17:18]
	v_fma_f64 v[13:14], v[7:8], v[15:16], -v[13:14]
	s_delay_alu instid0(VALU_DEP_3) | instskip(NEXT) | instid1(VALU_DEP_2)
	v_fma_f64 v[21:22], -v[19:20], v[19:20], v[11:12]
	v_add_f64 v[13:14], v[13:14], s[8:9]
	s_mov_b32 s8, 0xd8758ef2
	s_mov_b32 s9, 0xbcc5d2a3
	s_delay_alu instid0(VALU_DEP_2) | instskip(NEXT) | instid1(VALU_DEP_2)
	v_fma_f64 v[19:20], v[21:22], v[17:18], v[19:20]
	v_fma_f64 v[15:16], v[7:8], v[13:14], -v[15:16]
	s_delay_alu instid0(VALU_DEP_1) | instskip(SKIP_2) | instid1(VALU_DEP_1)
	v_add_f64 v[15:16], v[15:16], s[8:9]
	s_mov_b32 s8, 0xefee81bd
	s_mov_b32 s9, 0x3ce25ced
	v_fma_f64 v[13:14], v[7:8], v[15:16], -v[13:14]
	s_delay_alu instid0(VALU_DEP_1) | instskip(SKIP_2) | instid1(VALU_DEP_1)
	v_add_f64 v[13:14], v[13:14], s[8:9]
	s_mov_b32 s8, 0x364185ab
	s_mov_b32 s9, 0xbcff9d52
	;; [unrolled: 5-line block ×20, first 2 shown]
	v_fma_f64 v[7:8], v[7:8], v[13:14], -v[15:16]
	v_fma_f64 v[13:14], -v[19:20], v[19:20], v[11:12]
	s_delay_alu instid0(VALU_DEP_2) | instskip(NEXT) | instid1(VALU_DEP_2)
	v_add_f64 v[7:8], v[7:8], s[8:9]
	v_fma_f64 v[13:14], v[13:14], v[17:18], v[19:20]
	s_delay_alu instid0(VALU_DEP_2) | instskip(SKIP_2) | instid1(VALU_DEP_2)
	v_add_f64 v[7:8], v[7:8], -v[15:16]
	v_cndmask_b32_e64 v15, 0, 0xffffff80, vcc_lo
	v_cmp_class_f64_e64 vcc_lo, v[11:12], 0x260
	v_ldexp_f64 v[13:14], v[13:14], v15
	s_delay_alu instid0(VALU_DEP_4) | instskip(NEXT) | instid1(VALU_DEP_2)
	v_mul_f64 v[7:8], v[7:8], 0.5
	v_dual_cndmask_b32 v12, v14, v12 :: v_dual_cndmask_b32 v11, v13, v11
	s_delay_alu instid0(VALU_DEP_1) | instskip(NEXT) | instid1(VALU_DEP_1)
	v_div_scale_f64 v[13:14], null, v[11:12], v[11:12], v[7:8]
	v_rcp_f64_e32 v[15:16], v[13:14]
	s_waitcnt_depctr 0xfff
	v_fma_f64 v[17:18], -v[13:14], v[15:16], 1.0
	s_delay_alu instid0(VALU_DEP_1) | instskip(NEXT) | instid1(VALU_DEP_1)
	v_fma_f64 v[15:16], v[15:16], v[17:18], v[15:16]
	v_fma_f64 v[17:18], -v[13:14], v[15:16], 1.0
	s_delay_alu instid0(VALU_DEP_1) | instskip(SKIP_1) | instid1(VALU_DEP_1)
	v_fma_f64 v[15:16], v[15:16], v[17:18], v[15:16]
	v_div_scale_f64 v[17:18], vcc_lo, v[7:8], v[11:12], v[7:8]
	v_mul_f64 v[19:20], v[17:18], v[15:16]
	s_delay_alu instid0(VALU_DEP_1) | instskip(NEXT) | instid1(VALU_DEP_1)
	v_fma_f64 v[13:14], -v[13:14], v[19:20], v[17:18]
	v_div_fmas_f64 v[13:14], v[13:14], v[15:16], v[19:20]
	s_delay_alu instid0(VALU_DEP_1)
	v_div_fixup_f64 v[7:8], v[13:14], v[11:12], v[7:8]
.LBB7_78:
	s_or_b32 exec_lo, exec_lo, s0
.LBB7_79:
	s_delay_alu instid0(SALU_CYCLE_1)
	s_or_b32 exec_lo, exec_lo, s3
.LBB7_80:
	s_delay_alu instid0(SALU_CYCLE_1)
	s_or_b32 exec_lo, exec_lo, s2
	global_load_b64 v[10:11], v10, s[6:7]
	s_mov_b32 s2, exec_lo
	s_waitcnt vmcnt(0)
	v_cmpx_neq_f64_e32 0, v[10:11]
	s_cbranch_execz .LBB7_92
; %bb.81:
	v_mov_b32_e32 v5, 0
	v_mov_b32_e32 v6, 0x7ff80000
	s_mov_b32 s3, exec_lo
	v_cmpx_ngt_f64_e32 0, v[10:11]
	s_cbranch_execz .LBB7_91
; %bb.82:
                                        ; implicit-def: $vgpr5_vgpr6
	s_mov_b32 s0, exec_lo
	v_cmpx_ge_f64_e32 2.0, v[10:11]
	s_xor_b32 s8, exec_lo, s0
	s_cbranch_execz .LBB7_88
; %bb.83:
	v_mul_f64 v[5:6], v[10:11], 0.5
	s_mov_b32 s0, exec_lo
                                        ; implicit-def: $vgpr14_vgpr15
                                        ; implicit-def: $vgpr12_vgpr13
	v_cmpx_ge_f64_e32 0x40200000, v[10:11]
	s_xor_b32 s0, exec_lo, s0
	s_cbranch_execz .LBB7_85
; %bb.84:
	s_delay_alu instid0(VALU_DEP_2)
	v_add_f64 v[12:13], v[5:6], -2.0
	s_mov_b32 s10, 0xc38a0576
	s_mov_b32 s11, 0xbc7857d0
	s_mov_b32 s13, 0x3c499f2a
	s_mov_b32 s12, 0xc3c4014
	v_cmp_nlt_f64_e32 vcc_lo, 0x40900000, v[10:11]
	s_delay_alu instid0(VALU_DEP_2) | instskip(SKIP_3) | instid1(VALU_DEP_1)
	v_fma_f64 v[14:15], v[12:13], s[12:13], s[10:11]
	s_mov_b32 s13, 0xbc499f2a
	s_mov_b32 s10, 0xe593bfac
	;; [unrolled: 1-line block ×3, first 2 shown]
	v_fma_f64 v[16:17], v[12:13], v[14:15], s[12:13]
	s_mov_b32 s12, 0x6a5dcb37
	s_mov_b32 s13, 0x3e5ade15
	s_delay_alu instid0(VALU_DEP_1) | instskip(SKIP_2) | instid1(VALU_DEP_1)
	v_add_f64 v[16:17], v[16:17], s[10:11]
	s_mov_b32 s10, 0x7e0d1573
	s_mov_b32 s11, 0xbcd3eaaa
	v_fma_f64 v[14:15], v[12:13], v[16:17], -v[14:15]
	s_delay_alu instid0(VALU_DEP_1) | instskip(SKIP_2) | instid1(VALU_DEP_1)
	v_add_f64 v[14:15], v[14:15], s[10:11]
	s_mov_b32 s10, 0x615290c
	s_mov_b32 s11, 0x3d011d7f
	v_fma_f64 v[16:17], v[12:13], v[14:15], -v[16:17]
	;; [unrolled: 5-line block ×19, first 2 shown]
	s_delay_alu instid0(VALU_DEP_1) | instskip(SKIP_2) | instid1(SALU_CYCLE_1)
	v_add_f64 v[14:15], v[14:15], s[10:11]
	s_mov_b32 s10, 0x652b82fe
	s_mov_b32 s11, 0x3ff71547
	v_mul_f64 v[18:19], v[10:11], s[10:11]
	s_mov_b32 s10, 0x49d3a1b4
	s_mov_b32 s11, 0x3f710653
	s_delay_alu instid0(VALU_DEP_2) | instskip(NEXT) | instid1(VALU_DEP_2)
	v_fma_f64 v[16:17], v[12:13], v[14:15], -v[16:17]
	v_rndne_f64_e32 v[18:19], v[18:19]
	s_delay_alu instid0(VALU_DEP_2)
	v_add_f64 v[16:17], v[16:17], s[10:11]
	s_mov_b32 s10, 0xfefa39ef
	s_mov_b32 s11, 0xbfe62e42
	s_delay_alu instid0(VALU_DEP_2) | instid1(SALU_CYCLE_1)
	v_fma_f64 v[20:21], v[18:19], s[10:11], v[10:11]
	s_mov_b32 s10, 0x7913a26a
	s_mov_b32 s11, 0xbf85a29f
	s_delay_alu instid0(VALU_DEP_2) | instskip(NEXT) | instid1(VALU_DEP_1)
	v_fma_f64 v[14:15], v[12:13], v[16:17], -v[14:15]
	v_add_f64 v[14:15], v[14:15], s[10:11]
	s_mov_b32 s10, 0x3b39803f
	s_mov_b32 s11, 0xbc7abc9e
	s_delay_alu instid0(VALU_DEP_3) | instid1(SALU_CYCLE_1)
	v_fma_f64 v[20:21], v[18:19], s[10:11], v[20:21]
	s_mov_b32 s10, 0xfca7ab0c
	s_mov_b32 s11, 0x3e928af3
	s_delay_alu instid0(VALU_DEP_2) | instskip(NEXT) | instid1(VALU_DEP_2)
	v_fma_f64 v[16:17], v[12:13], v[14:15], -v[16:17]
	v_fma_f64 v[22:23], v[20:21], s[12:13], s[10:11]
	s_mov_b32 s10, 0xe7bb2349
	s_mov_b32 s11, 0x3f9951e3
	s_delay_alu instid0(VALU_DEP_2) | instid1(SALU_CYCLE_1)
	v_add_f64 v[16:17], v[16:17], s[10:11]
	s_mov_b32 s10, 0x623fde64
	s_mov_b32 s11, 0x3ec71dee
	s_delay_alu instid0(VALU_DEP_2) | instid1(SALU_CYCLE_1)
	v_fma_f64 v[22:23], v[20:21], v[22:23], s[10:11]
	s_mov_b32 s10, 0x7c89e6b0
	s_mov_b32 s11, 0x3efa0199
	s_delay_alu instid0(VALU_DEP_2) | instskip(NEXT) | instid1(VALU_DEP_2)
	v_fma_f64 v[14:15], v[12:13], v[16:17], -v[14:15]
	v_fma_f64 v[22:23], v[20:21], v[22:23], s[10:11]
	s_mov_b32 s10, 0x537c9ebc
	s_mov_b32 s11, 0xbfab1bbc
	s_delay_alu instid0(VALU_DEP_2) | instid1(SALU_CYCLE_1)
	v_add_f64 v[14:15], v[14:15], s[10:11]
	s_mov_b32 s10, 0x14761f6e
	s_mov_b32 s11, 0x3f2a01a0
	s_delay_alu instid0(VALU_DEP_2) | instid1(SALU_CYCLE_1)
	;; [unrolled: 13-line block ×4, first 2 shown]
	v_fma_f64 v[22:23], v[20:21], v[22:23], s[10:11]
	s_mov_b32 s10, 11
	s_mov_b32 s11, 0x3fe00000
	s_delay_alu instid0(VALU_DEP_2) | instskip(NEXT) | instid1(VALU_DEP_2)
	v_fma_f64 v[12:13], v[12:13], v[14:15], -v[16:17]
	v_fma_f64 v[14:15], v[20:21], v[22:23], s[10:11]
	s_mov_b32 s10, 0x724a7ffa
	s_mov_b32 s11, 0x3fd02a63
	s_delay_alu instid0(VALU_DEP_2) | instid1(SALU_CYCLE_1)
	v_add_f64 v[12:13], v[12:13], s[10:11]
	s_delay_alu instid0(VALU_DEP_2) | instskip(NEXT) | instid1(VALU_DEP_2)
	v_fma_f64 v[14:15], v[20:21], v[14:15], 1.0
	v_add_f64 v[12:13], v[12:13], -v[16:17]
	v_cvt_i32_f64_e32 v16, v[18:19]
	s_delay_alu instid0(VALU_DEP_3) | instskip(NEXT) | instid1(VALU_DEP_3)
	v_fma_f64 v[14:15], v[20:21], v[14:15], 1.0
	v_mul_f64 v[12:13], v[12:13], 0.5
	s_delay_alu instid0(VALU_DEP_2) | instskip(NEXT) | instid1(VALU_DEP_2)
	v_ldexp_f64 v[14:15], v[14:15], v16
	v_mul_f64 v[16:17], v[10:11], v[12:13]
	s_delay_alu instid0(VALU_DEP_2) | instskip(NEXT) | instid1(VALU_DEP_3)
	v_cndmask_b32_e32 v13, 0x7ff00000, v15, vcc_lo
	v_cndmask_b32_e32 v12, 0, v14, vcc_lo
	s_delay_alu instid0(VALU_DEP_1)
	v_mul_f64 v[14:15], v[12:13], v[16:17]
.LBB7_85:
	s_and_not1_saveexec_b32 s1, s0
	s_cbranch_execz .LBB7_87
; %bb.86:
	v_div_scale_f64 v[12:13], null, v[10:11], v[10:11], 0x40400000
	v_div_scale_f64 v[18:19], vcc_lo, 0x40400000, v[10:11], 0x40400000
	s_mov_b32 s10, 0xea87b950
	s_mov_b32 s11, 0x3c545b8a
	;; [unrolled: 1-line block ×4, first 2 shown]
	v_cmp_nlt_f64_e64 s0, 0x40900000, v[10:11]
	s_delay_alu instid0(VALU_DEP_3) | instskip(SKIP_2) | instid1(VALU_DEP_1)
	v_rcp_f64_e32 v[14:15], v[12:13]
	s_waitcnt_depctr 0xfff
	v_fma_f64 v[16:17], -v[12:13], v[14:15], 1.0
	v_fma_f64 v[14:15], v[14:15], v[16:17], v[14:15]
	s_delay_alu instid0(VALU_DEP_1) | instskip(NEXT) | instid1(VALU_DEP_1)
	v_fma_f64 v[16:17], -v[12:13], v[14:15], 1.0
	v_fma_f64 v[14:15], v[14:15], v[16:17], v[14:15]
	s_delay_alu instid0(VALU_DEP_1) | instskip(NEXT) | instid1(VALU_DEP_1)
	v_mul_f64 v[16:17], v[18:19], v[14:15]
	v_fma_f64 v[12:13], -v[12:13], v[16:17], v[18:19]
	s_delay_alu instid0(VALU_DEP_1) | instskip(SKIP_1) | instid1(VALU_DEP_2)
	v_div_fmas_f64 v[12:13], v[12:13], v[14:15], v[16:17]
	v_cmp_gt_f64_e32 vcc_lo, 0x10000000, v[10:11]
	v_div_fixup_f64 v[12:13], v[12:13], v[10:11], 0x40400000
	v_cndmask_b32_e64 v24, 0, 1, vcc_lo
	s_delay_alu instid0(VALU_DEP_1) | instskip(NEXT) | instid1(VALU_DEP_1)
	v_lshlrev_b32_e32 v24, 8, v24
	v_ldexp_f64 v[24:25], v[10:11], v24
	s_delay_alu instid0(VALU_DEP_4) | instskip(NEXT) | instid1(VALU_DEP_2)
	v_add_f64 v[12:13], v[12:13], -2.0
	v_rsq_f64_e32 v[26:27], v[24:25]
	s_delay_alu instid0(VALU_DEP_1)
	v_fma_f64 v[14:15], v[12:13], s[12:13], s[10:11]
	s_mov_b32 s13, 0xbc61556d
	s_mov_b32 s10, 0xb2532277
	;; [unrolled: 1-line block ×3, first 2 shown]
	s_waitcnt_depctr 0xfff
	v_mul_f64 v[28:29], v[24:25], v[26:27]
	v_mul_f64 v[26:27], v[26:27], 0.5
	v_fma_f64 v[16:17], v[12:13], v[14:15], s[12:13]
	s_mov_b32 s12, 0x6a5dcb37
	s_mov_b32 s13, 0x3e5ade15
	s_delay_alu instid0(VALU_DEP_2) | instskip(NEXT) | instid1(VALU_DEP_2)
	v_fma_f64 v[30:31], -v[26:27], v[28:29], 0.5
	v_add_f64 v[16:17], v[16:17], s[10:11]
	s_mov_b32 s10, 0x9c773320
	s_mov_b32 s11, 0xbc82806c
	s_delay_alu instid0(VALU_DEP_2) | instskip(SKIP_1) | instid1(VALU_DEP_3)
	v_fma_f64 v[28:29], v[28:29], v[30:31], v[28:29]
	v_fma_f64 v[26:27], v[26:27], v[30:31], v[26:27]
	v_fma_f64 v[14:15], v[12:13], v[16:17], -v[14:15]
	s_delay_alu instid0(VALU_DEP_3) | instskip(NEXT) | instid1(VALU_DEP_2)
	v_fma_f64 v[30:31], -v[28:29], v[28:29], v[24:25]
	v_add_f64 v[14:15], v[14:15], s[10:11]
	s_mov_b32 s10, 0xfceb588a
	s_mov_b32 s11, 0x3cb55915
	s_delay_alu instid0(VALU_DEP_1) | instskip(NEXT) | instid1(VALU_DEP_1)
	v_fma_f64 v[16:17], v[12:13], v[14:15], -v[16:17]
	v_add_f64 v[16:17], v[16:17], s[10:11]
	s_mov_b32 s10, 0x5f04a2d1
	s_mov_b32 s11, 0x3cb7d68e
	s_delay_alu instid0(VALU_DEP_1) | instskip(NEXT) | instid1(VALU_DEP_1)
	v_fma_f64 v[14:15], v[12:13], v[16:17], -v[14:15]
	;; [unrolled: 5-line block ×14, first 2 shown]
	v_add_f64 v[14:15], v[14:15], s[10:11]
	s_mov_b32 s10, 0x652b82fe
	s_mov_b32 s11, 0x3ff71547
	s_delay_alu instid0(SALU_CYCLE_1) | instskip(SKIP_2) | instid1(VALU_DEP_2)
	v_mul_f64 v[18:19], v[10:11], s[10:11]
	s_mov_b32 s10, 0x9ad53528
	s_mov_b32 s11, 0xbe30790b
	v_fma_f64 v[16:17], v[12:13], v[14:15], -v[16:17]
	s_delay_alu instid0(VALU_DEP_2) | instskip(NEXT) | instid1(VALU_DEP_2)
	v_rndne_f64_e32 v[18:19], v[18:19]
	v_add_f64 v[16:17], v[16:17], s[10:11]
	s_mov_b32 s10, 0xfefa39ef
	s_mov_b32 s11, 0xbfe62e42
	s_delay_alu instid0(VALU_DEP_2) | instid1(SALU_CYCLE_1)
	v_fma_f64 v[20:21], v[18:19], s[10:11], v[10:11]
	s_mov_b32 s10, 0x3b39803f
	s_mov_b32 s11, 0xbc7abc9e
	s_delay_alu instid0(VALU_DEP_2) | instskip(NEXT) | instid1(VALU_DEP_2)
	v_fma_f64 v[14:15], v[12:13], v[16:17], -v[14:15]
	v_fma_f64 v[20:21], v[18:19], s[10:11], v[20:21]
	s_mov_b32 s10, 0x94bb46c1
	s_mov_b32 s11, 0xbe5c4153
	s_delay_alu instid0(VALU_DEP_2) | instid1(SALU_CYCLE_1)
	v_add_f64 v[14:15], v[14:15], s[10:11]
	s_mov_b32 s10, 0xfca7ab0c
	s_mov_b32 s11, 0x3e928af3
	s_delay_alu instid0(VALU_DEP_2) | instid1(SALU_CYCLE_1)
	v_fma_f64 v[22:23], v[20:21], s[12:13], s[10:11]
	s_mov_b32 s10, 0x623fde64
	s_mov_b32 s11, 0x3ec71dee
	s_delay_alu instid0(VALU_DEP_2) | instskip(NEXT) | instid1(VALU_DEP_2)
	v_fma_f64 v[16:17], v[12:13], v[14:15], -v[16:17]
	v_fma_f64 v[22:23], v[20:21], v[22:23], s[10:11]
	s_mov_b32 s10, 0x2e9e5443
	s_mov_b32 s11, 0xbe90dbfd
	s_delay_alu instid0(VALU_DEP_2) | instid1(SALU_CYCLE_1)
	v_add_f64 v[16:17], v[16:17], s[10:11]
	s_mov_b32 s10, 0x7c89e6b0
	s_mov_b32 s11, 0x3efa0199
	s_delay_alu instid0(VALU_DEP_2) | instid1(SALU_CYCLE_1)
	v_fma_f64 v[22:23], v[20:21], v[22:23], s[10:11]
	s_mov_b32 s10, 0x14761f6e
	s_mov_b32 s11, 0x3f2a01a0
	s_delay_alu instid0(VALU_DEP_2) | instskip(NEXT) | instid1(VALU_DEP_2)
	v_fma_f64 v[14:15], v[12:13], v[16:17], -v[14:15]
	v_fma_f64 v[22:23], v[20:21], v[22:23], s[10:11]
	s_mov_b32 s10, 0x49ca0373
	s_mov_b32 s11, 0xbed048df
	s_delay_alu instid0(VALU_DEP_2) | instid1(SALU_CYCLE_1)
	v_add_f64 v[14:15], v[14:15], s[10:11]
	s_mov_b32 s10, 0x1852b7b0
	s_mov_b32 s11, 0x3f56c16c
	s_delay_alu instid0(VALU_DEP_2) | instid1(SALU_CYCLE_1)
	v_fma_f64 v[22:23], v[20:21], v[22:23], s[10:11]
	s_mov_b32 s10, 0x11122322
	s_mov_b32 s11, 0x3f811111
	s_delay_alu instid0(VALU_DEP_2) | instskip(NEXT) | instid1(VALU_DEP_2)
	v_fma_f64 v[16:17], v[12:13], v[14:15], -v[16:17]
	v_fma_f64 v[22:23], v[20:21], v[22:23], s[10:11]
	s_mov_b32 s10, 0x804aa9a6
	s_mov_b32 s11, 0xbf1cfd7f
	s_delay_alu instid0(VALU_DEP_2) | instid1(SALU_CYCLE_1)
	v_add_f64 v[16:17], v[16:17], s[10:11]
	s_mov_b32 s10, 0x555502a1
	s_mov_b32 s11, 0x3fa55555
	s_delay_alu instid0(VALU_DEP_2) | instid1(SALU_CYCLE_1)
	v_fma_f64 v[22:23], v[20:21], v[22:23], s[10:11]
	s_mov_b32 s10, 0x55555511
	s_mov_b32 s11, 0x3fc55555
	s_delay_alu instid0(VALU_DEP_2) | instskip(NEXT) | instid1(VALU_DEP_2)
	v_fma_f64 v[14:15], v[12:13], v[16:17], -v[14:15]
	v_fma_f64 v[22:23], v[20:21], v[22:23], s[10:11]
	s_mov_b32 s10, 0x53fcdb4c
	s_mov_b32 s11, 0xbf83fda0
	s_delay_alu instid0(VALU_DEP_2) | instid1(SALU_CYCLE_1)
	v_add_f64 v[14:15], v[14:15], s[10:11]
	s_mov_b32 s10, 11
	s_mov_b32 s11, 0x3fe00000
	s_delay_alu instid0(VALU_DEP_2) | instid1(SALU_CYCLE_1)
	v_fma_f64 v[22:23], v[20:21], v[22:23], s[10:11]
	s_mov_b32 s10, 0xb55b1514
	s_mov_b32 s11, 0x3fe8ea18
	s_delay_alu instid0(VALU_DEP_2) | instskip(SKIP_2) | instid1(VALU_DEP_4)
	v_fma_f64 v[12:13], v[12:13], v[14:15], -v[16:17]
	v_fma_f64 v[14:15], v[30:31], v[26:27], v[28:29]
	v_cvt_i32_f64_e32 v28, v[18:19]
	v_fma_f64 v[22:23], v[20:21], v[22:23], 1.0
	s_delay_alu instid0(VALU_DEP_4) | instskip(NEXT) | instid1(VALU_DEP_4)
	v_add_f64 v[12:13], v[12:13], s[10:11]
	v_fma_f64 v[18:19], -v[14:15], v[14:15], v[24:25]
	s_delay_alu instid0(VALU_DEP_3) | instskip(NEXT) | instid1(VALU_DEP_3)
	v_fma_f64 v[20:21], v[20:21], v[22:23], 1.0
	v_add_f64 v[12:13], v[12:13], -v[16:17]
	s_delay_alu instid0(VALU_DEP_3) | instskip(NEXT) | instid1(VALU_DEP_3)
	v_fma_f64 v[14:15], v[18:19], v[26:27], v[14:15]
	v_ldexp_f64 v[16:17], v[20:21], v28
	s_delay_alu instid0(VALU_DEP_3) | instskip(SKIP_2) | instid1(VALU_DEP_4)
	v_mul_f64 v[18:19], v[12:13], 0.5
	v_cndmask_b32_e64 v12, 0, 0xffffff80, vcc_lo
	v_cmp_class_f64_e64 vcc_lo, v[24:25], 0x260
	v_cndmask_b32_e64 v13, 0x7ff00000, v17, s0
	s_delay_alu instid0(VALU_DEP_3) | instskip(SKIP_1) | instid1(VALU_DEP_1)
	v_ldexp_f64 v[14:15], v[14:15], v12
	v_cndmask_b32_e64 v12, 0, v16, s0
	v_mul_f64 v[16:17], v[12:13], v[18:19]
	s_delay_alu instid0(VALU_DEP_3) | instskip(NEXT) | instid1(VALU_DEP_1)
	v_dual_cndmask_b32 v15, v15, v25 :: v_dual_cndmask_b32 v14, v14, v24
	v_div_scale_f64 v[18:19], null, v[14:15], v[14:15], v[16:17]
	s_delay_alu instid0(VALU_DEP_1) | instskip(SKIP_2) | instid1(VALU_DEP_1)
	v_rcp_f64_e32 v[20:21], v[18:19]
	s_waitcnt_depctr 0xfff
	v_fma_f64 v[22:23], -v[18:19], v[20:21], 1.0
	v_fma_f64 v[20:21], v[20:21], v[22:23], v[20:21]
	s_delay_alu instid0(VALU_DEP_1) | instskip(NEXT) | instid1(VALU_DEP_1)
	v_fma_f64 v[22:23], -v[18:19], v[20:21], 1.0
	v_fma_f64 v[20:21], v[20:21], v[22:23], v[20:21]
	v_div_scale_f64 v[22:23], vcc_lo, v[16:17], v[14:15], v[16:17]
	s_delay_alu instid0(VALU_DEP_1) | instskip(NEXT) | instid1(VALU_DEP_1)
	v_mul_f64 v[24:25], v[22:23], v[20:21]
	v_fma_f64 v[18:19], -v[18:19], v[24:25], v[22:23]
	s_delay_alu instid0(VALU_DEP_1) | instskip(NEXT) | instid1(VALU_DEP_1)
	v_div_fmas_f64 v[18:19], v[18:19], v[20:21], v[24:25]
	v_div_fixup_f64 v[14:15], v[18:19], v[14:15], v[16:17]
.LBB7_87:
	s_or_b32 exec_lo, exec_lo, s1
	s_delay_alu instid0(VALU_DEP_2)
	v_frexp_mant_f64_e32 v[16:17], v[5:6]
	s_mov_b32 s1, 0x3fe55555
	s_mov_b32 s0, 0x55555555
	v_mov_b32_e32 v18, 0
	v_fma_f64 v[30:31], v[10:11], v[10:11], -2.0
	s_mov_b32 s10, 0x7a0399e0
	s_mov_b32 s11, 0xbce5dd51
	;; [unrolled: 1-line block ×4, first 2 shown]
	v_frexp_exp_i32_f64_e32 v34, v[5:6]
	s_delay_alu instid0(VALU_DEP_4) | instskip(SKIP_1) | instid1(VALU_DEP_3)
	v_cmp_gt_f64_e32 vcc_lo, s[0:1], v[16:17]
	s_mov_b32 s0, 0x55555780
	v_fma_f64 v[32:33], v[30:31], s[12:13], s[10:11]
	s_mov_b32 s13, 0x3c603228
	s_mov_b32 s10, 0xddd0e045
	;; [unrolled: 1-line block ×3, first 2 shown]
	v_cndmask_b32_e64 v19, 0x3ff00000, 2.0, vcc_lo
	s_delay_alu instid0(VALU_DEP_1) | instskip(NEXT) | instid1(VALU_DEP_1)
	v_mul_f64 v[16:17], v[16:17], v[18:19]
	v_add_f64 v[18:19], v[16:17], 1.0
	v_add_f64 v[24:25], v[16:17], -1.0
	s_delay_alu instid0(VALU_DEP_2) | instskip(SKIP_1) | instid1(VALU_DEP_1)
	v_rcp_f64_e32 v[20:21], v[18:19]
	v_add_f64 v[26:27], v[18:19], -1.0
	v_add_f64 v[16:17], v[16:17], -v[26:27]
	s_waitcnt_depctr 0xfff
	v_fma_f64 v[22:23], -v[18:19], v[20:21], 1.0
	s_delay_alu instid0(VALU_DEP_1) | instskip(NEXT) | instid1(VALU_DEP_1)
	v_fma_f64 v[20:21], v[22:23], v[20:21], v[20:21]
	v_fma_f64 v[22:23], -v[18:19], v[20:21], 1.0
	s_delay_alu instid0(VALU_DEP_1) | instskip(NEXT) | instid1(VALU_DEP_1)
	v_fma_f64 v[20:21], v[22:23], v[20:21], v[20:21]
	v_mul_f64 v[22:23], v[24:25], v[20:21]
	s_delay_alu instid0(VALU_DEP_1) | instskip(NEXT) | instid1(VALU_DEP_1)
	v_mul_f64 v[28:29], v[18:19], v[22:23]
	v_fma_f64 v[18:19], v[22:23], v[18:19], -v[28:29]
	s_delay_alu instid0(VALU_DEP_1) | instskip(NEXT) | instid1(VALU_DEP_1)
	v_fma_f64 v[16:17], v[22:23], v[16:17], v[18:19]
	v_add_f64 v[18:19], v[28:29], v[16:17]
	s_delay_alu instid0(VALU_DEP_1) | instskip(SKIP_1) | instid1(VALU_DEP_2)
	v_add_f64 v[26:27], v[24:25], -v[18:19]
	v_add_f64 v[28:29], v[18:19], -v[28:29]
	;; [unrolled: 1-line block ×3, first 2 shown]
	s_delay_alu instid0(VALU_DEP_2) | instskip(NEXT) | instid1(VALU_DEP_2)
	v_add_f64 v[16:17], v[28:29], -v[16:17]
	v_add_f64 v[18:19], v[24:25], -v[18:19]
	v_fma_f64 v[24:25], v[30:31], v[32:33], s[12:13]
	s_mov_b32 s12, 0xbf559e2b
	s_mov_b32 s13, 0x3fc3ab76
	s_delay_alu instid0(VALU_DEP_2) | instskip(NEXT) | instid1(VALU_DEP_2)
	v_add_f64 v[16:17], v[16:17], v[18:19]
	v_add_f64 v[18:19], v[24:25], s[10:11]
	s_mov_b32 s10, 0xb84626ca
	s_mov_b32 s11, 0xbde3663b
	s_delay_alu instid0(VALU_DEP_2) | instskip(NEXT) | instid1(VALU_DEP_2)
	v_add_f64 v[16:17], v[26:27], v[16:17]
	v_fma_f64 v[24:25], v[30:31], v[18:19], -v[32:33]
	s_delay_alu instid0(VALU_DEP_2) | instskip(NEXT) | instid1(VALU_DEP_2)
	v_mul_f64 v[16:17], v[20:21], v[16:17]
	v_add_f64 v[20:21], v[24:25], s[10:11]
	s_mov_b32 s10, 0x145c31d0
	s_mov_b32 s11, 0xbe57c41d
	s_delay_alu instid0(VALU_DEP_2) | instskip(NEXT) | instid1(VALU_DEP_2)
	v_add_f64 v[24:25], v[22:23], v[16:17]
	v_fma_f64 v[18:19], v[30:31], v[20:21], -v[18:19]
	s_delay_alu instid0(VALU_DEP_2) | instskip(NEXT) | instid1(VALU_DEP_2)
	v_mul_f64 v[26:27], v[24:25], v[24:25]
	v_add_f64 v[18:19], v[18:19], s[10:11]
	s_mov_b32 s10, 0x6b47b09a
	s_mov_b32 s11, 0x3fc38538
	v_add_f64 v[22:23], v[24:25], -v[22:23]
	s_delay_alu instid0(VALU_DEP_3) | instskip(NEXT) | instid1(VALU_DEP_3)
	v_fma_f64 v[28:29], v[26:27], s[12:13], s[10:11]
	v_fma_f64 v[20:21], v[30:31], v[18:19], -v[20:21]
	s_mov_b32 s10, 0xd7f4df2e
	s_mov_b32 s11, 0x3fc7474d
	v_mul_f64 v[32:33], v[24:25], v[26:27]
	s_delay_alu instid0(VALU_DEP_4) | instskip(NEXT) | instid1(VALU_DEP_4)
	v_add_f64 v[16:17], v[16:17], -v[22:23]
	v_fma_f64 v[28:29], v[26:27], v[28:29], s[10:11]
	s_mov_b32 s10, 0x2c832e3a
	s_mov_b32 s11, 0xbec469b3
	s_delay_alu instid0(VALU_DEP_4) | instid1(SALU_CYCLE_1)
	v_add_f64 v[20:21], v[20:21], s[10:11]
	s_mov_b32 s10, 0x16291751
	s_mov_b32 s11, 0x3fcc71c0
	s_delay_alu instid0(VALU_DEP_3) | instskip(NEXT) | instid1(VALU_DEP_3)
	v_ldexp_f64 v[16:17], v[16:17], 1
	v_fma_f64 v[28:29], v[26:27], v[28:29], s[10:11]
	s_mov_b32 s10, 0x9b27acf1
	s_mov_b32 s11, 0x3fd24924
	s_delay_alu instid0(VALU_DEP_3) | instskip(NEXT) | instid1(VALU_DEP_2)
	v_fma_f64 v[18:19], v[30:31], v[20:21], -v[18:19]
	v_fma_f64 v[28:29], v[26:27], v[28:29], s[10:11]
	s_mov_b32 s10, 0xe5a3bd02
	s_mov_b32 s11, 0xbf26ade2
	s_delay_alu instid0(VALU_DEP_2) | instid1(SALU_CYCLE_1)
	v_add_f64 v[18:19], v[18:19], s[10:11]
	s_mov_b32 s10, 0x998ef7b6
	s_mov_b32 s11, 0x3fd99999
	s_delay_alu instid0(VALU_DEP_2) | instid1(SALU_CYCLE_1)
	v_fma_f64 v[28:29], v[26:27], v[28:29], s[10:11]
	s_delay_alu instid0(VALU_DEP_2) | instskip(NEXT) | instid1(VALU_DEP_2)
	v_fma_f64 v[20:21], v[30:31], v[18:19], -v[20:21]
	v_fma_f64 v[26:27], v[26:27], v[28:29], s[0:1]
	s_mov_b32 s0, 0x9d7d4192
	s_mov_b32 s1, 0xbf7c9293
	v_ldexp_f64 v[28:29], v[24:25], 1
	s_delay_alu instid0(VALU_DEP_3) | instskip(SKIP_2) | instid1(VALU_DEP_3)
	v_add_f64 v[20:21], v[20:21], s[0:1]
	s_mov_b32 s0, 0x43c1db74
	s_mov_b32 s1, 0xbfbf6372
	v_mul_f64 v[26:27], v[32:33], v[26:27]
	v_subrev_co_ci_u32_e32 v32, vcc_lo, 0, v34, vcc_lo
	s_delay_alu instid0(VALU_DEP_3) | instskip(NEXT) | instid1(VALU_DEP_2)
	v_fma_f64 v[18:19], v[30:31], v[20:21], -v[18:19]
	v_cvt_f64_i32_e32 v[32:33], v32
	s_delay_alu instid0(VALU_DEP_4) | instskip(NEXT) | instid1(VALU_DEP_3)
	v_add_f64 v[24:25], v[28:29], v[26:27]
	v_add_f64 v[18:19], v[18:19], s[0:1]
	s_mov_b32 s0, 0xfefa39ef
	s_mov_b32 s1, 0x3fe62e42
	s_delay_alu instid0(VALU_DEP_3) | instid1(SALU_CYCLE_1)
	v_mul_f64 v[34:35], v[32:33], s[0:1]
	s_delay_alu instid0(VALU_DEP_3) | instskip(NEXT) | instid1(VALU_DEP_3)
	v_add_f64 v[22:23], v[24:25], -v[28:29]
	v_fma_f64 v[20:21], v[30:31], v[18:19], -v[20:21]
	s_delay_alu instid0(VALU_DEP_3) | instskip(SKIP_2) | instid1(VALU_DEP_3)
	v_fma_f64 v[28:29], v[32:33], s[0:1], -v[34:35]
	s_mov_b32 s0, 0x757b0dd4
	s_mov_b32 s1, 0xbfd69a1b
	v_add_f64 v[22:23], v[26:27], -v[22:23]
	s_delay_alu instid0(VALU_DEP_3)
	v_add_f64 v[20:21], v[20:21], s[0:1]
	s_mov_b32 s0, 0x3b39803f
	s_mov_b32 s1, 0x3c7abc9e
	s_delay_alu instid0(VALU_DEP_3) | instid1(SALU_CYCLE_1)
	v_fma_f64 v[26:27], v[32:33], s[0:1], v[28:29]
	s_mov_b32 s0, 0x361008ca
	s_mov_b32 s1, 0x3ff867a1
	s_delay_alu instid0(VALU_DEP_3) | instskip(NEXT) | instid1(VALU_DEP_3)
	v_add_f64 v[16:17], v[16:17], v[22:23]
	v_fma_f64 v[20:21], v[30:31], v[20:21], -v[18:19]
	s_delay_alu instid0(VALU_DEP_3) | instskip(NEXT) | instid1(VALU_DEP_3)
	v_add_f64 v[22:23], v[34:35], v[26:27]
	v_add_f64 v[28:29], v[24:25], v[16:17]
	s_delay_alu instid0(VALU_DEP_3) | instskip(SKIP_1) | instid1(VALU_DEP_4)
	v_add_f64 v[20:21], v[20:21], s[0:1]
	v_cmp_eq_f64_e64 s0, 0x7ff00000, v[5:6]
	v_add_f64 v[32:33], v[22:23], -v[34:35]
	s_delay_alu instid0(VALU_DEP_4) | instskip(SKIP_2) | instid1(VALU_DEP_4)
	v_add_f64 v[30:31], v[22:23], v[28:29]
	v_add_f64 v[24:25], v[28:29], -v[24:25]
	v_add_f64 v[18:19], v[20:21], -v[18:19]
	;; [unrolled: 1-line block ×3, first 2 shown]
	s_delay_alu instid0(VALU_DEP_4) | instskip(NEXT) | instid1(VALU_DEP_4)
	v_add_f64 v[20:21], v[30:31], -v[22:23]
	v_add_f64 v[16:17], v[16:17], -v[24:25]
	s_delay_alu instid0(VALU_DEP_4) | instskip(NEXT) | instid1(VALU_DEP_3)
	v_mul_f64 v[18:19], v[18:19], 0.5
	v_add_f64 v[34:35], v[30:31], -v[20:21]
	v_add_f64 v[20:21], v[28:29], -v[20:21]
	s_delay_alu instid0(VALU_DEP_4) | instskip(NEXT) | instid1(VALU_DEP_4)
	v_add_f64 v[28:29], v[26:27], v[16:17]
	v_div_scale_f64 v[36:37], null, v[10:11], v[10:11], v[18:19]
	s_delay_alu instid0(VALU_DEP_4) | instskip(NEXT) | instid1(VALU_DEP_3)
	v_add_f64 v[22:23], v[22:23], -v[34:35]
	v_add_f64 v[32:33], v[28:29], -v[26:27]
	s_delay_alu instid0(VALU_DEP_3) | instskip(NEXT) | instid1(VALU_DEP_2)
	v_rcp_f64_e32 v[24:25], v[36:37]
	v_add_f64 v[20:21], v[20:21], v[22:23]
	s_delay_alu instid0(VALU_DEP_2) | instskip(SKIP_3) | instid1(VALU_DEP_2)
	v_add_f64 v[16:17], v[16:17], -v[32:33]
	s_waitcnt_depctr 0xfff
	v_fma_f64 v[22:23], -v[36:37], v[24:25], 1.0
	v_add_f64 v[20:21], v[28:29], v[20:21]
	v_fma_f64 v[22:23], v[24:25], v[22:23], v[24:25]
	v_add_f64 v[24:25], v[28:29], -v[32:33]
	s_delay_alu instid0(VALU_DEP_3) | instskip(NEXT) | instid1(VALU_DEP_3)
	v_add_f64 v[28:29], v[30:31], v[20:21]
	v_fma_f64 v[34:35], -v[36:37], v[22:23], 1.0
	s_delay_alu instid0(VALU_DEP_3) | instskip(NEXT) | instid1(VALU_DEP_3)
	v_add_f64 v[24:25], v[26:27], -v[24:25]
	v_add_f64 v[26:27], v[28:29], -v[30:31]
	v_div_scale_f64 v[30:31], vcc_lo, v[18:19], v[10:11], v[18:19]
	s_delay_alu instid0(VALU_DEP_4) | instskip(NEXT) | instid1(VALU_DEP_4)
	v_fma_f64 v[22:23], v[22:23], v[34:35], v[22:23]
	v_add_f64 v[16:17], v[16:17], v[24:25]
	s_delay_alu instid0(VALU_DEP_4) | instskip(NEXT) | instid1(VALU_DEP_3)
	v_add_f64 v[20:21], v[20:21], -v[26:27]
	v_mul_f64 v[24:25], v[30:31], v[22:23]
	s_delay_alu instid0(VALU_DEP_2) | instskip(NEXT) | instid1(VALU_DEP_2)
	v_add_f64 v[16:17], v[16:17], v[20:21]
	v_fma_f64 v[20:21], -v[36:37], v[24:25], v[30:31]
	s_delay_alu instid0(VALU_DEP_2) | instskip(NEXT) | instid1(VALU_DEP_2)
	v_add_f64 v[16:17], v[28:29], v[16:17]
	v_div_fmas_f64 v[20:21], v[20:21], v[22:23], v[24:25]
	v_cmp_neq_f64_e32 vcc_lo, 0, v[5:6]
	s_delay_alu instid0(VALU_DEP_3) | instskip(NEXT) | instid1(VALU_DEP_4)
	v_cndmask_b32_e64 v16, v16, v5, s0
	v_cndmask_b32_e64 v17, v17, v6, s0
	s_delay_alu instid0(VALU_DEP_4) | instskip(NEXT) | instid1(VALU_DEP_2)
	v_div_fixup_f64 v[5:6], v[20:21], v[10:11], v[18:19]
	v_cndmask_b32_e32 v11, 0xfff00000, v17, vcc_lo
	s_delay_alu instid0(VALU_DEP_4) | instskip(NEXT) | instid1(VALU_DEP_1)
	v_cndmask_b32_e32 v10, 0, v16, vcc_lo
	v_fma_f64 v[5:6], v[10:11], v[14:15], v[5:6]
                                        ; implicit-def: $vgpr10_vgpr11
	s_delay_alu instid0(VALU_DEP_1)
	v_mul_f64 v[5:6], v[12:13], v[5:6]
.LBB7_88:
	s_and_not1_saveexec_b32 s0, s8
	s_cbranch_execz .LBB7_90
; %bb.89:
	v_div_scale_f64 v[5:6], null, v[10:11], v[10:11], 0x40200000
	v_div_scale_f64 v[16:17], vcc_lo, 0x40200000, v[10:11], 0x40200000
	s_mov_b32 s8, 0x838f5ed3
	s_mov_b32 s9, 0x3c74af1a
	;; [unrolled: 1-line block ×4, first 2 shown]
	s_delay_alu instid0(VALU_DEP_2) | instskip(SKIP_2) | instid1(VALU_DEP_1)
	v_rcp_f64_e32 v[12:13], v[5:6]
	s_waitcnt_depctr 0xfff
	v_fma_f64 v[14:15], -v[5:6], v[12:13], 1.0
	v_fma_f64 v[12:13], v[12:13], v[14:15], v[12:13]
	s_delay_alu instid0(VALU_DEP_1) | instskip(NEXT) | instid1(VALU_DEP_1)
	v_fma_f64 v[14:15], -v[5:6], v[12:13], 1.0
	v_fma_f64 v[12:13], v[12:13], v[14:15], v[12:13]
	s_delay_alu instid0(VALU_DEP_1) | instskip(NEXT) | instid1(VALU_DEP_1)
	v_mul_f64 v[14:15], v[16:17], v[12:13]
	v_fma_f64 v[5:6], -v[5:6], v[14:15], v[16:17]
	s_delay_alu instid0(VALU_DEP_1) | instskip(SKIP_1) | instid1(VALU_DEP_2)
	v_div_fmas_f64 v[5:6], v[5:6], v[12:13], v[14:15]
	v_cmp_gt_f64_e32 vcc_lo, 0x10000000, v[10:11]
	v_div_fixup_f64 v[5:6], v[5:6], v[10:11], 0x40200000
	v_cndmask_b32_e64 v16, 0, 1, vcc_lo
	s_delay_alu instid0(VALU_DEP_1) | instskip(NEXT) | instid1(VALU_DEP_1)
	v_lshlrev_b32_e32 v16, 8, v16
	v_ldexp_f64 v[10:11], v[10:11], v16
	s_delay_alu instid0(VALU_DEP_4) | instskip(NEXT) | instid1(VALU_DEP_2)
	v_add_f64 v[5:6], v[5:6], -2.0
	v_rsq_f64_e32 v[16:17], v[10:11]
	s_delay_alu instid0(VALU_DEP_1)
	v_fma_f64 v[12:13], v[5:6], s[10:11], s[8:9]
	s_mov_b32 s11, 0x3c5a8c5d
	s_mov_b32 s8, 0x17771d52
	;; [unrolled: 1-line block ×3, first 2 shown]
	s_waitcnt_depctr 0xfff
	v_mul_f64 v[18:19], v[10:11], v[16:17]
	v_mul_f64 v[16:17], v[16:17], 0.5
	v_fma_f64 v[14:15], v[5:6], v[12:13], s[10:11]
	s_delay_alu instid0(VALU_DEP_2) | instskip(NEXT) | instid1(VALU_DEP_2)
	v_fma_f64 v[20:21], -v[16:17], v[18:19], 0.5
	v_add_f64 v[14:15], v[14:15], s[8:9]
	s_mov_b32 s8, 0x44ee2c0b
	s_mov_b32 s9, 0x3caa7d5e
	s_delay_alu instid0(VALU_DEP_2) | instskip(SKIP_1) | instid1(VALU_DEP_3)
	v_fma_f64 v[18:19], v[18:19], v[20:21], v[18:19]
	v_fma_f64 v[16:17], v[16:17], v[20:21], v[16:17]
	v_fma_f64 v[12:13], v[5:6], v[14:15], -v[12:13]
	s_delay_alu instid0(VALU_DEP_3) | instskip(NEXT) | instid1(VALU_DEP_2)
	v_fma_f64 v[20:21], -v[18:19], v[18:19], v[10:11]
	v_add_f64 v[12:13], v[12:13], s[8:9]
	s_mov_b32 s8, 0xd8758ef2
	s_mov_b32 s9, 0xbcc5d2a3
	s_delay_alu instid0(VALU_DEP_2) | instskip(NEXT) | instid1(VALU_DEP_2)
	v_fma_f64 v[18:19], v[20:21], v[16:17], v[18:19]
	v_fma_f64 v[14:15], v[5:6], v[12:13], -v[14:15]
	s_delay_alu instid0(VALU_DEP_1) | instskip(SKIP_2) | instid1(VALU_DEP_1)
	v_add_f64 v[14:15], v[14:15], s[8:9]
	s_mov_b32 s8, 0xefee81bd
	s_mov_b32 s9, 0x3ce25ced
	v_fma_f64 v[12:13], v[5:6], v[14:15], -v[12:13]
	s_delay_alu instid0(VALU_DEP_1) | instskip(SKIP_2) | instid1(VALU_DEP_1)
	v_add_f64 v[12:13], v[12:13], s[8:9]
	s_mov_b32 s8, 0x364185ab
	s_mov_b32 s9, 0xbcff9d52
	;; [unrolled: 5-line block ×20, first 2 shown]
	v_fma_f64 v[5:6], v[5:6], v[12:13], -v[14:15]
	v_fma_f64 v[12:13], -v[18:19], v[18:19], v[10:11]
	s_delay_alu instid0(VALU_DEP_2) | instskip(NEXT) | instid1(VALU_DEP_2)
	v_add_f64 v[5:6], v[5:6], s[8:9]
	v_fma_f64 v[12:13], v[12:13], v[16:17], v[18:19]
	s_delay_alu instid0(VALU_DEP_2) | instskip(SKIP_2) | instid1(VALU_DEP_2)
	v_add_f64 v[5:6], v[5:6], -v[14:15]
	v_cndmask_b32_e64 v14, 0, 0xffffff80, vcc_lo
	v_cmp_class_f64_e64 vcc_lo, v[10:11], 0x260
	v_ldexp_f64 v[12:13], v[12:13], v14
	s_delay_alu instid0(VALU_DEP_4) | instskip(NEXT) | instid1(VALU_DEP_2)
	v_mul_f64 v[5:6], v[5:6], 0.5
	v_dual_cndmask_b32 v11, v13, v11 :: v_dual_cndmask_b32 v10, v12, v10
	s_delay_alu instid0(VALU_DEP_1) | instskip(NEXT) | instid1(VALU_DEP_1)
	v_div_scale_f64 v[12:13], null, v[10:11], v[10:11], v[5:6]
	v_rcp_f64_e32 v[14:15], v[12:13]
	s_waitcnt_depctr 0xfff
	v_fma_f64 v[16:17], -v[12:13], v[14:15], 1.0
	s_delay_alu instid0(VALU_DEP_1) | instskip(NEXT) | instid1(VALU_DEP_1)
	v_fma_f64 v[14:15], v[14:15], v[16:17], v[14:15]
	v_fma_f64 v[16:17], -v[12:13], v[14:15], 1.0
	s_delay_alu instid0(VALU_DEP_1) | instskip(SKIP_1) | instid1(VALU_DEP_1)
	v_fma_f64 v[14:15], v[14:15], v[16:17], v[14:15]
	v_div_scale_f64 v[16:17], vcc_lo, v[5:6], v[10:11], v[5:6]
	v_mul_f64 v[18:19], v[16:17], v[14:15]
	s_delay_alu instid0(VALU_DEP_1) | instskip(NEXT) | instid1(VALU_DEP_1)
	v_fma_f64 v[12:13], -v[12:13], v[18:19], v[16:17]
	v_div_fmas_f64 v[12:13], v[12:13], v[14:15], v[18:19]
	s_delay_alu instid0(VALU_DEP_1)
	v_div_fixup_f64 v[5:6], v[12:13], v[10:11], v[5:6]
.LBB7_90:
	s_or_b32 exec_lo, exec_lo, s0
.LBB7_91:
	s_delay_alu instid0(SALU_CYCLE_1)
	s_or_b32 exec_lo, exec_lo, s3
.LBB7_92:
	s_delay_alu instid0(SALU_CYCLE_1) | instskip(SKIP_4) | instid1(VALU_DEP_1)
	s_or_b32 exec_lo, exec_lo, s2
	global_load_b64 v[13:14], v9, s[6:7]
	v_mov_b32_e32 v9, 0
	v_mov_b32_e32 v10, 0x7ff00000
	s_mov_b32 s2, exec_lo
	v_dual_mov_b32 v12, v10 :: v_dual_mov_b32 v11, v9
	s_waitcnt vmcnt(0)
	v_cmpx_neq_f64_e32 0, v[13:14]
	s_cbranch_execz .LBB7_104
; %bb.93:
	v_mov_b32_e32 v11, 0
	v_mov_b32_e32 v12, 0x7ff80000
	s_mov_b32 s3, exec_lo
	v_cmpx_ngt_f64_e32 0, v[13:14]
	s_cbranch_execz .LBB7_103
; %bb.94:
                                        ; implicit-def: $vgpr11_vgpr12
	s_mov_b32 s0, exec_lo
	v_cmpx_ge_f64_e32 2.0, v[13:14]
	s_xor_b32 s8, exec_lo, s0
	s_cbranch_execz .LBB7_100
; %bb.95:
	v_mul_f64 v[11:12], v[13:14], 0.5
	s_mov_b32 s0, exec_lo
                                        ; implicit-def: $vgpr17_vgpr18
                                        ; implicit-def: $vgpr15_vgpr16
	v_cmpx_ge_f64_e32 0x40200000, v[13:14]
	s_xor_b32 s0, exec_lo, s0
	s_cbranch_execz .LBB7_97
; %bb.96:
	s_delay_alu instid0(VALU_DEP_2)
	v_add_f64 v[15:16], v[11:12], -2.0
	s_mov_b32 s10, 0xc38a0576
	s_mov_b32 s11, 0xbc7857d0
	;; [unrolled: 1-line block ×4, first 2 shown]
	v_cmp_nlt_f64_e32 vcc_lo, 0x40900000, v[13:14]
	s_delay_alu instid0(VALU_DEP_2) | instskip(SKIP_3) | instid1(VALU_DEP_1)
	v_fma_f64 v[17:18], v[15:16], s[12:13], s[10:11]
	s_mov_b32 s13, 0xbc499f2a
	s_mov_b32 s10, 0xe593bfac
	;; [unrolled: 1-line block ×3, first 2 shown]
	v_fma_f64 v[19:20], v[15:16], v[17:18], s[12:13]
	s_mov_b32 s12, 0x6a5dcb37
	s_mov_b32 s13, 0x3e5ade15
	s_delay_alu instid0(VALU_DEP_1) | instskip(SKIP_2) | instid1(VALU_DEP_1)
	v_add_f64 v[19:20], v[19:20], s[10:11]
	s_mov_b32 s10, 0x7e0d1573
	s_mov_b32 s11, 0xbcd3eaaa
	v_fma_f64 v[17:18], v[15:16], v[19:20], -v[17:18]
	s_delay_alu instid0(VALU_DEP_1) | instskip(SKIP_2) | instid1(VALU_DEP_1)
	v_add_f64 v[17:18], v[17:18], s[10:11]
	s_mov_b32 s10, 0x615290c
	s_mov_b32 s11, 0x3d011d7f
	v_fma_f64 v[19:20], v[15:16], v[17:18], -v[19:20]
	;; [unrolled: 5-line block ×19, first 2 shown]
	s_delay_alu instid0(VALU_DEP_1) | instskip(SKIP_2) | instid1(SALU_CYCLE_1)
	v_add_f64 v[17:18], v[17:18], s[10:11]
	s_mov_b32 s10, 0x652b82fe
	s_mov_b32 s11, 0x3ff71547
	v_mul_f64 v[21:22], v[13:14], s[10:11]
	s_mov_b32 s10, 0x49d3a1b4
	s_mov_b32 s11, 0x3f710653
	s_delay_alu instid0(VALU_DEP_2) | instskip(NEXT) | instid1(VALU_DEP_2)
	v_fma_f64 v[19:20], v[15:16], v[17:18], -v[19:20]
	v_rndne_f64_e32 v[21:22], v[21:22]
	s_delay_alu instid0(VALU_DEP_2)
	v_add_f64 v[19:20], v[19:20], s[10:11]
	s_mov_b32 s10, 0xfefa39ef
	s_mov_b32 s11, 0xbfe62e42
	s_delay_alu instid0(VALU_DEP_2) | instid1(SALU_CYCLE_1)
	v_fma_f64 v[23:24], v[21:22], s[10:11], v[13:14]
	s_mov_b32 s10, 0x7913a26a
	s_mov_b32 s11, 0xbf85a29f
	s_delay_alu instid0(VALU_DEP_2) | instskip(NEXT) | instid1(VALU_DEP_1)
	v_fma_f64 v[17:18], v[15:16], v[19:20], -v[17:18]
	v_add_f64 v[17:18], v[17:18], s[10:11]
	s_mov_b32 s10, 0x3b39803f
	s_mov_b32 s11, 0xbc7abc9e
	s_delay_alu instid0(VALU_DEP_3) | instid1(SALU_CYCLE_1)
	v_fma_f64 v[23:24], v[21:22], s[10:11], v[23:24]
	s_mov_b32 s10, 0xfca7ab0c
	s_mov_b32 s11, 0x3e928af3
	s_delay_alu instid0(VALU_DEP_2) | instskip(NEXT) | instid1(VALU_DEP_2)
	v_fma_f64 v[19:20], v[15:16], v[17:18], -v[19:20]
	v_fma_f64 v[25:26], v[23:24], s[12:13], s[10:11]
	s_mov_b32 s10, 0xe7bb2349
	s_mov_b32 s11, 0x3f9951e3
	s_delay_alu instid0(VALU_DEP_2) | instid1(SALU_CYCLE_1)
	v_add_f64 v[19:20], v[19:20], s[10:11]
	s_mov_b32 s10, 0x623fde64
	s_mov_b32 s11, 0x3ec71dee
	s_delay_alu instid0(VALU_DEP_2) | instid1(SALU_CYCLE_1)
	v_fma_f64 v[25:26], v[23:24], v[25:26], s[10:11]
	s_mov_b32 s10, 0x7c89e6b0
	s_mov_b32 s11, 0x3efa0199
	s_delay_alu instid0(VALU_DEP_2) | instskip(NEXT) | instid1(VALU_DEP_2)
	v_fma_f64 v[17:18], v[15:16], v[19:20], -v[17:18]
	v_fma_f64 v[25:26], v[23:24], v[25:26], s[10:11]
	s_mov_b32 s10, 0x537c9ebc
	s_mov_b32 s11, 0xbfab1bbc
	s_delay_alu instid0(VALU_DEP_2) | instid1(SALU_CYCLE_1)
	v_add_f64 v[17:18], v[17:18], s[10:11]
	s_mov_b32 s10, 0x14761f6e
	s_mov_b32 s11, 0x3f2a01a0
	s_delay_alu instid0(VALU_DEP_2) | instid1(SALU_CYCLE_1)
	;; [unrolled: 13-line block ×4, first 2 shown]
	v_fma_f64 v[25:26], v[23:24], v[25:26], s[10:11]
	s_mov_b32 s10, 11
	s_mov_b32 s11, 0x3fe00000
	s_delay_alu instid0(VALU_DEP_2) | instskip(NEXT) | instid1(VALU_DEP_2)
	v_fma_f64 v[15:16], v[15:16], v[17:18], -v[19:20]
	v_fma_f64 v[17:18], v[23:24], v[25:26], s[10:11]
	s_mov_b32 s10, 0x724a7ffa
	s_mov_b32 s11, 0x3fd02a63
	s_delay_alu instid0(VALU_DEP_2) | instid1(SALU_CYCLE_1)
	v_add_f64 v[15:16], v[15:16], s[10:11]
	s_delay_alu instid0(VALU_DEP_2) | instskip(NEXT) | instid1(VALU_DEP_2)
	v_fma_f64 v[17:18], v[23:24], v[17:18], 1.0
	v_add_f64 v[15:16], v[15:16], -v[19:20]
	v_cvt_i32_f64_e32 v19, v[21:22]
	s_delay_alu instid0(VALU_DEP_3) | instskip(NEXT) | instid1(VALU_DEP_3)
	v_fma_f64 v[17:18], v[23:24], v[17:18], 1.0
	v_mul_f64 v[15:16], v[15:16], 0.5
	s_delay_alu instid0(VALU_DEP_2) | instskip(NEXT) | instid1(VALU_DEP_2)
	v_ldexp_f64 v[17:18], v[17:18], v19
	v_mul_f64 v[19:20], v[13:14], v[15:16]
	s_delay_alu instid0(VALU_DEP_2) | instskip(NEXT) | instid1(VALU_DEP_3)
	v_cndmask_b32_e32 v16, 0x7ff00000, v18, vcc_lo
	v_cndmask_b32_e32 v15, 0, v17, vcc_lo
	s_delay_alu instid0(VALU_DEP_1)
	v_mul_f64 v[17:18], v[15:16], v[19:20]
.LBB7_97:
	s_and_not1_saveexec_b32 s1, s0
	s_cbranch_execz .LBB7_99
; %bb.98:
	v_div_scale_f64 v[15:16], null, v[13:14], v[13:14], 0x40400000
	v_div_scale_f64 v[21:22], vcc_lo, 0x40400000, v[13:14], 0x40400000
	s_mov_b32 s10, 0xea87b950
	s_mov_b32 s11, 0x3c545b8a
	;; [unrolled: 1-line block ×4, first 2 shown]
	v_cmp_nlt_f64_e64 s0, 0x40900000, v[13:14]
	s_delay_alu instid0(VALU_DEP_3) | instskip(SKIP_2) | instid1(VALU_DEP_1)
	v_rcp_f64_e32 v[17:18], v[15:16]
	s_waitcnt_depctr 0xfff
	v_fma_f64 v[19:20], -v[15:16], v[17:18], 1.0
	v_fma_f64 v[17:18], v[17:18], v[19:20], v[17:18]
	s_delay_alu instid0(VALU_DEP_1) | instskip(NEXT) | instid1(VALU_DEP_1)
	v_fma_f64 v[19:20], -v[15:16], v[17:18], 1.0
	v_fma_f64 v[17:18], v[17:18], v[19:20], v[17:18]
	s_delay_alu instid0(VALU_DEP_1) | instskip(NEXT) | instid1(VALU_DEP_1)
	v_mul_f64 v[19:20], v[21:22], v[17:18]
	v_fma_f64 v[15:16], -v[15:16], v[19:20], v[21:22]
	s_delay_alu instid0(VALU_DEP_1) | instskip(SKIP_1) | instid1(VALU_DEP_2)
	v_div_fmas_f64 v[15:16], v[15:16], v[17:18], v[19:20]
	v_cmp_gt_f64_e32 vcc_lo, 0x10000000, v[13:14]
	v_div_fixup_f64 v[15:16], v[15:16], v[13:14], 0x40400000
	v_cndmask_b32_e64 v27, 0, 1, vcc_lo
	s_delay_alu instid0(VALU_DEP_1) | instskip(NEXT) | instid1(VALU_DEP_1)
	v_lshlrev_b32_e32 v27, 8, v27
	v_ldexp_f64 v[27:28], v[13:14], v27
	s_delay_alu instid0(VALU_DEP_4) | instskip(NEXT) | instid1(VALU_DEP_2)
	v_add_f64 v[15:16], v[15:16], -2.0
	v_rsq_f64_e32 v[29:30], v[27:28]
	s_delay_alu instid0(VALU_DEP_1)
	v_fma_f64 v[17:18], v[15:16], s[12:13], s[10:11]
	s_mov_b32 s13, 0xbc61556d
	s_mov_b32 s10, 0xb2532277
	;; [unrolled: 1-line block ×3, first 2 shown]
	s_waitcnt_depctr 0xfff
	v_mul_f64 v[31:32], v[27:28], v[29:30]
	v_mul_f64 v[29:30], v[29:30], 0.5
	v_fma_f64 v[19:20], v[15:16], v[17:18], s[12:13]
	s_mov_b32 s12, 0x6a5dcb37
	s_mov_b32 s13, 0x3e5ade15
	s_delay_alu instid0(VALU_DEP_2) | instskip(NEXT) | instid1(VALU_DEP_2)
	v_fma_f64 v[33:34], -v[29:30], v[31:32], 0.5
	v_add_f64 v[19:20], v[19:20], s[10:11]
	s_mov_b32 s10, 0x9c773320
	s_mov_b32 s11, 0xbc82806c
	s_delay_alu instid0(VALU_DEP_2) | instskip(SKIP_1) | instid1(VALU_DEP_3)
	v_fma_f64 v[31:32], v[31:32], v[33:34], v[31:32]
	v_fma_f64 v[29:30], v[29:30], v[33:34], v[29:30]
	v_fma_f64 v[17:18], v[15:16], v[19:20], -v[17:18]
	s_delay_alu instid0(VALU_DEP_3) | instskip(NEXT) | instid1(VALU_DEP_2)
	v_fma_f64 v[33:34], -v[31:32], v[31:32], v[27:28]
	v_add_f64 v[17:18], v[17:18], s[10:11]
	s_mov_b32 s10, 0xfceb588a
	s_mov_b32 s11, 0x3cb55915
	s_delay_alu instid0(VALU_DEP_1) | instskip(NEXT) | instid1(VALU_DEP_1)
	v_fma_f64 v[19:20], v[15:16], v[17:18], -v[19:20]
	v_add_f64 v[19:20], v[19:20], s[10:11]
	s_mov_b32 s10, 0x5f04a2d1
	s_mov_b32 s11, 0x3cb7d68e
	s_delay_alu instid0(VALU_DEP_1) | instskip(NEXT) | instid1(VALU_DEP_1)
	v_fma_f64 v[17:18], v[15:16], v[19:20], -v[17:18]
	;; [unrolled: 5-line block ×14, first 2 shown]
	v_add_f64 v[17:18], v[17:18], s[10:11]
	s_mov_b32 s10, 0x652b82fe
	s_mov_b32 s11, 0x3ff71547
	s_delay_alu instid0(SALU_CYCLE_1) | instskip(SKIP_2) | instid1(VALU_DEP_2)
	v_mul_f64 v[21:22], v[13:14], s[10:11]
	s_mov_b32 s10, 0x9ad53528
	s_mov_b32 s11, 0xbe30790b
	v_fma_f64 v[19:20], v[15:16], v[17:18], -v[19:20]
	s_delay_alu instid0(VALU_DEP_2) | instskip(NEXT) | instid1(VALU_DEP_2)
	v_rndne_f64_e32 v[21:22], v[21:22]
	v_add_f64 v[19:20], v[19:20], s[10:11]
	s_mov_b32 s10, 0xfefa39ef
	s_mov_b32 s11, 0xbfe62e42
	s_delay_alu instid0(VALU_DEP_2) | instid1(SALU_CYCLE_1)
	v_fma_f64 v[23:24], v[21:22], s[10:11], v[13:14]
	s_mov_b32 s10, 0x3b39803f
	s_mov_b32 s11, 0xbc7abc9e
	s_delay_alu instid0(VALU_DEP_2) | instskip(NEXT) | instid1(VALU_DEP_2)
	v_fma_f64 v[17:18], v[15:16], v[19:20], -v[17:18]
	v_fma_f64 v[23:24], v[21:22], s[10:11], v[23:24]
	s_mov_b32 s10, 0x94bb46c1
	s_mov_b32 s11, 0xbe5c4153
	s_delay_alu instid0(VALU_DEP_2) | instid1(SALU_CYCLE_1)
	v_add_f64 v[17:18], v[17:18], s[10:11]
	s_mov_b32 s10, 0xfca7ab0c
	s_mov_b32 s11, 0x3e928af3
	s_delay_alu instid0(VALU_DEP_2) | instid1(SALU_CYCLE_1)
	v_fma_f64 v[25:26], v[23:24], s[12:13], s[10:11]
	s_mov_b32 s10, 0x623fde64
	s_mov_b32 s11, 0x3ec71dee
	s_delay_alu instid0(VALU_DEP_2) | instskip(NEXT) | instid1(VALU_DEP_2)
	v_fma_f64 v[19:20], v[15:16], v[17:18], -v[19:20]
	v_fma_f64 v[25:26], v[23:24], v[25:26], s[10:11]
	s_mov_b32 s10, 0x2e9e5443
	s_mov_b32 s11, 0xbe90dbfd
	s_delay_alu instid0(VALU_DEP_2) | instid1(SALU_CYCLE_1)
	;; [unrolled: 13-line block ×5, first 2 shown]
	v_add_f64 v[17:18], v[17:18], s[10:11]
	s_mov_b32 s10, 11
	s_mov_b32 s11, 0x3fe00000
	s_delay_alu instid0(VALU_DEP_2) | instid1(SALU_CYCLE_1)
	v_fma_f64 v[25:26], v[23:24], v[25:26], s[10:11]
	s_mov_b32 s10, 0xb55b1514
	s_mov_b32 s11, 0x3fe8ea18
	s_delay_alu instid0(VALU_DEP_2) | instskip(SKIP_2) | instid1(VALU_DEP_4)
	v_fma_f64 v[15:16], v[15:16], v[17:18], -v[19:20]
	v_fma_f64 v[17:18], v[33:34], v[29:30], v[31:32]
	v_cvt_i32_f64_e32 v31, v[21:22]
	v_fma_f64 v[25:26], v[23:24], v[25:26], 1.0
	s_delay_alu instid0(VALU_DEP_4) | instskip(NEXT) | instid1(VALU_DEP_4)
	v_add_f64 v[15:16], v[15:16], s[10:11]
	v_fma_f64 v[21:22], -v[17:18], v[17:18], v[27:28]
	s_delay_alu instid0(VALU_DEP_3) | instskip(NEXT) | instid1(VALU_DEP_3)
	v_fma_f64 v[23:24], v[23:24], v[25:26], 1.0
	v_add_f64 v[15:16], v[15:16], -v[19:20]
	s_delay_alu instid0(VALU_DEP_3) | instskip(NEXT) | instid1(VALU_DEP_3)
	v_fma_f64 v[17:18], v[21:22], v[29:30], v[17:18]
	v_ldexp_f64 v[19:20], v[23:24], v31
	s_delay_alu instid0(VALU_DEP_3) | instskip(SKIP_2) | instid1(VALU_DEP_4)
	v_mul_f64 v[21:22], v[15:16], 0.5
	v_cndmask_b32_e64 v15, 0, 0xffffff80, vcc_lo
	v_cmp_class_f64_e64 vcc_lo, v[27:28], 0x260
	v_cndmask_b32_e64 v16, 0x7ff00000, v20, s0
	s_delay_alu instid0(VALU_DEP_3) | instskip(SKIP_1) | instid1(VALU_DEP_1)
	v_ldexp_f64 v[17:18], v[17:18], v15
	v_cndmask_b32_e64 v15, 0, v19, s0
	v_mul_f64 v[19:20], v[15:16], v[21:22]
	s_delay_alu instid0(VALU_DEP_3) | instskip(NEXT) | instid1(VALU_DEP_1)
	v_dual_cndmask_b32 v18, v18, v28 :: v_dual_cndmask_b32 v17, v17, v27
	v_div_scale_f64 v[21:22], null, v[17:18], v[17:18], v[19:20]
	s_delay_alu instid0(VALU_DEP_1) | instskip(SKIP_2) | instid1(VALU_DEP_1)
	v_rcp_f64_e32 v[23:24], v[21:22]
	s_waitcnt_depctr 0xfff
	v_fma_f64 v[25:26], -v[21:22], v[23:24], 1.0
	v_fma_f64 v[23:24], v[23:24], v[25:26], v[23:24]
	s_delay_alu instid0(VALU_DEP_1) | instskip(NEXT) | instid1(VALU_DEP_1)
	v_fma_f64 v[25:26], -v[21:22], v[23:24], 1.0
	v_fma_f64 v[23:24], v[23:24], v[25:26], v[23:24]
	v_div_scale_f64 v[25:26], vcc_lo, v[19:20], v[17:18], v[19:20]
	s_delay_alu instid0(VALU_DEP_1) | instskip(NEXT) | instid1(VALU_DEP_1)
	v_mul_f64 v[27:28], v[25:26], v[23:24]
	v_fma_f64 v[21:22], -v[21:22], v[27:28], v[25:26]
	s_delay_alu instid0(VALU_DEP_1) | instskip(NEXT) | instid1(VALU_DEP_1)
	v_div_fmas_f64 v[21:22], v[21:22], v[23:24], v[27:28]
	v_div_fixup_f64 v[17:18], v[21:22], v[17:18], v[19:20]
.LBB7_99:
	s_or_b32 exec_lo, exec_lo, s1
	s_delay_alu instid0(VALU_DEP_2)
	v_frexp_mant_f64_e32 v[19:20], v[11:12]
	s_mov_b32 s1, 0x3fe55555
	s_mov_b32 s0, 0x55555555
	v_mov_b32_e32 v21, 0
	v_fma_f64 v[33:34], v[13:14], v[13:14], -2.0
	s_mov_b32 s10, 0x7a0399e0
	s_mov_b32 s11, 0xbce5dd51
	;; [unrolled: 1-line block ×4, first 2 shown]
	v_frexp_exp_i32_f64_e32 v37, v[11:12]
	s_delay_alu instid0(VALU_DEP_4) | instskip(SKIP_1) | instid1(VALU_DEP_3)
	v_cmp_gt_f64_e32 vcc_lo, s[0:1], v[19:20]
	s_mov_b32 s0, 0x55555780
	v_fma_f64 v[35:36], v[33:34], s[12:13], s[10:11]
	s_mov_b32 s13, 0x3c603228
	s_mov_b32 s10, 0xddd0e045
	;; [unrolled: 1-line block ×3, first 2 shown]
	v_cndmask_b32_e64 v22, 0x3ff00000, 2.0, vcc_lo
	s_delay_alu instid0(VALU_DEP_1) | instskip(NEXT) | instid1(VALU_DEP_1)
	v_mul_f64 v[19:20], v[19:20], v[21:22]
	v_add_f64 v[21:22], v[19:20], 1.0
	v_add_f64 v[27:28], v[19:20], -1.0
	s_delay_alu instid0(VALU_DEP_2) | instskip(SKIP_1) | instid1(VALU_DEP_1)
	v_rcp_f64_e32 v[23:24], v[21:22]
	v_add_f64 v[29:30], v[21:22], -1.0
	v_add_f64 v[19:20], v[19:20], -v[29:30]
	s_waitcnt_depctr 0xfff
	v_fma_f64 v[25:26], -v[21:22], v[23:24], 1.0
	s_delay_alu instid0(VALU_DEP_1) | instskip(NEXT) | instid1(VALU_DEP_1)
	v_fma_f64 v[23:24], v[25:26], v[23:24], v[23:24]
	v_fma_f64 v[25:26], -v[21:22], v[23:24], 1.0
	s_delay_alu instid0(VALU_DEP_1) | instskip(NEXT) | instid1(VALU_DEP_1)
	v_fma_f64 v[23:24], v[25:26], v[23:24], v[23:24]
	v_mul_f64 v[25:26], v[27:28], v[23:24]
	s_delay_alu instid0(VALU_DEP_1) | instskip(NEXT) | instid1(VALU_DEP_1)
	v_mul_f64 v[31:32], v[21:22], v[25:26]
	v_fma_f64 v[21:22], v[25:26], v[21:22], -v[31:32]
	s_delay_alu instid0(VALU_DEP_1) | instskip(NEXT) | instid1(VALU_DEP_1)
	v_fma_f64 v[19:20], v[25:26], v[19:20], v[21:22]
	v_add_f64 v[21:22], v[31:32], v[19:20]
	s_delay_alu instid0(VALU_DEP_1) | instskip(SKIP_1) | instid1(VALU_DEP_2)
	v_add_f64 v[29:30], v[27:28], -v[21:22]
	v_add_f64 v[31:32], v[21:22], -v[31:32]
	;; [unrolled: 1-line block ×3, first 2 shown]
	s_delay_alu instid0(VALU_DEP_2) | instskip(NEXT) | instid1(VALU_DEP_2)
	v_add_f64 v[19:20], v[31:32], -v[19:20]
	v_add_f64 v[21:22], v[27:28], -v[21:22]
	v_fma_f64 v[27:28], v[33:34], v[35:36], s[12:13]
	s_mov_b32 s12, 0xbf559e2b
	s_mov_b32 s13, 0x3fc3ab76
	s_delay_alu instid0(VALU_DEP_2) | instskip(NEXT) | instid1(VALU_DEP_2)
	v_add_f64 v[19:20], v[19:20], v[21:22]
	v_add_f64 v[21:22], v[27:28], s[10:11]
	s_mov_b32 s10, 0xb84626ca
	s_mov_b32 s11, 0xbde3663b
	s_delay_alu instid0(VALU_DEP_2) | instskip(NEXT) | instid1(VALU_DEP_2)
	v_add_f64 v[19:20], v[29:30], v[19:20]
	v_fma_f64 v[27:28], v[33:34], v[21:22], -v[35:36]
	s_delay_alu instid0(VALU_DEP_2) | instskip(NEXT) | instid1(VALU_DEP_2)
	v_mul_f64 v[19:20], v[23:24], v[19:20]
	v_add_f64 v[23:24], v[27:28], s[10:11]
	s_mov_b32 s10, 0x145c31d0
	s_mov_b32 s11, 0xbe57c41d
	s_delay_alu instid0(VALU_DEP_2) | instskip(NEXT) | instid1(VALU_DEP_2)
	v_add_f64 v[27:28], v[25:26], v[19:20]
	v_fma_f64 v[21:22], v[33:34], v[23:24], -v[21:22]
	s_delay_alu instid0(VALU_DEP_2) | instskip(NEXT) | instid1(VALU_DEP_2)
	v_mul_f64 v[29:30], v[27:28], v[27:28]
	v_add_f64 v[21:22], v[21:22], s[10:11]
	s_mov_b32 s10, 0x6b47b09a
	s_mov_b32 s11, 0x3fc38538
	v_add_f64 v[25:26], v[27:28], -v[25:26]
	s_delay_alu instid0(VALU_DEP_3) | instskip(NEXT) | instid1(VALU_DEP_3)
	v_fma_f64 v[31:32], v[29:30], s[12:13], s[10:11]
	v_fma_f64 v[23:24], v[33:34], v[21:22], -v[23:24]
	s_mov_b32 s10, 0xd7f4df2e
	s_mov_b32 s11, 0x3fc7474d
	v_mul_f64 v[35:36], v[27:28], v[29:30]
	s_delay_alu instid0(VALU_DEP_4) | instskip(NEXT) | instid1(VALU_DEP_4)
	v_add_f64 v[19:20], v[19:20], -v[25:26]
	v_fma_f64 v[31:32], v[29:30], v[31:32], s[10:11]
	s_mov_b32 s10, 0x2c832e3a
	s_mov_b32 s11, 0xbec469b3
	s_delay_alu instid0(VALU_DEP_4) | instid1(SALU_CYCLE_1)
	v_add_f64 v[23:24], v[23:24], s[10:11]
	s_mov_b32 s10, 0x16291751
	s_mov_b32 s11, 0x3fcc71c0
	s_delay_alu instid0(VALU_DEP_3) | instskip(NEXT) | instid1(VALU_DEP_3)
	v_ldexp_f64 v[19:20], v[19:20], 1
	v_fma_f64 v[31:32], v[29:30], v[31:32], s[10:11]
	s_mov_b32 s10, 0x9b27acf1
	s_mov_b32 s11, 0x3fd24924
	s_delay_alu instid0(VALU_DEP_3) | instskip(NEXT) | instid1(VALU_DEP_2)
	v_fma_f64 v[21:22], v[33:34], v[23:24], -v[21:22]
	v_fma_f64 v[31:32], v[29:30], v[31:32], s[10:11]
	s_mov_b32 s10, 0xe5a3bd02
	s_mov_b32 s11, 0xbf26ade2
	s_delay_alu instid0(VALU_DEP_2) | instid1(SALU_CYCLE_1)
	v_add_f64 v[21:22], v[21:22], s[10:11]
	s_mov_b32 s10, 0x998ef7b6
	s_mov_b32 s11, 0x3fd99999
	s_delay_alu instid0(VALU_DEP_2) | instid1(SALU_CYCLE_1)
	v_fma_f64 v[31:32], v[29:30], v[31:32], s[10:11]
	s_delay_alu instid0(VALU_DEP_2) | instskip(NEXT) | instid1(VALU_DEP_2)
	v_fma_f64 v[23:24], v[33:34], v[21:22], -v[23:24]
	v_fma_f64 v[29:30], v[29:30], v[31:32], s[0:1]
	s_mov_b32 s0, 0x9d7d4192
	s_mov_b32 s1, 0xbf7c9293
	v_ldexp_f64 v[31:32], v[27:28], 1
	s_delay_alu instid0(VALU_DEP_3) | instskip(SKIP_2) | instid1(VALU_DEP_3)
	v_add_f64 v[23:24], v[23:24], s[0:1]
	s_mov_b32 s0, 0x43c1db74
	s_mov_b32 s1, 0xbfbf6372
	v_mul_f64 v[29:30], v[35:36], v[29:30]
	v_subrev_co_ci_u32_e32 v35, vcc_lo, 0, v37, vcc_lo
	s_delay_alu instid0(VALU_DEP_3) | instskip(NEXT) | instid1(VALU_DEP_2)
	v_fma_f64 v[21:22], v[33:34], v[23:24], -v[21:22]
	v_cvt_f64_i32_e32 v[35:36], v35
	s_delay_alu instid0(VALU_DEP_4) | instskip(NEXT) | instid1(VALU_DEP_3)
	v_add_f64 v[27:28], v[31:32], v[29:30]
	v_add_f64 v[21:22], v[21:22], s[0:1]
	s_mov_b32 s0, 0xfefa39ef
	s_mov_b32 s1, 0x3fe62e42
	s_delay_alu instid0(VALU_DEP_3) | instid1(SALU_CYCLE_1)
	v_mul_f64 v[37:38], v[35:36], s[0:1]
	s_delay_alu instid0(VALU_DEP_3) | instskip(NEXT) | instid1(VALU_DEP_3)
	v_add_f64 v[25:26], v[27:28], -v[31:32]
	v_fma_f64 v[23:24], v[33:34], v[21:22], -v[23:24]
	s_delay_alu instid0(VALU_DEP_3) | instskip(SKIP_2) | instid1(VALU_DEP_3)
	v_fma_f64 v[31:32], v[35:36], s[0:1], -v[37:38]
	s_mov_b32 s0, 0x757b0dd4
	s_mov_b32 s1, 0xbfd69a1b
	v_add_f64 v[25:26], v[29:30], -v[25:26]
	s_delay_alu instid0(VALU_DEP_3)
	v_add_f64 v[23:24], v[23:24], s[0:1]
	s_mov_b32 s0, 0x3b39803f
	s_mov_b32 s1, 0x3c7abc9e
	s_delay_alu instid0(VALU_DEP_3) | instid1(SALU_CYCLE_1)
	v_fma_f64 v[29:30], v[35:36], s[0:1], v[31:32]
	s_mov_b32 s0, 0x361008ca
	s_mov_b32 s1, 0x3ff867a1
	s_delay_alu instid0(VALU_DEP_3) | instskip(NEXT) | instid1(VALU_DEP_3)
	v_add_f64 v[19:20], v[19:20], v[25:26]
	v_fma_f64 v[23:24], v[33:34], v[23:24], -v[21:22]
	s_delay_alu instid0(VALU_DEP_3) | instskip(NEXT) | instid1(VALU_DEP_3)
	v_add_f64 v[25:26], v[37:38], v[29:30]
	v_add_f64 v[31:32], v[27:28], v[19:20]
	s_delay_alu instid0(VALU_DEP_3) | instskip(SKIP_1) | instid1(VALU_DEP_4)
	v_add_f64 v[23:24], v[23:24], s[0:1]
	v_cmp_eq_f64_e64 s0, 0x7ff00000, v[11:12]
	v_add_f64 v[35:36], v[25:26], -v[37:38]
	s_delay_alu instid0(VALU_DEP_4) | instskip(SKIP_2) | instid1(VALU_DEP_4)
	v_add_f64 v[33:34], v[25:26], v[31:32]
	v_add_f64 v[27:28], v[31:32], -v[27:28]
	v_add_f64 v[21:22], v[23:24], -v[21:22]
	;; [unrolled: 1-line block ×3, first 2 shown]
	s_delay_alu instid0(VALU_DEP_4) | instskip(NEXT) | instid1(VALU_DEP_4)
	v_add_f64 v[23:24], v[33:34], -v[25:26]
	v_add_f64 v[19:20], v[19:20], -v[27:28]
	s_delay_alu instid0(VALU_DEP_4) | instskip(NEXT) | instid1(VALU_DEP_3)
	v_mul_f64 v[21:22], v[21:22], 0.5
	v_add_f64 v[37:38], v[33:34], -v[23:24]
	v_add_f64 v[23:24], v[31:32], -v[23:24]
	s_delay_alu instid0(VALU_DEP_4) | instskip(NEXT) | instid1(VALU_DEP_4)
	v_add_f64 v[31:32], v[29:30], v[19:20]
	v_div_scale_f64 v[39:40], null, v[13:14], v[13:14], v[21:22]
	s_delay_alu instid0(VALU_DEP_4) | instskip(NEXT) | instid1(VALU_DEP_3)
	v_add_f64 v[25:26], v[25:26], -v[37:38]
	v_add_f64 v[35:36], v[31:32], -v[29:30]
	s_delay_alu instid0(VALU_DEP_3) | instskip(NEXT) | instid1(VALU_DEP_2)
	v_rcp_f64_e32 v[27:28], v[39:40]
	v_add_f64 v[23:24], v[23:24], v[25:26]
	s_delay_alu instid0(VALU_DEP_2) | instskip(SKIP_3) | instid1(VALU_DEP_2)
	v_add_f64 v[19:20], v[19:20], -v[35:36]
	s_waitcnt_depctr 0xfff
	v_fma_f64 v[25:26], -v[39:40], v[27:28], 1.0
	v_add_f64 v[23:24], v[31:32], v[23:24]
	v_fma_f64 v[25:26], v[27:28], v[25:26], v[27:28]
	v_add_f64 v[27:28], v[31:32], -v[35:36]
	s_delay_alu instid0(VALU_DEP_3) | instskip(NEXT) | instid1(VALU_DEP_3)
	v_add_f64 v[31:32], v[33:34], v[23:24]
	v_fma_f64 v[37:38], -v[39:40], v[25:26], 1.0
	s_delay_alu instid0(VALU_DEP_3) | instskip(NEXT) | instid1(VALU_DEP_3)
	v_add_f64 v[27:28], v[29:30], -v[27:28]
	v_add_f64 v[29:30], v[31:32], -v[33:34]
	v_div_scale_f64 v[33:34], vcc_lo, v[21:22], v[13:14], v[21:22]
	s_delay_alu instid0(VALU_DEP_4) | instskip(NEXT) | instid1(VALU_DEP_4)
	v_fma_f64 v[25:26], v[25:26], v[37:38], v[25:26]
	v_add_f64 v[19:20], v[19:20], v[27:28]
	s_delay_alu instid0(VALU_DEP_4) | instskip(NEXT) | instid1(VALU_DEP_3)
	v_add_f64 v[23:24], v[23:24], -v[29:30]
	v_mul_f64 v[27:28], v[33:34], v[25:26]
	s_delay_alu instid0(VALU_DEP_2) | instskip(NEXT) | instid1(VALU_DEP_2)
	v_add_f64 v[19:20], v[19:20], v[23:24]
	v_fma_f64 v[23:24], -v[39:40], v[27:28], v[33:34]
	s_delay_alu instid0(VALU_DEP_2) | instskip(NEXT) | instid1(VALU_DEP_2)
	v_add_f64 v[19:20], v[31:32], v[19:20]
	v_div_fmas_f64 v[23:24], v[23:24], v[25:26], v[27:28]
	v_cmp_neq_f64_e32 vcc_lo, 0, v[11:12]
	s_delay_alu instid0(VALU_DEP_3) | instskip(NEXT) | instid1(VALU_DEP_4)
	v_cndmask_b32_e64 v19, v19, v11, s0
	v_cndmask_b32_e64 v20, v20, v12, s0
	s_delay_alu instid0(VALU_DEP_4) | instskip(NEXT) | instid1(VALU_DEP_2)
	v_div_fixup_f64 v[11:12], v[23:24], v[13:14], v[21:22]
	v_cndmask_b32_e32 v14, 0xfff00000, v20, vcc_lo
	s_delay_alu instid0(VALU_DEP_4) | instskip(NEXT) | instid1(VALU_DEP_1)
	v_cndmask_b32_e32 v13, 0, v19, vcc_lo
	v_fma_f64 v[11:12], v[13:14], v[17:18], v[11:12]
                                        ; implicit-def: $vgpr13_vgpr14
	s_delay_alu instid0(VALU_DEP_1)
	v_mul_f64 v[11:12], v[15:16], v[11:12]
.LBB7_100:
	s_and_not1_saveexec_b32 s0, s8
	s_cbranch_execz .LBB7_102
; %bb.101:
	v_div_scale_f64 v[11:12], null, v[13:14], v[13:14], 0x40200000
	v_div_scale_f64 v[19:20], vcc_lo, 0x40200000, v[13:14], 0x40200000
	s_mov_b32 s8, 0x838f5ed3
	s_mov_b32 s9, 0x3c74af1a
	;; [unrolled: 1-line block ×4, first 2 shown]
	s_delay_alu instid0(VALU_DEP_2) | instskip(SKIP_2) | instid1(VALU_DEP_1)
	v_rcp_f64_e32 v[15:16], v[11:12]
	s_waitcnt_depctr 0xfff
	v_fma_f64 v[17:18], -v[11:12], v[15:16], 1.0
	v_fma_f64 v[15:16], v[15:16], v[17:18], v[15:16]
	s_delay_alu instid0(VALU_DEP_1) | instskip(NEXT) | instid1(VALU_DEP_1)
	v_fma_f64 v[17:18], -v[11:12], v[15:16], 1.0
	v_fma_f64 v[15:16], v[15:16], v[17:18], v[15:16]
	s_delay_alu instid0(VALU_DEP_1) | instskip(NEXT) | instid1(VALU_DEP_1)
	v_mul_f64 v[17:18], v[19:20], v[15:16]
	v_fma_f64 v[11:12], -v[11:12], v[17:18], v[19:20]
	s_delay_alu instid0(VALU_DEP_1) | instskip(SKIP_1) | instid1(VALU_DEP_2)
	v_div_fmas_f64 v[11:12], v[11:12], v[15:16], v[17:18]
	v_cmp_gt_f64_e32 vcc_lo, 0x10000000, v[13:14]
	v_div_fixup_f64 v[11:12], v[11:12], v[13:14], 0x40200000
	v_cndmask_b32_e64 v19, 0, 1, vcc_lo
	s_delay_alu instid0(VALU_DEP_1) | instskip(NEXT) | instid1(VALU_DEP_1)
	v_lshlrev_b32_e32 v19, 8, v19
	v_ldexp_f64 v[13:14], v[13:14], v19
	s_delay_alu instid0(VALU_DEP_4) | instskip(NEXT) | instid1(VALU_DEP_2)
	v_add_f64 v[11:12], v[11:12], -2.0
	v_rsq_f64_e32 v[19:20], v[13:14]
	s_delay_alu instid0(VALU_DEP_1)
	v_fma_f64 v[15:16], v[11:12], s[10:11], s[8:9]
	s_mov_b32 s11, 0x3c5a8c5d
	s_mov_b32 s8, 0x17771d52
	;; [unrolled: 1-line block ×3, first 2 shown]
	s_waitcnt_depctr 0xfff
	v_mul_f64 v[21:22], v[13:14], v[19:20]
	v_mul_f64 v[19:20], v[19:20], 0.5
	v_fma_f64 v[17:18], v[11:12], v[15:16], s[10:11]
	s_delay_alu instid0(VALU_DEP_2) | instskip(NEXT) | instid1(VALU_DEP_2)
	v_fma_f64 v[23:24], -v[19:20], v[21:22], 0.5
	v_add_f64 v[17:18], v[17:18], s[8:9]
	s_mov_b32 s8, 0x44ee2c0b
	s_mov_b32 s9, 0x3caa7d5e
	s_delay_alu instid0(VALU_DEP_2) | instskip(SKIP_1) | instid1(VALU_DEP_3)
	v_fma_f64 v[21:22], v[21:22], v[23:24], v[21:22]
	v_fma_f64 v[19:20], v[19:20], v[23:24], v[19:20]
	v_fma_f64 v[15:16], v[11:12], v[17:18], -v[15:16]
	s_delay_alu instid0(VALU_DEP_3) | instskip(NEXT) | instid1(VALU_DEP_2)
	v_fma_f64 v[23:24], -v[21:22], v[21:22], v[13:14]
	v_add_f64 v[15:16], v[15:16], s[8:9]
	s_mov_b32 s8, 0xd8758ef2
	s_mov_b32 s9, 0xbcc5d2a3
	s_delay_alu instid0(VALU_DEP_2) | instskip(NEXT) | instid1(VALU_DEP_2)
	v_fma_f64 v[21:22], v[23:24], v[19:20], v[21:22]
	v_fma_f64 v[17:18], v[11:12], v[15:16], -v[17:18]
	s_delay_alu instid0(VALU_DEP_1) | instskip(SKIP_2) | instid1(VALU_DEP_1)
	v_add_f64 v[17:18], v[17:18], s[8:9]
	s_mov_b32 s8, 0xefee81bd
	s_mov_b32 s9, 0x3ce25ced
	v_fma_f64 v[15:16], v[11:12], v[17:18], -v[15:16]
	s_delay_alu instid0(VALU_DEP_1) | instskip(SKIP_2) | instid1(VALU_DEP_1)
	v_add_f64 v[15:16], v[15:16], s[8:9]
	s_mov_b32 s8, 0x364185ab
	s_mov_b32 s9, 0xbcff9d52
	;; [unrolled: 5-line block ×20, first 2 shown]
	v_fma_f64 v[11:12], v[11:12], v[15:16], -v[17:18]
	v_fma_f64 v[15:16], -v[21:22], v[21:22], v[13:14]
	s_delay_alu instid0(VALU_DEP_2) | instskip(NEXT) | instid1(VALU_DEP_2)
	v_add_f64 v[11:12], v[11:12], s[8:9]
	v_fma_f64 v[15:16], v[15:16], v[19:20], v[21:22]
	s_delay_alu instid0(VALU_DEP_2) | instskip(SKIP_2) | instid1(VALU_DEP_2)
	v_add_f64 v[11:12], v[11:12], -v[17:18]
	v_cndmask_b32_e64 v17, 0, 0xffffff80, vcc_lo
	v_cmp_class_f64_e64 vcc_lo, v[13:14], 0x260
	v_ldexp_f64 v[15:16], v[15:16], v17
	s_delay_alu instid0(VALU_DEP_4) | instskip(NEXT) | instid1(VALU_DEP_2)
	v_mul_f64 v[11:12], v[11:12], 0.5
	v_dual_cndmask_b32 v14, v16, v14 :: v_dual_cndmask_b32 v13, v15, v13
	s_delay_alu instid0(VALU_DEP_1) | instskip(NEXT) | instid1(VALU_DEP_1)
	v_div_scale_f64 v[15:16], null, v[13:14], v[13:14], v[11:12]
	v_rcp_f64_e32 v[17:18], v[15:16]
	s_waitcnt_depctr 0xfff
	v_fma_f64 v[19:20], -v[15:16], v[17:18], 1.0
	s_delay_alu instid0(VALU_DEP_1) | instskip(NEXT) | instid1(VALU_DEP_1)
	v_fma_f64 v[17:18], v[17:18], v[19:20], v[17:18]
	v_fma_f64 v[19:20], -v[15:16], v[17:18], 1.0
	s_delay_alu instid0(VALU_DEP_1) | instskip(SKIP_1) | instid1(VALU_DEP_1)
	v_fma_f64 v[17:18], v[17:18], v[19:20], v[17:18]
	v_div_scale_f64 v[19:20], vcc_lo, v[11:12], v[13:14], v[11:12]
	v_mul_f64 v[21:22], v[19:20], v[17:18]
	s_delay_alu instid0(VALU_DEP_1) | instskip(NEXT) | instid1(VALU_DEP_1)
	v_fma_f64 v[15:16], -v[15:16], v[21:22], v[19:20]
	v_div_fmas_f64 v[15:16], v[15:16], v[17:18], v[21:22]
	s_delay_alu instid0(VALU_DEP_1)
	v_div_fixup_f64 v[11:12], v[15:16], v[13:14], v[11:12]
.LBB7_102:
	s_or_b32 exec_lo, exec_lo, s0
.LBB7_103:
	s_delay_alu instid0(SALU_CYCLE_1)
	s_or_b32 exec_lo, exec_lo, s3
.LBB7_104:
	s_delay_alu instid0(SALU_CYCLE_1)
	s_or_b32 exec_lo, exec_lo, s2
	global_load_b64 v[13:14], v4, s[6:7]
	s_mov_b32 s2, exec_lo
	s_waitcnt vmcnt(0)
	v_cmpx_neq_f64_e32 0, v[13:14]
	s_cbranch_execz .LBB7_116
; %bb.105:
	v_mov_b32_e32 v9, 0
	v_mov_b32_e32 v10, 0x7ff80000
	s_mov_b32 s3, exec_lo
	v_cmpx_ngt_f64_e32 0, v[13:14]
	s_cbranch_execz .LBB7_115
; %bb.106:
                                        ; implicit-def: $vgpr9_vgpr10
	s_mov_b32 s0, exec_lo
	v_cmpx_ge_f64_e32 2.0, v[13:14]
	s_xor_b32 s6, exec_lo, s0
	s_cbranch_execz .LBB7_112
; %bb.107:
	v_mul_f64 v[9:10], v[13:14], 0.5
	s_mov_b32 s0, exec_lo
                                        ; implicit-def: $vgpr17_vgpr18
                                        ; implicit-def: $vgpr15_vgpr16
	v_cmpx_ge_f64_e32 0x40200000, v[13:14]
	s_xor_b32 s0, exec_lo, s0
	s_cbranch_execz .LBB7_109
; %bb.108:
	s_delay_alu instid0(VALU_DEP_2)
	v_add_f64 v[15:16], v[9:10], -2.0
	s_mov_b32 s8, 0xc38a0576
	s_mov_b32 s9, 0xbc7857d0
	;; [unrolled: 1-line block ×4, first 2 shown]
	v_cmp_nlt_f64_e32 vcc_lo, 0x40900000, v[13:14]
	s_delay_alu instid0(VALU_DEP_2) | instskip(SKIP_3) | instid1(VALU_DEP_1)
	v_fma_f64 v[17:18], v[15:16], s[10:11], s[8:9]
	s_mov_b32 s11, 0xbc499f2a
	s_mov_b32 s8, 0xe593bfac
	;; [unrolled: 1-line block ×3, first 2 shown]
	v_fma_f64 v[19:20], v[15:16], v[17:18], s[10:11]
	s_mov_b32 s10, 0x6a5dcb37
	s_mov_b32 s11, 0x3e5ade15
	s_delay_alu instid0(VALU_DEP_1) | instskip(SKIP_2) | instid1(VALU_DEP_1)
	v_add_f64 v[19:20], v[19:20], s[8:9]
	s_mov_b32 s8, 0x7e0d1573
	s_mov_b32 s9, 0xbcd3eaaa
	v_fma_f64 v[17:18], v[15:16], v[19:20], -v[17:18]
	s_delay_alu instid0(VALU_DEP_1) | instskip(SKIP_2) | instid1(VALU_DEP_1)
	v_add_f64 v[17:18], v[17:18], s[8:9]
	s_mov_b32 s8, 0x615290c
	s_mov_b32 s9, 0x3d011d7f
	v_fma_f64 v[19:20], v[15:16], v[17:18], -v[19:20]
	;; [unrolled: 5-line block ×19, first 2 shown]
	s_delay_alu instid0(VALU_DEP_1) | instskip(SKIP_2) | instid1(SALU_CYCLE_1)
	v_add_f64 v[17:18], v[17:18], s[8:9]
	s_mov_b32 s8, 0x652b82fe
	s_mov_b32 s9, 0x3ff71547
	v_mul_f64 v[21:22], v[13:14], s[8:9]
	s_mov_b32 s8, 0x49d3a1b4
	s_mov_b32 s9, 0x3f710653
	s_delay_alu instid0(VALU_DEP_2) | instskip(NEXT) | instid1(VALU_DEP_2)
	v_fma_f64 v[19:20], v[15:16], v[17:18], -v[19:20]
	v_rndne_f64_e32 v[21:22], v[21:22]
	s_delay_alu instid0(VALU_DEP_2)
	v_add_f64 v[19:20], v[19:20], s[8:9]
	s_mov_b32 s8, 0xfefa39ef
	s_mov_b32 s9, 0xbfe62e42
	s_delay_alu instid0(VALU_DEP_2) | instid1(SALU_CYCLE_1)
	v_fma_f64 v[23:24], v[21:22], s[8:9], v[13:14]
	s_mov_b32 s8, 0x7913a26a
	s_mov_b32 s9, 0xbf85a29f
	v_cvt_i32_f64_e32 v4, v[21:22]
	s_delay_alu instid0(VALU_DEP_3) | instskip(NEXT) | instid1(VALU_DEP_1)
	v_fma_f64 v[17:18], v[15:16], v[19:20], -v[17:18]
	v_add_f64 v[17:18], v[17:18], s[8:9]
	s_mov_b32 s8, 0x3b39803f
	s_mov_b32 s9, 0xbc7abc9e
	s_delay_alu instid0(VALU_DEP_4) | instid1(SALU_CYCLE_1)
	v_fma_f64 v[23:24], v[21:22], s[8:9], v[23:24]
	s_mov_b32 s8, 0xfca7ab0c
	s_mov_b32 s9, 0x3e928af3
	s_delay_alu instid0(VALU_DEP_2) | instskip(NEXT) | instid1(VALU_DEP_2)
	v_fma_f64 v[19:20], v[15:16], v[17:18], -v[19:20]
	v_fma_f64 v[25:26], v[23:24], s[10:11], s[8:9]
	s_mov_b32 s8, 0xe7bb2349
	s_mov_b32 s9, 0x3f9951e3
	s_delay_alu instid0(VALU_DEP_2) | instid1(SALU_CYCLE_1)
	v_add_f64 v[19:20], v[19:20], s[8:9]
	s_mov_b32 s8, 0x623fde64
	s_mov_b32 s9, 0x3ec71dee
	s_delay_alu instid0(VALU_DEP_2) | instid1(SALU_CYCLE_1)
	v_fma_f64 v[25:26], v[23:24], v[25:26], s[8:9]
	s_mov_b32 s8, 0x7c89e6b0
	s_mov_b32 s9, 0x3efa0199
	s_delay_alu instid0(VALU_DEP_2) | instskip(NEXT) | instid1(VALU_DEP_2)
	v_fma_f64 v[17:18], v[15:16], v[19:20], -v[17:18]
	v_fma_f64 v[25:26], v[23:24], v[25:26], s[8:9]
	s_mov_b32 s8, 0x537c9ebc
	s_mov_b32 s9, 0xbfab1bbc
	s_delay_alu instid0(VALU_DEP_2) | instid1(SALU_CYCLE_1)
	v_add_f64 v[17:18], v[17:18], s[8:9]
	s_mov_b32 s8, 0x14761f6e
	s_mov_b32 s9, 0x3f2a01a0
	s_delay_alu instid0(VALU_DEP_2) | instid1(SALU_CYCLE_1)
	;; [unrolled: 13-line block ×4, first 2 shown]
	v_fma_f64 v[25:26], v[23:24], v[25:26], s[8:9]
	s_mov_b32 s8, 11
	s_mov_b32 s9, 0x3fe00000
	s_delay_alu instid0(VALU_DEP_2) | instskip(NEXT) | instid1(VALU_DEP_2)
	v_fma_f64 v[15:16], v[15:16], v[17:18], -v[19:20]
	v_fma_f64 v[17:18], v[23:24], v[25:26], s[8:9]
	s_mov_b32 s8, 0x724a7ffa
	s_mov_b32 s9, 0x3fd02a63
	s_delay_alu instid0(VALU_DEP_2) | instid1(SALU_CYCLE_1)
	v_add_f64 v[15:16], v[15:16], s[8:9]
	s_delay_alu instid0(VALU_DEP_2) | instskip(NEXT) | instid1(VALU_DEP_2)
	v_fma_f64 v[17:18], v[23:24], v[17:18], 1.0
	v_add_f64 v[15:16], v[15:16], -v[19:20]
	s_delay_alu instid0(VALU_DEP_2) | instskip(NEXT) | instid1(VALU_DEP_2)
	v_fma_f64 v[17:18], v[23:24], v[17:18], 1.0
	v_mul_f64 v[15:16], v[15:16], 0.5
	s_delay_alu instid0(VALU_DEP_2) | instskip(NEXT) | instid1(VALU_DEP_2)
	v_ldexp_f64 v[17:18], v[17:18], v4
	v_mul_f64 v[19:20], v[13:14], v[15:16]
	s_delay_alu instid0(VALU_DEP_2) | instskip(NEXT) | instid1(VALU_DEP_3)
	v_cndmask_b32_e32 v16, 0x7ff00000, v18, vcc_lo
	v_cndmask_b32_e32 v15, 0, v17, vcc_lo
	s_delay_alu instid0(VALU_DEP_1)
	v_mul_f64 v[17:18], v[15:16], v[19:20]
.LBB7_109:
	s_and_not1_saveexec_b32 s1, s0
	s_cbranch_execz .LBB7_111
; %bb.110:
	v_div_scale_f64 v[15:16], null, v[13:14], v[13:14], 0x40400000
	v_div_scale_f64 v[21:22], vcc_lo, 0x40400000, v[13:14], 0x40400000
	s_mov_b32 s8, 0xea87b950
	s_mov_b32 s9, 0x3c545b8a
	;; [unrolled: 1-line block ×4, first 2 shown]
	v_cmp_nlt_f64_e64 s0, 0x40900000, v[13:14]
	s_delay_alu instid0(VALU_DEP_3) | instskip(SKIP_2) | instid1(VALU_DEP_1)
	v_rcp_f64_e32 v[17:18], v[15:16]
	s_waitcnt_depctr 0xfff
	v_fma_f64 v[19:20], -v[15:16], v[17:18], 1.0
	v_fma_f64 v[17:18], v[17:18], v[19:20], v[17:18]
	s_delay_alu instid0(VALU_DEP_1) | instskip(NEXT) | instid1(VALU_DEP_1)
	v_fma_f64 v[19:20], -v[15:16], v[17:18], 1.0
	v_fma_f64 v[17:18], v[17:18], v[19:20], v[17:18]
	s_delay_alu instid0(VALU_DEP_1) | instskip(NEXT) | instid1(VALU_DEP_1)
	v_mul_f64 v[19:20], v[21:22], v[17:18]
	v_fma_f64 v[15:16], -v[15:16], v[19:20], v[21:22]
	s_delay_alu instid0(VALU_DEP_1) | instskip(SKIP_1) | instid1(VALU_DEP_2)
	v_div_fmas_f64 v[15:16], v[15:16], v[17:18], v[19:20]
	v_cmp_gt_f64_e32 vcc_lo, 0x10000000, v[13:14]
	v_div_fixup_f64 v[15:16], v[15:16], v[13:14], 0x40400000
	v_cndmask_b32_e64 v4, 0, 1, vcc_lo
	s_delay_alu instid0(VALU_DEP_1) | instskip(NEXT) | instid1(VALU_DEP_1)
	v_lshlrev_b32_e32 v4, 8, v4
	v_ldexp_f64 v[27:28], v[13:14], v4
	s_delay_alu instid0(VALU_DEP_4) | instskip(NEXT) | instid1(VALU_DEP_2)
	v_add_f64 v[15:16], v[15:16], -2.0
	v_rsq_f64_e32 v[29:30], v[27:28]
	s_delay_alu instid0(VALU_DEP_1)
	v_fma_f64 v[17:18], v[15:16], s[10:11], s[8:9]
	s_mov_b32 s11, 0xbc61556d
	s_mov_b32 s8, 0xb2532277
	;; [unrolled: 1-line block ×3, first 2 shown]
	s_waitcnt_depctr 0xfff
	v_mul_f64 v[31:32], v[27:28], v[29:30]
	v_mul_f64 v[29:30], v[29:30], 0.5
	v_fma_f64 v[19:20], v[15:16], v[17:18], s[10:11]
	s_mov_b32 s10, 0x6a5dcb37
	s_mov_b32 s11, 0x3e5ade15
	s_delay_alu instid0(VALU_DEP_2) | instskip(NEXT) | instid1(VALU_DEP_2)
	v_fma_f64 v[33:34], -v[29:30], v[31:32], 0.5
	v_add_f64 v[19:20], v[19:20], s[8:9]
	s_mov_b32 s8, 0x9c773320
	s_mov_b32 s9, 0xbc82806c
	s_delay_alu instid0(VALU_DEP_2) | instskip(SKIP_1) | instid1(VALU_DEP_3)
	v_fma_f64 v[31:32], v[31:32], v[33:34], v[31:32]
	v_fma_f64 v[29:30], v[29:30], v[33:34], v[29:30]
	v_fma_f64 v[17:18], v[15:16], v[19:20], -v[17:18]
	s_delay_alu instid0(VALU_DEP_3) | instskip(NEXT) | instid1(VALU_DEP_2)
	v_fma_f64 v[33:34], -v[31:32], v[31:32], v[27:28]
	v_add_f64 v[17:18], v[17:18], s[8:9]
	s_mov_b32 s8, 0xfceb588a
	s_mov_b32 s9, 0x3cb55915
	s_delay_alu instid0(VALU_DEP_1) | instskip(NEXT) | instid1(VALU_DEP_1)
	v_fma_f64 v[19:20], v[15:16], v[17:18], -v[19:20]
	v_add_f64 v[19:20], v[19:20], s[8:9]
	s_mov_b32 s8, 0x5f04a2d1
	s_mov_b32 s9, 0x3cb7d68e
	s_delay_alu instid0(VALU_DEP_1) | instskip(NEXT) | instid1(VALU_DEP_1)
	v_fma_f64 v[17:18], v[15:16], v[19:20], -v[17:18]
	;; [unrolled: 5-line block ×14, first 2 shown]
	v_add_f64 v[17:18], v[17:18], s[8:9]
	s_mov_b32 s8, 0x652b82fe
	s_mov_b32 s9, 0x3ff71547
	s_delay_alu instid0(SALU_CYCLE_1) | instskip(SKIP_2) | instid1(VALU_DEP_2)
	v_mul_f64 v[21:22], v[13:14], s[8:9]
	s_mov_b32 s8, 0x9ad53528
	s_mov_b32 s9, 0xbe30790b
	v_fma_f64 v[19:20], v[15:16], v[17:18], -v[19:20]
	s_delay_alu instid0(VALU_DEP_2) | instskip(NEXT) | instid1(VALU_DEP_2)
	v_rndne_f64_e32 v[21:22], v[21:22]
	v_add_f64 v[19:20], v[19:20], s[8:9]
	s_mov_b32 s8, 0xfefa39ef
	s_mov_b32 s9, 0xbfe62e42
	s_delay_alu instid0(VALU_DEP_2) | instid1(SALU_CYCLE_1)
	v_fma_f64 v[23:24], v[21:22], s[8:9], v[13:14]
	s_mov_b32 s8, 0x3b39803f
	s_mov_b32 s9, 0xbc7abc9e
	v_cvt_i32_f64_e32 v4, v[21:22]
	s_delay_alu instid0(VALU_DEP_3) | instskip(NEXT) | instid1(VALU_DEP_3)
	v_fma_f64 v[17:18], v[15:16], v[19:20], -v[17:18]
	v_fma_f64 v[23:24], v[21:22], s[8:9], v[23:24]
	s_mov_b32 s8, 0x94bb46c1
	s_mov_b32 s9, 0xbe5c4153
	s_delay_alu instid0(VALU_DEP_2) | instid1(SALU_CYCLE_1)
	v_add_f64 v[17:18], v[17:18], s[8:9]
	s_mov_b32 s8, 0xfca7ab0c
	s_mov_b32 s9, 0x3e928af3
	s_delay_alu instid0(VALU_DEP_2) | instid1(SALU_CYCLE_1)
	v_fma_f64 v[25:26], v[23:24], s[10:11], s[8:9]
	s_mov_b32 s8, 0x623fde64
	s_mov_b32 s9, 0x3ec71dee
	s_delay_alu instid0(VALU_DEP_2) | instskip(NEXT) | instid1(VALU_DEP_2)
	v_fma_f64 v[19:20], v[15:16], v[17:18], -v[19:20]
	v_fma_f64 v[25:26], v[23:24], v[25:26], s[8:9]
	s_mov_b32 s8, 0x2e9e5443
	s_mov_b32 s9, 0xbe90dbfd
	s_delay_alu instid0(VALU_DEP_2) | instid1(SALU_CYCLE_1)
	v_add_f64 v[19:20], v[19:20], s[8:9]
	s_mov_b32 s8, 0x7c89e6b0
	s_mov_b32 s9, 0x3efa0199
	s_delay_alu instid0(VALU_DEP_2) | instid1(SALU_CYCLE_1)
	v_fma_f64 v[25:26], v[23:24], v[25:26], s[8:9]
	s_mov_b32 s8, 0x14761f6e
	s_mov_b32 s9, 0x3f2a01a0
	s_delay_alu instid0(VALU_DEP_2) | instskip(NEXT) | instid1(VALU_DEP_2)
	;; [unrolled: 13-line block ×4, first 2 shown]
	v_fma_f64 v[17:18], v[15:16], v[19:20], -v[17:18]
	v_fma_f64 v[25:26], v[23:24], v[25:26], s[8:9]
	s_mov_b32 s8, 0x53fcdb4c
	s_mov_b32 s9, 0xbf83fda0
	s_delay_alu instid0(VALU_DEP_2) | instid1(SALU_CYCLE_1)
	v_add_f64 v[17:18], v[17:18], s[8:9]
	s_mov_b32 s8, 11
	s_mov_b32 s9, 0x3fe00000
	s_delay_alu instid0(VALU_DEP_2) | instid1(SALU_CYCLE_1)
	v_fma_f64 v[25:26], v[23:24], v[25:26], s[8:9]
	s_mov_b32 s8, 0xb55b1514
	s_mov_b32 s9, 0x3fe8ea18
	s_delay_alu instid0(VALU_DEP_2) | instskip(SKIP_1) | instid1(VALU_DEP_3)
	v_fma_f64 v[15:16], v[15:16], v[17:18], -v[19:20]
	v_fma_f64 v[17:18], v[33:34], v[29:30], v[31:32]
	v_fma_f64 v[25:26], v[23:24], v[25:26], 1.0
	s_delay_alu instid0(VALU_DEP_3) | instskip(NEXT) | instid1(VALU_DEP_3)
	v_add_f64 v[15:16], v[15:16], s[8:9]
	v_fma_f64 v[21:22], -v[17:18], v[17:18], v[27:28]
	s_delay_alu instid0(VALU_DEP_3) | instskip(NEXT) | instid1(VALU_DEP_3)
	v_fma_f64 v[23:24], v[23:24], v[25:26], 1.0
	v_add_f64 v[15:16], v[15:16], -v[19:20]
	s_delay_alu instid0(VALU_DEP_3) | instskip(NEXT) | instid1(VALU_DEP_3)
	v_fma_f64 v[17:18], v[21:22], v[29:30], v[17:18]
	v_ldexp_f64 v[19:20], v[23:24], v4
	v_cndmask_b32_e64 v4, 0, 0xffffff80, vcc_lo
	v_cmp_class_f64_e64 vcc_lo, v[27:28], 0x260
	v_mul_f64 v[21:22], v[15:16], 0.5
	s_delay_alu instid0(VALU_DEP_3) | instskip(SKIP_2) | instid1(VALU_DEP_1)
	v_ldexp_f64 v[17:18], v[17:18], v4
	v_cndmask_b32_e64 v16, 0x7ff00000, v20, s0
	v_cndmask_b32_e64 v15, 0, v19, s0
	v_mul_f64 v[19:20], v[15:16], v[21:22]
	s_delay_alu instid0(VALU_DEP_4) | instskip(NEXT) | instid1(VALU_DEP_1)
	v_dual_cndmask_b32 v17, v17, v27 :: v_dual_cndmask_b32 v18, v18, v28
	v_div_scale_f64 v[21:22], null, v[17:18], v[17:18], v[19:20]
	s_delay_alu instid0(VALU_DEP_1) | instskip(SKIP_2) | instid1(VALU_DEP_1)
	v_rcp_f64_e32 v[23:24], v[21:22]
	s_waitcnt_depctr 0xfff
	v_fma_f64 v[25:26], -v[21:22], v[23:24], 1.0
	v_fma_f64 v[23:24], v[23:24], v[25:26], v[23:24]
	s_delay_alu instid0(VALU_DEP_1) | instskip(NEXT) | instid1(VALU_DEP_1)
	v_fma_f64 v[25:26], -v[21:22], v[23:24], 1.0
	v_fma_f64 v[23:24], v[23:24], v[25:26], v[23:24]
	v_div_scale_f64 v[25:26], vcc_lo, v[19:20], v[17:18], v[19:20]
	s_delay_alu instid0(VALU_DEP_1) | instskip(NEXT) | instid1(VALU_DEP_1)
	v_mul_f64 v[27:28], v[25:26], v[23:24]
	v_fma_f64 v[21:22], -v[21:22], v[27:28], v[25:26]
	s_delay_alu instid0(VALU_DEP_1) | instskip(NEXT) | instid1(VALU_DEP_1)
	v_div_fmas_f64 v[21:22], v[21:22], v[23:24], v[27:28]
	v_div_fixup_f64 v[17:18], v[21:22], v[17:18], v[19:20]
.LBB7_111:
	s_or_b32 exec_lo, exec_lo, s1
	s_delay_alu instid0(VALU_DEP_2)
	v_frexp_mant_f64_e32 v[19:20], v[9:10]
	s_mov_b32 s1, 0x3fe55555
	s_mov_b32 s0, 0x55555555
	v_mov_b32_e32 v21, 0
	v_fma_f64 v[33:34], v[13:14], v[13:14], -2.0
	s_mov_b32 s8, 0x7a0399e0
	s_mov_b32 s9, 0xbce5dd51
	;; [unrolled: 1-line block ×4, first 2 shown]
	v_frexp_exp_i32_f64_e32 v4, v[9:10]
	s_delay_alu instid0(VALU_DEP_4) | instskip(SKIP_1) | instid1(VALU_DEP_3)
	v_cmp_gt_f64_e32 vcc_lo, s[0:1], v[19:20]
	s_mov_b32 s0, 0x55555780
	v_fma_f64 v[35:36], v[33:34], s[10:11], s[8:9]
	s_mov_b32 s11, 0x3c603228
	s_mov_b32 s8, 0xddd0e045
	;; [unrolled: 1-line block ×3, first 2 shown]
	v_cndmask_b32_e64 v22, 0x3ff00000, 2.0, vcc_lo
	s_delay_alu instid0(VALU_DEP_4) | instskip(NEXT) | instid1(VALU_DEP_2)
	v_subrev_co_ci_u32_e32 v4, vcc_lo, 0, v4, vcc_lo
	v_mul_f64 v[19:20], v[19:20], v[21:22]
	s_delay_alu instid0(VALU_DEP_1) | instskip(SKIP_1) | instid1(VALU_DEP_2)
	v_add_f64 v[21:22], v[19:20], 1.0
	v_add_f64 v[27:28], v[19:20], -1.0
	v_rcp_f64_e32 v[23:24], v[21:22]
	v_add_f64 v[29:30], v[21:22], -1.0
	s_delay_alu instid0(VALU_DEP_1) | instskip(SKIP_2) | instid1(VALU_DEP_1)
	v_add_f64 v[19:20], v[19:20], -v[29:30]
	s_waitcnt_depctr 0xfff
	v_fma_f64 v[25:26], -v[21:22], v[23:24], 1.0
	v_fma_f64 v[23:24], v[25:26], v[23:24], v[23:24]
	s_delay_alu instid0(VALU_DEP_1) | instskip(NEXT) | instid1(VALU_DEP_1)
	v_fma_f64 v[25:26], -v[21:22], v[23:24], 1.0
	v_fma_f64 v[23:24], v[25:26], v[23:24], v[23:24]
	s_delay_alu instid0(VALU_DEP_1) | instskip(NEXT) | instid1(VALU_DEP_1)
	v_mul_f64 v[25:26], v[27:28], v[23:24]
	v_mul_f64 v[31:32], v[21:22], v[25:26]
	s_delay_alu instid0(VALU_DEP_1) | instskip(NEXT) | instid1(VALU_DEP_1)
	v_fma_f64 v[21:22], v[25:26], v[21:22], -v[31:32]
	v_fma_f64 v[19:20], v[25:26], v[19:20], v[21:22]
	s_delay_alu instid0(VALU_DEP_1) | instskip(NEXT) | instid1(VALU_DEP_1)
	v_add_f64 v[21:22], v[31:32], v[19:20]
	v_add_f64 v[29:30], v[27:28], -v[21:22]
	v_add_f64 v[31:32], v[21:22], -v[31:32]
	s_delay_alu instid0(VALU_DEP_2) | instskip(NEXT) | instid1(VALU_DEP_2)
	v_add_f64 v[27:28], v[27:28], -v[29:30]
	v_add_f64 v[19:20], v[31:32], -v[19:20]
	s_delay_alu instid0(VALU_DEP_2) | instskip(SKIP_3) | instid1(VALU_DEP_2)
	v_add_f64 v[21:22], v[27:28], -v[21:22]
	v_fma_f64 v[27:28], v[33:34], v[35:36], s[10:11]
	s_mov_b32 s10, 0xbf559e2b
	s_mov_b32 s11, 0x3fc3ab76
	v_add_f64 v[19:20], v[19:20], v[21:22]
	s_delay_alu instid0(VALU_DEP_2) | instskip(SKIP_2) | instid1(VALU_DEP_2)
	v_add_f64 v[21:22], v[27:28], s[8:9]
	s_mov_b32 s8, 0xb84626ca
	s_mov_b32 s9, 0xbde3663b
	v_add_f64 v[19:20], v[29:30], v[19:20]
	s_delay_alu instid0(VALU_DEP_2) | instskip(NEXT) | instid1(VALU_DEP_2)
	v_fma_f64 v[27:28], v[33:34], v[21:22], -v[35:36]
	v_mul_f64 v[19:20], v[23:24], v[19:20]
	s_delay_alu instid0(VALU_DEP_2) | instskip(SKIP_2) | instid1(VALU_DEP_2)
	v_add_f64 v[23:24], v[27:28], s[8:9]
	s_mov_b32 s8, 0x145c31d0
	s_mov_b32 s9, 0xbe57c41d
	v_add_f64 v[27:28], v[25:26], v[19:20]
	s_delay_alu instid0(VALU_DEP_2) | instskip(NEXT) | instid1(VALU_DEP_2)
	v_fma_f64 v[21:22], v[33:34], v[23:24], -v[21:22]
	v_mul_f64 v[29:30], v[27:28], v[27:28]
	s_delay_alu instid0(VALU_DEP_2) | instskip(SKIP_3) | instid1(VALU_DEP_3)
	v_add_f64 v[21:22], v[21:22], s[8:9]
	s_mov_b32 s8, 0x6b47b09a
	s_mov_b32 s9, 0x3fc38538
	v_add_f64 v[25:26], v[27:28], -v[25:26]
	v_fma_f64 v[31:32], v[29:30], s[10:11], s[8:9]
	s_delay_alu instid0(VALU_DEP_3) | instskip(SKIP_3) | instid1(VALU_DEP_4)
	v_fma_f64 v[23:24], v[33:34], v[21:22], -v[23:24]
	s_mov_b32 s8, 0xd7f4df2e
	s_mov_b32 s9, 0x3fc7474d
	v_mul_f64 v[35:36], v[27:28], v[29:30]
	v_add_f64 v[19:20], v[19:20], -v[25:26]
	s_delay_alu instid0(VALU_DEP_4)
	v_fma_f64 v[31:32], v[29:30], v[31:32], s[8:9]
	s_mov_b32 s8, 0x2c832e3a
	s_mov_b32 s9, 0xbec469b3
	s_delay_alu instid0(VALU_DEP_4) | instid1(SALU_CYCLE_1)
	v_add_f64 v[23:24], v[23:24], s[8:9]
	s_mov_b32 s8, 0x16291751
	s_mov_b32 s9, 0x3fcc71c0
	s_delay_alu instid0(VALU_DEP_3) | instskip(NEXT) | instid1(VALU_DEP_3)
	v_ldexp_f64 v[19:20], v[19:20], 1
	v_fma_f64 v[31:32], v[29:30], v[31:32], s[8:9]
	s_mov_b32 s8, 0x9b27acf1
	s_mov_b32 s9, 0x3fd24924
	s_delay_alu instid0(VALU_DEP_3) | instskip(NEXT) | instid1(VALU_DEP_2)
	v_fma_f64 v[21:22], v[33:34], v[23:24], -v[21:22]
	v_fma_f64 v[31:32], v[29:30], v[31:32], s[8:9]
	s_mov_b32 s8, 0xe5a3bd02
	s_mov_b32 s9, 0xbf26ade2
	s_delay_alu instid0(VALU_DEP_2) | instid1(SALU_CYCLE_1)
	v_add_f64 v[21:22], v[21:22], s[8:9]
	s_mov_b32 s8, 0x998ef7b6
	s_mov_b32 s9, 0x3fd99999
	s_delay_alu instid0(VALU_DEP_2) | instid1(SALU_CYCLE_1)
	v_fma_f64 v[31:32], v[29:30], v[31:32], s[8:9]
	s_delay_alu instid0(VALU_DEP_2) | instskip(NEXT) | instid1(VALU_DEP_2)
	v_fma_f64 v[23:24], v[33:34], v[21:22], -v[23:24]
	v_fma_f64 v[29:30], v[29:30], v[31:32], s[0:1]
	s_mov_b32 s0, 0x9d7d4192
	s_mov_b32 s1, 0xbf7c9293
	v_ldexp_f64 v[31:32], v[27:28], 1
	s_delay_alu instid0(VALU_DEP_3) | instskip(SKIP_2) | instid1(VALU_DEP_3)
	v_add_f64 v[23:24], v[23:24], s[0:1]
	s_mov_b32 s0, 0x43c1db74
	s_mov_b32 s1, 0xbfbf6372
	v_mul_f64 v[29:30], v[35:36], v[29:30]
	v_cvt_f64_i32_e32 v[35:36], v4
	s_delay_alu instid0(VALU_DEP_3) | instskip(NEXT) | instid1(VALU_DEP_3)
	v_fma_f64 v[21:22], v[33:34], v[23:24], -v[21:22]
	v_add_f64 v[27:28], v[31:32], v[29:30]
	s_delay_alu instid0(VALU_DEP_2)
	v_add_f64 v[21:22], v[21:22], s[0:1]
	s_mov_b32 s0, 0xfefa39ef
	s_mov_b32 s1, 0x3fe62e42
	s_delay_alu instid0(VALU_DEP_4) | instid1(SALU_CYCLE_1)
	v_mul_f64 v[37:38], v[35:36], s[0:1]
	s_delay_alu instid0(VALU_DEP_3) | instskip(NEXT) | instid1(VALU_DEP_3)
	v_add_f64 v[25:26], v[27:28], -v[31:32]
	v_fma_f64 v[23:24], v[33:34], v[21:22], -v[23:24]
	s_delay_alu instid0(VALU_DEP_3) | instskip(SKIP_2) | instid1(VALU_DEP_3)
	v_fma_f64 v[31:32], v[35:36], s[0:1], -v[37:38]
	s_mov_b32 s0, 0x757b0dd4
	s_mov_b32 s1, 0xbfd69a1b
	v_add_f64 v[25:26], v[29:30], -v[25:26]
	s_delay_alu instid0(VALU_DEP_3)
	v_add_f64 v[23:24], v[23:24], s[0:1]
	s_mov_b32 s0, 0x3b39803f
	s_mov_b32 s1, 0x3c7abc9e
	s_delay_alu instid0(VALU_DEP_3) | instid1(SALU_CYCLE_1)
	v_fma_f64 v[29:30], v[35:36], s[0:1], v[31:32]
	s_mov_b32 s0, 0x361008ca
	s_mov_b32 s1, 0x3ff867a1
	s_delay_alu instid0(VALU_DEP_3) | instskip(NEXT) | instid1(VALU_DEP_3)
	v_add_f64 v[19:20], v[19:20], v[25:26]
	v_fma_f64 v[23:24], v[33:34], v[23:24], -v[21:22]
	s_delay_alu instid0(VALU_DEP_3) | instskip(NEXT) | instid1(VALU_DEP_3)
	v_add_f64 v[25:26], v[37:38], v[29:30]
	v_add_f64 v[31:32], v[27:28], v[19:20]
	s_delay_alu instid0(VALU_DEP_3) | instskip(SKIP_1) | instid1(VALU_DEP_4)
	v_add_f64 v[23:24], v[23:24], s[0:1]
	v_cmp_eq_f64_e64 s0, 0x7ff00000, v[9:10]
	v_add_f64 v[35:36], v[25:26], -v[37:38]
	s_delay_alu instid0(VALU_DEP_4) | instskip(SKIP_2) | instid1(VALU_DEP_4)
	v_add_f64 v[33:34], v[25:26], v[31:32]
	v_add_f64 v[27:28], v[31:32], -v[27:28]
	v_add_f64 v[21:22], v[23:24], -v[21:22]
	;; [unrolled: 1-line block ×3, first 2 shown]
	s_delay_alu instid0(VALU_DEP_4) | instskip(NEXT) | instid1(VALU_DEP_4)
	v_add_f64 v[23:24], v[33:34], -v[25:26]
	v_add_f64 v[19:20], v[19:20], -v[27:28]
	s_delay_alu instid0(VALU_DEP_4) | instskip(NEXT) | instid1(VALU_DEP_3)
	v_mul_f64 v[21:22], v[21:22], 0.5
	v_add_f64 v[37:38], v[33:34], -v[23:24]
	v_add_f64 v[23:24], v[31:32], -v[23:24]
	s_delay_alu instid0(VALU_DEP_4) | instskip(NEXT) | instid1(VALU_DEP_4)
	v_add_f64 v[31:32], v[29:30], v[19:20]
	v_div_scale_f64 v[39:40], null, v[13:14], v[13:14], v[21:22]
	s_delay_alu instid0(VALU_DEP_4) | instskip(NEXT) | instid1(VALU_DEP_3)
	v_add_f64 v[25:26], v[25:26], -v[37:38]
	v_add_f64 v[35:36], v[31:32], -v[29:30]
	s_delay_alu instid0(VALU_DEP_3) | instskip(NEXT) | instid1(VALU_DEP_2)
	v_rcp_f64_e32 v[27:28], v[39:40]
	v_add_f64 v[23:24], v[23:24], v[25:26]
	s_delay_alu instid0(VALU_DEP_2) | instskip(SKIP_3) | instid1(VALU_DEP_2)
	v_add_f64 v[19:20], v[19:20], -v[35:36]
	s_waitcnt_depctr 0xfff
	v_fma_f64 v[25:26], -v[39:40], v[27:28], 1.0
	v_add_f64 v[23:24], v[31:32], v[23:24]
	v_fma_f64 v[25:26], v[27:28], v[25:26], v[27:28]
	v_add_f64 v[27:28], v[31:32], -v[35:36]
	s_delay_alu instid0(VALU_DEP_3) | instskip(NEXT) | instid1(VALU_DEP_3)
	v_add_f64 v[31:32], v[33:34], v[23:24]
	v_fma_f64 v[37:38], -v[39:40], v[25:26], 1.0
	s_delay_alu instid0(VALU_DEP_3) | instskip(NEXT) | instid1(VALU_DEP_3)
	v_add_f64 v[27:28], v[29:30], -v[27:28]
	v_add_f64 v[29:30], v[31:32], -v[33:34]
	v_div_scale_f64 v[33:34], vcc_lo, v[21:22], v[13:14], v[21:22]
	s_delay_alu instid0(VALU_DEP_4) | instskip(NEXT) | instid1(VALU_DEP_4)
	v_fma_f64 v[25:26], v[25:26], v[37:38], v[25:26]
	v_add_f64 v[19:20], v[19:20], v[27:28]
	s_delay_alu instid0(VALU_DEP_4) | instskip(NEXT) | instid1(VALU_DEP_3)
	v_add_f64 v[23:24], v[23:24], -v[29:30]
	v_mul_f64 v[27:28], v[33:34], v[25:26]
	s_delay_alu instid0(VALU_DEP_2) | instskip(NEXT) | instid1(VALU_DEP_2)
	v_add_f64 v[19:20], v[19:20], v[23:24]
	v_fma_f64 v[23:24], -v[39:40], v[27:28], v[33:34]
	s_delay_alu instid0(VALU_DEP_2) | instskip(NEXT) | instid1(VALU_DEP_2)
	v_add_f64 v[19:20], v[31:32], v[19:20]
	v_div_fmas_f64 v[23:24], v[23:24], v[25:26], v[27:28]
	v_cmp_neq_f64_e32 vcc_lo, 0, v[9:10]
	s_delay_alu instid0(VALU_DEP_3) | instskip(NEXT) | instid1(VALU_DEP_4)
	v_cndmask_b32_e64 v4, v19, v9, s0
	v_cndmask_b32_e64 v19, v20, v10, s0
	s_delay_alu instid0(VALU_DEP_4) | instskip(NEXT) | instid1(VALU_DEP_2)
	v_div_fixup_f64 v[9:10], v[23:24], v[13:14], v[21:22]
	v_cndmask_b32_e32 v14, 0xfff00000, v19, vcc_lo
	s_delay_alu instid0(VALU_DEP_4) | instskip(NEXT) | instid1(VALU_DEP_1)
	v_cndmask_b32_e32 v13, 0, v4, vcc_lo
	v_fma_f64 v[9:10], v[13:14], v[17:18], v[9:10]
                                        ; implicit-def: $vgpr13_vgpr14
	s_delay_alu instid0(VALU_DEP_1)
	v_mul_f64 v[9:10], v[15:16], v[9:10]
.LBB7_112:
	s_and_not1_saveexec_b32 s0, s6
	s_cbranch_execz .LBB7_114
; %bb.113:
	v_div_scale_f64 v[9:10], null, v[13:14], v[13:14], 0x40200000
	v_div_scale_f64 v[19:20], vcc_lo, 0x40200000, v[13:14], 0x40200000
	s_mov_b32 s6, 0x838f5ed3
	s_mov_b32 s7, 0x3c74af1a
	;; [unrolled: 1-line block ×4, first 2 shown]
	s_delay_alu instid0(VALU_DEP_2) | instskip(SKIP_2) | instid1(VALU_DEP_1)
	v_rcp_f64_e32 v[15:16], v[9:10]
	s_waitcnt_depctr 0xfff
	v_fma_f64 v[17:18], -v[9:10], v[15:16], 1.0
	v_fma_f64 v[15:16], v[15:16], v[17:18], v[15:16]
	s_delay_alu instid0(VALU_DEP_1) | instskip(NEXT) | instid1(VALU_DEP_1)
	v_fma_f64 v[17:18], -v[9:10], v[15:16], 1.0
	v_fma_f64 v[15:16], v[15:16], v[17:18], v[15:16]
	s_delay_alu instid0(VALU_DEP_1) | instskip(NEXT) | instid1(VALU_DEP_1)
	v_mul_f64 v[17:18], v[19:20], v[15:16]
	v_fma_f64 v[9:10], -v[9:10], v[17:18], v[19:20]
	s_delay_alu instid0(VALU_DEP_1) | instskip(SKIP_1) | instid1(VALU_DEP_2)
	v_div_fmas_f64 v[9:10], v[9:10], v[15:16], v[17:18]
	v_cmp_gt_f64_e32 vcc_lo, 0x10000000, v[13:14]
	v_div_fixup_f64 v[9:10], v[9:10], v[13:14], 0x40200000
	v_cndmask_b32_e64 v4, 0, 1, vcc_lo
	s_delay_alu instid0(VALU_DEP_1) | instskip(NEXT) | instid1(VALU_DEP_1)
	v_lshlrev_b32_e32 v4, 8, v4
	v_ldexp_f64 v[13:14], v[13:14], v4
	v_cndmask_b32_e64 v4, 0, 0xffffff80, vcc_lo
	v_add_f64 v[9:10], v[9:10], -2.0
	s_delay_alu instid0(VALU_DEP_3) | instskip(SKIP_1) | instid1(VALU_DEP_2)
	v_rsq_f64_e32 v[19:20], v[13:14]
	v_cmp_class_f64_e64 vcc_lo, v[13:14], 0x260
	v_fma_f64 v[15:16], v[9:10], s[8:9], s[6:7]
	s_mov_b32 s9, 0x3c5a8c5d
	s_mov_b32 s6, 0x17771d52
	;; [unrolled: 1-line block ×3, first 2 shown]
	s_waitcnt_depctr 0xfff
	v_mul_f64 v[21:22], v[13:14], v[19:20]
	v_mul_f64 v[19:20], v[19:20], 0.5
	v_fma_f64 v[17:18], v[9:10], v[15:16], s[8:9]
	s_delay_alu instid0(VALU_DEP_2) | instskip(NEXT) | instid1(VALU_DEP_2)
	v_fma_f64 v[23:24], -v[19:20], v[21:22], 0.5
	v_add_f64 v[17:18], v[17:18], s[6:7]
	s_mov_b32 s6, 0x44ee2c0b
	s_mov_b32 s7, 0x3caa7d5e
	s_delay_alu instid0(VALU_DEP_2) | instskip(SKIP_1) | instid1(VALU_DEP_3)
	v_fma_f64 v[21:22], v[21:22], v[23:24], v[21:22]
	v_fma_f64 v[19:20], v[19:20], v[23:24], v[19:20]
	v_fma_f64 v[15:16], v[9:10], v[17:18], -v[15:16]
	s_delay_alu instid0(VALU_DEP_3) | instskip(NEXT) | instid1(VALU_DEP_2)
	v_fma_f64 v[23:24], -v[21:22], v[21:22], v[13:14]
	v_add_f64 v[15:16], v[15:16], s[6:7]
	s_mov_b32 s6, 0xd8758ef2
	s_mov_b32 s7, 0xbcc5d2a3
	s_delay_alu instid0(VALU_DEP_2) | instskip(NEXT) | instid1(VALU_DEP_2)
	v_fma_f64 v[21:22], v[23:24], v[19:20], v[21:22]
	v_fma_f64 v[17:18], v[9:10], v[15:16], -v[17:18]
	s_delay_alu instid0(VALU_DEP_1) | instskip(SKIP_2) | instid1(VALU_DEP_1)
	v_add_f64 v[17:18], v[17:18], s[6:7]
	s_mov_b32 s6, 0xefee81bd
	s_mov_b32 s7, 0x3ce25ced
	v_fma_f64 v[15:16], v[9:10], v[17:18], -v[15:16]
	s_delay_alu instid0(VALU_DEP_1) | instskip(SKIP_2) | instid1(VALU_DEP_1)
	v_add_f64 v[15:16], v[15:16], s[6:7]
	s_mov_b32 s6, 0x364185ab
	s_mov_b32 s7, 0xbcff9d52
	;; [unrolled: 5-line block ×20, first 2 shown]
	v_fma_f64 v[9:10], v[9:10], v[15:16], -v[17:18]
	v_fma_f64 v[15:16], -v[21:22], v[21:22], v[13:14]
	s_delay_alu instid0(VALU_DEP_2) | instskip(NEXT) | instid1(VALU_DEP_2)
	v_add_f64 v[9:10], v[9:10], s[6:7]
	v_fma_f64 v[15:16], v[15:16], v[19:20], v[21:22]
	s_delay_alu instid0(VALU_DEP_2) | instskip(NEXT) | instid1(VALU_DEP_2)
	v_add_f64 v[9:10], v[9:10], -v[17:18]
	v_ldexp_f64 v[15:16], v[15:16], v4
	s_delay_alu instid0(VALU_DEP_2) | instskip(NEXT) | instid1(VALU_DEP_2)
	v_mul_f64 v[9:10], v[9:10], 0.5
	v_dual_cndmask_b32 v13, v15, v13 :: v_dual_cndmask_b32 v14, v16, v14
	s_delay_alu instid0(VALU_DEP_1) | instskip(NEXT) | instid1(VALU_DEP_1)
	v_div_scale_f64 v[15:16], null, v[13:14], v[13:14], v[9:10]
	v_rcp_f64_e32 v[17:18], v[15:16]
	s_waitcnt_depctr 0xfff
	v_fma_f64 v[19:20], -v[15:16], v[17:18], 1.0
	s_delay_alu instid0(VALU_DEP_1) | instskip(NEXT) | instid1(VALU_DEP_1)
	v_fma_f64 v[17:18], v[17:18], v[19:20], v[17:18]
	v_fma_f64 v[19:20], -v[15:16], v[17:18], 1.0
	s_delay_alu instid0(VALU_DEP_1) | instskip(SKIP_1) | instid1(VALU_DEP_1)
	v_fma_f64 v[17:18], v[17:18], v[19:20], v[17:18]
	v_div_scale_f64 v[19:20], vcc_lo, v[9:10], v[13:14], v[9:10]
	v_mul_f64 v[21:22], v[19:20], v[17:18]
	s_delay_alu instid0(VALU_DEP_1) | instskip(NEXT) | instid1(VALU_DEP_1)
	v_fma_f64 v[15:16], -v[15:16], v[21:22], v[19:20]
	v_div_fmas_f64 v[15:16], v[15:16], v[17:18], v[21:22]
	s_delay_alu instid0(VALU_DEP_1)
	v_div_fixup_f64 v[9:10], v[15:16], v[13:14], v[9:10]
.LBB7_114:
	s_or_b32 exec_lo, exec_lo, s0
.LBB7_115:
	s_delay_alu instid0(SALU_CYCLE_1)
	s_or_b32 exec_lo, exec_lo, s3
.LBB7_116:
	s_delay_alu instid0(SALU_CYCLE_1)
	s_or_b32 exec_lo, exec_lo, s2
	s_clause 0x3
	global_store_b64 v0, v[7:8], s[4:5]
	global_store_b64 v1, v[5:6], s[4:5]
	;; [unrolled: 1-line block ×4, first 2 shown]
	s_nop 0
	s_sendmsg sendmsg(MSG_DEALLOC_VGPRS)
	s_endpgm
.LBB7_117:
	v_dual_mov_b32 v2, v9 :: v_dual_mov_b32 v1, 0
.LBB7_118:
	s_and_b32 s34, s34, 3
	s_delay_alu instid0(SALU_CYCLE_1)
	s_cmp_eq_u32 s34, 0
	s_cbranch_scc1 .LBB7_121
; %bb.119:
	s_lshl_b32 s2, s33, 3
	s_mul_i32 s20, s33, 12
	s_add_u32 s2, s2, s0
	s_addc_u32 s3, s1, 0
	s_add_u32 s2, s2, 0xc4
	s_addc_u32 s3, s3, 0
	;; [unrolled: 2-line block ×3, first 2 shown]
	.p2align	6
.LBB7_120:                              ; =>This Inner Loop Header: Depth=1
	s_clause 0x1
	s_load_b64 s[36:37], s[20:21], 0x4
	s_load_b32 s33, s[20:21], 0xc
	s_load_b64 s[38:39], s[2:3], 0x0
	s_add_u32 s20, s20, 12
	s_addc_u32 s21, s21, 0
	s_add_u32 s2, s2, 8
	s_addc_u32 s3, s3, 0
	s_add_i32 s34, s34, -1
	s_delay_alu instid0(SALU_CYCLE_1) | instskip(SKIP_2) | instid1(VALU_DEP_1)
	s_cmp_lg_u32 s34, 0
	s_waitcnt lgkmcnt(0)
	v_mul_hi_u32 v3, s37, v2
	v_add_nc_u32_e32 v3, v2, v3
	s_delay_alu instid0(VALU_DEP_1) | instskip(NEXT) | instid1(VALU_DEP_1)
	v_lshrrev_b32_e32 v6, s33, v3
	v_mul_lo_u32 v3, v6, s36
	s_delay_alu instid0(VALU_DEP_1) | instskip(NEXT) | instid1(VALU_DEP_1)
	v_sub_nc_u32_e32 v2, v2, v3
	v_mad_u64_u32 v[3:4], null, v2, s38, v[0:1]
	v_mad_u64_u32 v[4:5], null, v2, s39, v[1:2]
	v_mov_b32_e32 v2, v6
	s_delay_alu instid0(VALU_DEP_2)
	v_dual_mov_b32 v0, v3 :: v_dual_mov_b32 v1, v4
	s_cbranch_scc1 .LBB7_120
.LBB7_121:
	s_and_not1_b32 vcc_lo, exec_lo, s31
	s_cbranch_vccnz .LBB7_124
; %bb.122:
	s_waitcnt lgkmcnt(0)
	v_mul_hi_u32 v0, s13, v9
	s_and_not1_b32 vcc_lo, exec_lo, s26
	s_delay_alu instid0(VALU_DEP_1) | instskip(NEXT) | instid1(VALU_DEP_1)
	v_add_nc_u32_e32 v0, v9, v0
	v_lshrrev_b32_e32 v2, s14, v0
	s_delay_alu instid0(VALU_DEP_1) | instskip(NEXT) | instid1(VALU_DEP_1)
	v_mul_lo_u32 v0, v2, s12
	v_sub_nc_u32_e32 v1, v9, v0
	s_delay_alu instid0(VALU_DEP_1)
	v_mul_lo_u32 v0, v1, s8
	v_mul_lo_u32 v1, v1, s9
	s_cbranch_vccnz .LBB7_124
; %bb.123:
	v_mul_hi_u32 v3, s16, v2
	s_delay_alu instid0(VALU_DEP_1) | instskip(NEXT) | instid1(VALU_DEP_1)
	v_add_nc_u32_e32 v3, v2, v3
	v_lshrrev_b32_e32 v3, s17, v3
	s_delay_alu instid0(VALU_DEP_1) | instskip(NEXT) | instid1(VALU_DEP_1)
	v_mul_lo_u32 v3, v3, s15
	v_sub_nc_u32_e32 v5, v2, v3
	s_delay_alu instid0(VALU_DEP_1) | instskip(NEXT) | instid1(VALU_DEP_1)
	v_mad_u64_u32 v[2:3], null, v5, s10, v[0:1]
	v_mad_u64_u32 v[3:4], null, v5, s11, v[1:2]
	s_delay_alu instid0(VALU_DEP_1)
	v_dual_mov_b32 v0, v2 :: v_dual_mov_b32 v1, v3
.LBB7_124:
	s_waitcnt lgkmcnt(0)
	global_load_b64 v[1:2], v1, s[6:7]
	v_mov_b32_e32 v3, 0
	v_mov_b32_e32 v4, 0x7ff00000
	s_mov_b32 s20, exec_lo
	s_waitcnt vmcnt(0)
	v_cmpx_neq_f64_e32 0, v[1:2]
	s_cbranch_execz .LBB7_136
; %bb.125:
	v_mov_b32_e32 v3, 0
	v_mov_b32_e32 v4, 0x7ff80000
	s_mov_b32 s21, exec_lo
	v_cmpx_ngt_f64_e32 0, v[1:2]
	s_cbranch_execz .LBB7_135
; %bb.126:
                                        ; implicit-def: $vgpr3_vgpr4
	s_mov_b32 s2, exec_lo
	v_cmpx_ge_f64_e32 2.0, v[1:2]
	s_xor_b32 s31, exec_lo, s2
	s_cbranch_execz .LBB7_132
; %bb.127:
	v_mul_f64 v[3:4], v[1:2], 0.5
	s_mov_b32 s2, exec_lo
                                        ; implicit-def: $vgpr7_vgpr8
                                        ; implicit-def: $vgpr5_vgpr6
	v_cmpx_ge_f64_e32 0x40200000, v[1:2]
	s_xor_b32 s2, exec_lo, s2
	s_cbranch_execz .LBB7_129
; %bb.128:
	s_delay_alu instid0(VALU_DEP_2)
	v_add_f64 v[5:6], v[3:4], -2.0
	s_mov_b32 s34, 0xc38a0576
	s_mov_b32 s35, 0xbc7857d0
	;; [unrolled: 1-line block ×4, first 2 shown]
	v_cmp_nlt_f64_e32 vcc_lo, 0x40900000, v[1:2]
	s_delay_alu instid0(VALU_DEP_2) | instskip(SKIP_3) | instid1(VALU_DEP_1)
	v_fma_f64 v[7:8], v[5:6], s[36:37], s[34:35]
	s_mov_b32 s37, 0xbc499f2a
	s_mov_b32 s34, 0xe593bfac
	;; [unrolled: 1-line block ×3, first 2 shown]
	v_fma_f64 v[10:11], v[5:6], v[7:8], s[36:37]
	s_mov_b32 s36, 0x6a5dcb37
	s_mov_b32 s37, 0x3e5ade15
	s_delay_alu instid0(VALU_DEP_1) | instskip(SKIP_2) | instid1(VALU_DEP_1)
	v_add_f64 v[10:11], v[10:11], s[34:35]
	s_mov_b32 s34, 0x7e0d1573
	s_mov_b32 s35, 0xbcd3eaaa
	v_fma_f64 v[7:8], v[5:6], v[10:11], -v[7:8]
	s_delay_alu instid0(VALU_DEP_1) | instskip(SKIP_2) | instid1(VALU_DEP_1)
	v_add_f64 v[7:8], v[7:8], s[34:35]
	s_mov_b32 s34, 0x615290c
	s_mov_b32 s35, 0x3d011d7f
	v_fma_f64 v[10:11], v[5:6], v[7:8], -v[10:11]
	;; [unrolled: 5-line block ×19, first 2 shown]
	s_delay_alu instid0(VALU_DEP_1) | instskip(SKIP_2) | instid1(SALU_CYCLE_1)
	v_add_f64 v[7:8], v[7:8], s[34:35]
	s_mov_b32 s34, 0x652b82fe
	s_mov_b32 s35, 0x3ff71547
	v_mul_f64 v[12:13], v[1:2], s[34:35]
	s_mov_b32 s34, 0x49d3a1b4
	s_mov_b32 s35, 0x3f710653
	s_delay_alu instid0(VALU_DEP_2) | instskip(NEXT) | instid1(VALU_DEP_2)
	v_fma_f64 v[10:11], v[5:6], v[7:8], -v[10:11]
	v_rndne_f64_e32 v[12:13], v[12:13]
	s_delay_alu instid0(VALU_DEP_2)
	v_add_f64 v[10:11], v[10:11], s[34:35]
	s_mov_b32 s34, 0xfefa39ef
	s_mov_b32 s35, 0xbfe62e42
	s_delay_alu instid0(VALU_DEP_2) | instid1(SALU_CYCLE_1)
	v_fma_f64 v[14:15], v[12:13], s[34:35], v[1:2]
	s_mov_b32 s34, 0x7913a26a
	s_mov_b32 s35, 0xbf85a29f
	s_delay_alu instid0(VALU_DEP_2) | instskip(NEXT) | instid1(VALU_DEP_1)
	v_fma_f64 v[7:8], v[5:6], v[10:11], -v[7:8]
	v_add_f64 v[7:8], v[7:8], s[34:35]
	s_mov_b32 s34, 0x3b39803f
	s_mov_b32 s35, 0xbc7abc9e
	s_delay_alu instid0(VALU_DEP_3) | instid1(SALU_CYCLE_1)
	v_fma_f64 v[14:15], v[12:13], s[34:35], v[14:15]
	s_mov_b32 s34, 0xfca7ab0c
	s_mov_b32 s35, 0x3e928af3
	s_delay_alu instid0(VALU_DEP_2) | instskip(NEXT) | instid1(VALU_DEP_2)
	v_fma_f64 v[10:11], v[5:6], v[7:8], -v[10:11]
	v_fma_f64 v[16:17], v[14:15], s[36:37], s[34:35]
	s_mov_b32 s34, 0xe7bb2349
	s_mov_b32 s35, 0x3f9951e3
	s_delay_alu instid0(VALU_DEP_2) | instid1(SALU_CYCLE_1)
	v_add_f64 v[10:11], v[10:11], s[34:35]
	s_mov_b32 s34, 0x623fde64
	s_mov_b32 s35, 0x3ec71dee
	s_delay_alu instid0(VALU_DEP_2) | instid1(SALU_CYCLE_1)
	v_fma_f64 v[16:17], v[14:15], v[16:17], s[34:35]
	s_mov_b32 s34, 0x7c89e6b0
	s_mov_b32 s35, 0x3efa0199
	s_delay_alu instid0(VALU_DEP_2) | instskip(NEXT) | instid1(VALU_DEP_2)
	v_fma_f64 v[7:8], v[5:6], v[10:11], -v[7:8]
	v_fma_f64 v[16:17], v[14:15], v[16:17], s[34:35]
	s_mov_b32 s34, 0x537c9ebc
	s_mov_b32 s35, 0xbfab1bbc
	s_delay_alu instid0(VALU_DEP_2) | instid1(SALU_CYCLE_1)
	v_add_f64 v[7:8], v[7:8], s[34:35]
	s_mov_b32 s34, 0x14761f6e
	s_mov_b32 s35, 0x3f2a01a0
	s_delay_alu instid0(VALU_DEP_2) | instid1(SALU_CYCLE_1)
	;; [unrolled: 13-line block ×4, first 2 shown]
	v_fma_f64 v[16:17], v[14:15], v[16:17], s[34:35]
	s_mov_b32 s34, 11
	s_mov_b32 s35, 0x3fe00000
	s_delay_alu instid0(VALU_DEP_2) | instskip(NEXT) | instid1(VALU_DEP_2)
	v_fma_f64 v[5:6], v[5:6], v[7:8], -v[10:11]
	v_fma_f64 v[7:8], v[14:15], v[16:17], s[34:35]
	s_mov_b32 s34, 0x724a7ffa
	s_mov_b32 s35, 0x3fd02a63
	s_delay_alu instid0(VALU_DEP_2) | instid1(SALU_CYCLE_1)
	v_add_f64 v[5:6], v[5:6], s[34:35]
	s_delay_alu instid0(VALU_DEP_2) | instskip(NEXT) | instid1(VALU_DEP_2)
	v_fma_f64 v[7:8], v[14:15], v[7:8], 1.0
	v_add_f64 v[5:6], v[5:6], -v[10:11]
	v_cvt_i32_f64_e32 v10, v[12:13]
	s_delay_alu instid0(VALU_DEP_3) | instskip(NEXT) | instid1(VALU_DEP_3)
	v_fma_f64 v[7:8], v[14:15], v[7:8], 1.0
	v_mul_f64 v[5:6], v[5:6], 0.5
	s_delay_alu instid0(VALU_DEP_2) | instskip(NEXT) | instid1(VALU_DEP_2)
	v_ldexp_f64 v[7:8], v[7:8], v10
	v_mul_f64 v[10:11], v[1:2], v[5:6]
	s_delay_alu instid0(VALU_DEP_2) | instskip(NEXT) | instid1(VALU_DEP_3)
	v_cndmask_b32_e32 v6, 0x7ff00000, v8, vcc_lo
	v_cndmask_b32_e32 v5, 0, v7, vcc_lo
	s_delay_alu instid0(VALU_DEP_1)
	v_mul_f64 v[7:8], v[5:6], v[10:11]
.LBB7_129:
	s_and_not1_saveexec_b32 s3, s2
	s_cbranch_execz .LBB7_131
; %bb.130:
	v_div_scale_f64 v[5:6], null, v[1:2], v[1:2], 0x40400000
	v_div_scale_f64 v[12:13], vcc_lo, 0x40400000, v[1:2], 0x40400000
	s_mov_b32 s34, 0xea87b950
	s_mov_b32 s35, 0x3c545b8a
	s_mov_b32 s37, 0x3c61556d
	s_mov_b32 s36, 0xb352e8e6
	v_cmp_nlt_f64_e64 s2, 0x40900000, v[1:2]
	s_delay_alu instid0(VALU_DEP_3) | instskip(SKIP_2) | instid1(VALU_DEP_1)
	v_rcp_f64_e32 v[7:8], v[5:6]
	s_waitcnt_depctr 0xfff
	v_fma_f64 v[10:11], -v[5:6], v[7:8], 1.0
	v_fma_f64 v[7:8], v[7:8], v[10:11], v[7:8]
	s_delay_alu instid0(VALU_DEP_1) | instskip(NEXT) | instid1(VALU_DEP_1)
	v_fma_f64 v[10:11], -v[5:6], v[7:8], 1.0
	v_fma_f64 v[7:8], v[7:8], v[10:11], v[7:8]
	s_delay_alu instid0(VALU_DEP_1) | instskip(NEXT) | instid1(VALU_DEP_1)
	v_mul_f64 v[10:11], v[12:13], v[7:8]
	v_fma_f64 v[5:6], -v[5:6], v[10:11], v[12:13]
	s_delay_alu instid0(VALU_DEP_1) | instskip(SKIP_1) | instid1(VALU_DEP_2)
	v_div_fmas_f64 v[5:6], v[5:6], v[7:8], v[10:11]
	v_cmp_gt_f64_e32 vcc_lo, 0x10000000, v[1:2]
	v_div_fixup_f64 v[5:6], v[5:6], v[1:2], 0x40400000
	v_cndmask_b32_e64 v18, 0, 1, vcc_lo
	s_delay_alu instid0(VALU_DEP_1) | instskip(NEXT) | instid1(VALU_DEP_1)
	v_lshlrev_b32_e32 v18, 8, v18
	v_ldexp_f64 v[18:19], v[1:2], v18
	s_delay_alu instid0(VALU_DEP_4) | instskip(NEXT) | instid1(VALU_DEP_2)
	v_add_f64 v[5:6], v[5:6], -2.0
	v_rsq_f64_e32 v[20:21], v[18:19]
	s_delay_alu instid0(VALU_DEP_1)
	v_fma_f64 v[7:8], v[5:6], s[36:37], s[34:35]
	s_mov_b32 s37, 0xbc61556d
	s_mov_b32 s34, 0xb2532277
	;; [unrolled: 1-line block ×3, first 2 shown]
	s_waitcnt_depctr 0xfff
	v_mul_f64 v[22:23], v[18:19], v[20:21]
	v_mul_f64 v[20:21], v[20:21], 0.5
	v_fma_f64 v[10:11], v[5:6], v[7:8], s[36:37]
	s_mov_b32 s36, 0x6a5dcb37
	s_mov_b32 s37, 0x3e5ade15
	s_delay_alu instid0(VALU_DEP_2) | instskip(NEXT) | instid1(VALU_DEP_2)
	v_fma_f64 v[24:25], -v[20:21], v[22:23], 0.5
	v_add_f64 v[10:11], v[10:11], s[34:35]
	s_mov_b32 s34, 0x9c773320
	s_mov_b32 s35, 0xbc82806c
	s_delay_alu instid0(VALU_DEP_2) | instskip(SKIP_1) | instid1(VALU_DEP_3)
	v_fma_f64 v[22:23], v[22:23], v[24:25], v[22:23]
	v_fma_f64 v[20:21], v[20:21], v[24:25], v[20:21]
	v_fma_f64 v[7:8], v[5:6], v[10:11], -v[7:8]
	s_delay_alu instid0(VALU_DEP_3) | instskip(NEXT) | instid1(VALU_DEP_2)
	v_fma_f64 v[24:25], -v[22:23], v[22:23], v[18:19]
	v_add_f64 v[7:8], v[7:8], s[34:35]
	s_mov_b32 s34, 0xfceb588a
	s_mov_b32 s35, 0x3cb55915
	s_delay_alu instid0(VALU_DEP_1) | instskip(NEXT) | instid1(VALU_DEP_1)
	v_fma_f64 v[10:11], v[5:6], v[7:8], -v[10:11]
	v_add_f64 v[10:11], v[10:11], s[34:35]
	s_mov_b32 s34, 0x5f04a2d1
	s_mov_b32 s35, 0x3cb7d68e
	s_delay_alu instid0(VALU_DEP_1) | instskip(NEXT) | instid1(VALU_DEP_1)
	v_fma_f64 v[7:8], v[5:6], v[10:11], -v[7:8]
	;; [unrolled: 5-line block ×14, first 2 shown]
	v_add_f64 v[7:8], v[7:8], s[34:35]
	s_mov_b32 s34, 0x652b82fe
	s_mov_b32 s35, 0x3ff71547
	s_delay_alu instid0(SALU_CYCLE_1) | instskip(SKIP_2) | instid1(VALU_DEP_2)
	v_mul_f64 v[12:13], v[1:2], s[34:35]
	s_mov_b32 s34, 0x9ad53528
	s_mov_b32 s35, 0xbe30790b
	v_fma_f64 v[10:11], v[5:6], v[7:8], -v[10:11]
	s_delay_alu instid0(VALU_DEP_2) | instskip(NEXT) | instid1(VALU_DEP_2)
	v_rndne_f64_e32 v[12:13], v[12:13]
	v_add_f64 v[10:11], v[10:11], s[34:35]
	s_mov_b32 s34, 0xfefa39ef
	s_mov_b32 s35, 0xbfe62e42
	s_delay_alu instid0(VALU_DEP_2) | instid1(SALU_CYCLE_1)
	v_fma_f64 v[14:15], v[12:13], s[34:35], v[1:2]
	s_mov_b32 s34, 0x3b39803f
	s_mov_b32 s35, 0xbc7abc9e
	s_delay_alu instid0(VALU_DEP_2) | instskip(NEXT) | instid1(VALU_DEP_2)
	v_fma_f64 v[7:8], v[5:6], v[10:11], -v[7:8]
	v_fma_f64 v[14:15], v[12:13], s[34:35], v[14:15]
	s_mov_b32 s34, 0x94bb46c1
	s_mov_b32 s35, 0xbe5c4153
	s_delay_alu instid0(VALU_DEP_2) | instid1(SALU_CYCLE_1)
	v_add_f64 v[7:8], v[7:8], s[34:35]
	s_mov_b32 s34, 0xfca7ab0c
	s_mov_b32 s35, 0x3e928af3
	s_delay_alu instid0(VALU_DEP_2) | instid1(SALU_CYCLE_1)
	v_fma_f64 v[16:17], v[14:15], s[36:37], s[34:35]
	s_mov_b32 s34, 0x623fde64
	s_mov_b32 s35, 0x3ec71dee
	s_delay_alu instid0(VALU_DEP_2) | instskip(NEXT) | instid1(VALU_DEP_2)
	v_fma_f64 v[10:11], v[5:6], v[7:8], -v[10:11]
	v_fma_f64 v[16:17], v[14:15], v[16:17], s[34:35]
	s_mov_b32 s34, 0x2e9e5443
	s_mov_b32 s35, 0xbe90dbfd
	s_delay_alu instid0(VALU_DEP_2) | instid1(SALU_CYCLE_1)
	;; [unrolled: 13-line block ×5, first 2 shown]
	v_add_f64 v[7:8], v[7:8], s[34:35]
	s_mov_b32 s34, 11
	s_mov_b32 s35, 0x3fe00000
	s_delay_alu instid0(VALU_DEP_2) | instid1(SALU_CYCLE_1)
	v_fma_f64 v[16:17], v[14:15], v[16:17], s[34:35]
	s_mov_b32 s34, 0xb55b1514
	s_mov_b32 s35, 0x3fe8ea18
	s_delay_alu instid0(VALU_DEP_2) | instskip(SKIP_2) | instid1(VALU_DEP_4)
	v_fma_f64 v[5:6], v[5:6], v[7:8], -v[10:11]
	v_fma_f64 v[7:8], v[24:25], v[20:21], v[22:23]
	v_cvt_i32_f64_e32 v22, v[12:13]
	v_fma_f64 v[16:17], v[14:15], v[16:17], 1.0
	s_delay_alu instid0(VALU_DEP_4) | instskip(NEXT) | instid1(VALU_DEP_4)
	v_add_f64 v[5:6], v[5:6], s[34:35]
	v_fma_f64 v[12:13], -v[7:8], v[7:8], v[18:19]
	s_delay_alu instid0(VALU_DEP_3) | instskip(NEXT) | instid1(VALU_DEP_3)
	v_fma_f64 v[14:15], v[14:15], v[16:17], 1.0
	v_add_f64 v[5:6], v[5:6], -v[10:11]
	s_delay_alu instid0(VALU_DEP_3) | instskip(NEXT) | instid1(VALU_DEP_3)
	v_fma_f64 v[7:8], v[12:13], v[20:21], v[7:8]
	v_ldexp_f64 v[10:11], v[14:15], v22
	s_delay_alu instid0(VALU_DEP_3) | instskip(SKIP_2) | instid1(VALU_DEP_4)
	v_mul_f64 v[12:13], v[5:6], 0.5
	v_cndmask_b32_e64 v5, 0, 0xffffff80, vcc_lo
	v_cmp_class_f64_e64 vcc_lo, v[18:19], 0x260
	v_cndmask_b32_e64 v6, 0x7ff00000, v11, s2
	s_delay_alu instid0(VALU_DEP_3) | instskip(SKIP_1) | instid1(VALU_DEP_1)
	v_ldexp_f64 v[7:8], v[7:8], v5
	v_cndmask_b32_e64 v5, 0, v10, s2
	v_mul_f64 v[10:11], v[5:6], v[12:13]
	s_delay_alu instid0(VALU_DEP_3) | instskip(NEXT) | instid1(VALU_DEP_1)
	v_dual_cndmask_b32 v8, v8, v19 :: v_dual_cndmask_b32 v7, v7, v18
	v_div_scale_f64 v[12:13], null, v[7:8], v[7:8], v[10:11]
	s_delay_alu instid0(VALU_DEP_1) | instskip(SKIP_2) | instid1(VALU_DEP_1)
	v_rcp_f64_e32 v[14:15], v[12:13]
	s_waitcnt_depctr 0xfff
	v_fma_f64 v[16:17], -v[12:13], v[14:15], 1.0
	v_fma_f64 v[14:15], v[14:15], v[16:17], v[14:15]
	s_delay_alu instid0(VALU_DEP_1) | instskip(NEXT) | instid1(VALU_DEP_1)
	v_fma_f64 v[16:17], -v[12:13], v[14:15], 1.0
	v_fma_f64 v[14:15], v[14:15], v[16:17], v[14:15]
	v_div_scale_f64 v[16:17], vcc_lo, v[10:11], v[7:8], v[10:11]
	s_delay_alu instid0(VALU_DEP_1) | instskip(NEXT) | instid1(VALU_DEP_1)
	v_mul_f64 v[18:19], v[16:17], v[14:15]
	v_fma_f64 v[12:13], -v[12:13], v[18:19], v[16:17]
	s_delay_alu instid0(VALU_DEP_1) | instskip(NEXT) | instid1(VALU_DEP_1)
	v_div_fmas_f64 v[12:13], v[12:13], v[14:15], v[18:19]
	v_div_fixup_f64 v[7:8], v[12:13], v[7:8], v[10:11]
.LBB7_131:
	s_or_b32 exec_lo, exec_lo, s3
	s_delay_alu instid0(VALU_DEP_2)
	v_frexp_mant_f64_e32 v[10:11], v[3:4]
	s_mov_b32 s3, 0x3fe55555
	s_mov_b32 s2, 0x55555555
	v_mov_b32_e32 v12, 0
	v_fma_f64 v[24:25], v[1:2], v[1:2], -2.0
	s_mov_b32 s34, 0x7a0399e0
	s_mov_b32 s35, 0xbce5dd51
	;; [unrolled: 1-line block ×4, first 2 shown]
	v_frexp_exp_i32_f64_e32 v28, v[3:4]
	s_delay_alu instid0(VALU_DEP_4) | instskip(SKIP_1) | instid1(VALU_DEP_3)
	v_cmp_gt_f64_e32 vcc_lo, s[2:3], v[10:11]
	s_mov_b32 s2, 0x55555780
	v_fma_f64 v[26:27], v[24:25], s[36:37], s[34:35]
	s_mov_b32 s37, 0x3c603228
	s_mov_b32 s34, 0xddd0e045
	;; [unrolled: 1-line block ×3, first 2 shown]
	v_cndmask_b32_e64 v13, 0x3ff00000, 2.0, vcc_lo
	s_delay_alu instid0(VALU_DEP_1) | instskip(NEXT) | instid1(VALU_DEP_1)
	v_mul_f64 v[10:11], v[10:11], v[12:13]
	v_add_f64 v[12:13], v[10:11], 1.0
	v_add_f64 v[18:19], v[10:11], -1.0
	s_delay_alu instid0(VALU_DEP_2) | instskip(SKIP_1) | instid1(VALU_DEP_1)
	v_rcp_f64_e32 v[14:15], v[12:13]
	v_add_f64 v[20:21], v[12:13], -1.0
	v_add_f64 v[10:11], v[10:11], -v[20:21]
	s_waitcnt_depctr 0xfff
	v_fma_f64 v[16:17], -v[12:13], v[14:15], 1.0
	s_delay_alu instid0(VALU_DEP_1) | instskip(NEXT) | instid1(VALU_DEP_1)
	v_fma_f64 v[14:15], v[16:17], v[14:15], v[14:15]
	v_fma_f64 v[16:17], -v[12:13], v[14:15], 1.0
	s_delay_alu instid0(VALU_DEP_1) | instskip(NEXT) | instid1(VALU_DEP_1)
	v_fma_f64 v[14:15], v[16:17], v[14:15], v[14:15]
	v_mul_f64 v[16:17], v[18:19], v[14:15]
	s_delay_alu instid0(VALU_DEP_1) | instskip(NEXT) | instid1(VALU_DEP_1)
	v_mul_f64 v[22:23], v[12:13], v[16:17]
	v_fma_f64 v[12:13], v[16:17], v[12:13], -v[22:23]
	s_delay_alu instid0(VALU_DEP_1) | instskip(NEXT) | instid1(VALU_DEP_1)
	v_fma_f64 v[10:11], v[16:17], v[10:11], v[12:13]
	v_add_f64 v[12:13], v[22:23], v[10:11]
	s_delay_alu instid0(VALU_DEP_1) | instskip(SKIP_1) | instid1(VALU_DEP_2)
	v_add_f64 v[20:21], v[18:19], -v[12:13]
	v_add_f64 v[22:23], v[12:13], -v[22:23]
	;; [unrolled: 1-line block ×3, first 2 shown]
	s_delay_alu instid0(VALU_DEP_2) | instskip(NEXT) | instid1(VALU_DEP_2)
	v_add_f64 v[10:11], v[22:23], -v[10:11]
	v_add_f64 v[12:13], v[18:19], -v[12:13]
	v_fma_f64 v[18:19], v[24:25], v[26:27], s[36:37]
	s_mov_b32 s36, 0xbf559e2b
	s_mov_b32 s37, 0x3fc3ab76
	s_delay_alu instid0(VALU_DEP_2) | instskip(NEXT) | instid1(VALU_DEP_2)
	v_add_f64 v[10:11], v[10:11], v[12:13]
	v_add_f64 v[12:13], v[18:19], s[34:35]
	s_mov_b32 s34, 0xb84626ca
	s_mov_b32 s35, 0xbde3663b
	s_delay_alu instid0(VALU_DEP_2) | instskip(NEXT) | instid1(VALU_DEP_2)
	v_add_f64 v[10:11], v[20:21], v[10:11]
	v_fma_f64 v[18:19], v[24:25], v[12:13], -v[26:27]
	s_delay_alu instid0(VALU_DEP_2) | instskip(NEXT) | instid1(VALU_DEP_2)
	v_mul_f64 v[10:11], v[14:15], v[10:11]
	v_add_f64 v[14:15], v[18:19], s[34:35]
	s_mov_b32 s34, 0x145c31d0
	s_mov_b32 s35, 0xbe57c41d
	s_delay_alu instid0(VALU_DEP_2) | instskip(NEXT) | instid1(VALU_DEP_2)
	v_add_f64 v[18:19], v[16:17], v[10:11]
	v_fma_f64 v[12:13], v[24:25], v[14:15], -v[12:13]
	s_delay_alu instid0(VALU_DEP_2) | instskip(NEXT) | instid1(VALU_DEP_2)
	v_mul_f64 v[20:21], v[18:19], v[18:19]
	v_add_f64 v[12:13], v[12:13], s[34:35]
	s_mov_b32 s34, 0x6b47b09a
	s_mov_b32 s35, 0x3fc38538
	v_add_f64 v[16:17], v[18:19], -v[16:17]
	s_delay_alu instid0(VALU_DEP_3) | instskip(NEXT) | instid1(VALU_DEP_3)
	v_fma_f64 v[22:23], v[20:21], s[36:37], s[34:35]
	v_fma_f64 v[14:15], v[24:25], v[12:13], -v[14:15]
	s_mov_b32 s34, 0xd7f4df2e
	s_mov_b32 s35, 0x3fc7474d
	v_mul_f64 v[26:27], v[18:19], v[20:21]
	s_delay_alu instid0(VALU_DEP_4) | instskip(NEXT) | instid1(VALU_DEP_4)
	v_add_f64 v[10:11], v[10:11], -v[16:17]
	v_fma_f64 v[22:23], v[20:21], v[22:23], s[34:35]
	s_mov_b32 s34, 0x2c832e3a
	s_mov_b32 s35, 0xbec469b3
	s_delay_alu instid0(VALU_DEP_4) | instid1(SALU_CYCLE_1)
	v_add_f64 v[14:15], v[14:15], s[34:35]
	s_mov_b32 s34, 0x16291751
	s_mov_b32 s35, 0x3fcc71c0
	s_delay_alu instid0(VALU_DEP_3) | instskip(NEXT) | instid1(VALU_DEP_3)
	v_ldexp_f64 v[10:11], v[10:11], 1
	v_fma_f64 v[22:23], v[20:21], v[22:23], s[34:35]
	s_mov_b32 s34, 0x9b27acf1
	s_mov_b32 s35, 0x3fd24924
	s_delay_alu instid0(VALU_DEP_3) | instskip(NEXT) | instid1(VALU_DEP_2)
	v_fma_f64 v[12:13], v[24:25], v[14:15], -v[12:13]
	v_fma_f64 v[22:23], v[20:21], v[22:23], s[34:35]
	s_mov_b32 s34, 0xe5a3bd02
	s_mov_b32 s35, 0xbf26ade2
	s_delay_alu instid0(VALU_DEP_2) | instid1(SALU_CYCLE_1)
	v_add_f64 v[12:13], v[12:13], s[34:35]
	s_mov_b32 s34, 0x998ef7b6
	s_mov_b32 s35, 0x3fd99999
	s_delay_alu instid0(VALU_DEP_2) | instid1(SALU_CYCLE_1)
	v_fma_f64 v[22:23], v[20:21], v[22:23], s[34:35]
	s_delay_alu instid0(VALU_DEP_2) | instskip(NEXT) | instid1(VALU_DEP_2)
	v_fma_f64 v[14:15], v[24:25], v[12:13], -v[14:15]
	v_fma_f64 v[20:21], v[20:21], v[22:23], s[2:3]
	s_mov_b32 s2, 0x9d7d4192
	s_mov_b32 s3, 0xbf7c9293
	v_ldexp_f64 v[22:23], v[18:19], 1
	s_delay_alu instid0(VALU_DEP_3) | instskip(SKIP_2) | instid1(VALU_DEP_3)
	v_add_f64 v[14:15], v[14:15], s[2:3]
	s_mov_b32 s2, 0x43c1db74
	s_mov_b32 s3, 0xbfbf6372
	v_mul_f64 v[20:21], v[26:27], v[20:21]
	v_subrev_co_ci_u32_e32 v26, vcc_lo, 0, v28, vcc_lo
	s_delay_alu instid0(VALU_DEP_3) | instskip(NEXT) | instid1(VALU_DEP_2)
	v_fma_f64 v[12:13], v[24:25], v[14:15], -v[12:13]
	v_cvt_f64_i32_e32 v[26:27], v26
	s_delay_alu instid0(VALU_DEP_4) | instskip(NEXT) | instid1(VALU_DEP_3)
	v_add_f64 v[18:19], v[22:23], v[20:21]
	v_add_f64 v[12:13], v[12:13], s[2:3]
	s_mov_b32 s2, 0xfefa39ef
	s_mov_b32 s3, 0x3fe62e42
	s_delay_alu instid0(VALU_DEP_3) | instid1(SALU_CYCLE_1)
	v_mul_f64 v[28:29], v[26:27], s[2:3]
	s_delay_alu instid0(VALU_DEP_3) | instskip(NEXT) | instid1(VALU_DEP_3)
	v_add_f64 v[16:17], v[18:19], -v[22:23]
	v_fma_f64 v[14:15], v[24:25], v[12:13], -v[14:15]
	s_delay_alu instid0(VALU_DEP_3) | instskip(SKIP_2) | instid1(VALU_DEP_3)
	v_fma_f64 v[22:23], v[26:27], s[2:3], -v[28:29]
	s_mov_b32 s2, 0x757b0dd4
	s_mov_b32 s3, 0xbfd69a1b
	v_add_f64 v[16:17], v[20:21], -v[16:17]
	s_delay_alu instid0(VALU_DEP_3)
	v_add_f64 v[14:15], v[14:15], s[2:3]
	s_mov_b32 s2, 0x3b39803f
	s_mov_b32 s3, 0x3c7abc9e
	s_delay_alu instid0(VALU_DEP_3) | instid1(SALU_CYCLE_1)
	v_fma_f64 v[20:21], v[26:27], s[2:3], v[22:23]
	s_mov_b32 s2, 0x361008ca
	s_mov_b32 s3, 0x3ff867a1
	s_delay_alu instid0(VALU_DEP_3) | instskip(NEXT) | instid1(VALU_DEP_3)
	v_add_f64 v[10:11], v[10:11], v[16:17]
	v_fma_f64 v[14:15], v[24:25], v[14:15], -v[12:13]
	s_delay_alu instid0(VALU_DEP_3) | instskip(NEXT) | instid1(VALU_DEP_3)
	v_add_f64 v[16:17], v[28:29], v[20:21]
	v_add_f64 v[22:23], v[18:19], v[10:11]
	s_delay_alu instid0(VALU_DEP_3) | instskip(SKIP_1) | instid1(VALU_DEP_4)
	v_add_f64 v[14:15], v[14:15], s[2:3]
	v_cmp_eq_f64_e64 s2, 0x7ff00000, v[3:4]
	v_add_f64 v[26:27], v[16:17], -v[28:29]
	s_delay_alu instid0(VALU_DEP_4) | instskip(SKIP_2) | instid1(VALU_DEP_4)
	v_add_f64 v[24:25], v[16:17], v[22:23]
	v_add_f64 v[18:19], v[22:23], -v[18:19]
	v_add_f64 v[12:13], v[14:15], -v[12:13]
	v_add_f64 v[20:21], v[20:21], -v[26:27]
	s_delay_alu instid0(VALU_DEP_4) | instskip(NEXT) | instid1(VALU_DEP_4)
	v_add_f64 v[14:15], v[24:25], -v[16:17]
	v_add_f64 v[10:11], v[10:11], -v[18:19]
	s_delay_alu instid0(VALU_DEP_4) | instskip(NEXT) | instid1(VALU_DEP_3)
	v_mul_f64 v[12:13], v[12:13], 0.5
	v_add_f64 v[28:29], v[24:25], -v[14:15]
	v_add_f64 v[14:15], v[22:23], -v[14:15]
	s_delay_alu instid0(VALU_DEP_4) | instskip(NEXT) | instid1(VALU_DEP_4)
	v_add_f64 v[22:23], v[20:21], v[10:11]
	v_div_scale_f64 v[30:31], null, v[1:2], v[1:2], v[12:13]
	s_delay_alu instid0(VALU_DEP_4) | instskip(NEXT) | instid1(VALU_DEP_3)
	v_add_f64 v[16:17], v[16:17], -v[28:29]
	v_add_f64 v[26:27], v[22:23], -v[20:21]
	s_delay_alu instid0(VALU_DEP_3) | instskip(NEXT) | instid1(VALU_DEP_2)
	v_rcp_f64_e32 v[18:19], v[30:31]
	v_add_f64 v[14:15], v[14:15], v[16:17]
	s_delay_alu instid0(VALU_DEP_2) | instskip(SKIP_3) | instid1(VALU_DEP_2)
	v_add_f64 v[10:11], v[10:11], -v[26:27]
	s_waitcnt_depctr 0xfff
	v_fma_f64 v[16:17], -v[30:31], v[18:19], 1.0
	v_add_f64 v[14:15], v[22:23], v[14:15]
	v_fma_f64 v[16:17], v[18:19], v[16:17], v[18:19]
	v_add_f64 v[18:19], v[22:23], -v[26:27]
	s_delay_alu instid0(VALU_DEP_3) | instskip(NEXT) | instid1(VALU_DEP_3)
	v_add_f64 v[22:23], v[24:25], v[14:15]
	v_fma_f64 v[28:29], -v[30:31], v[16:17], 1.0
	s_delay_alu instid0(VALU_DEP_3) | instskip(NEXT) | instid1(VALU_DEP_3)
	v_add_f64 v[18:19], v[20:21], -v[18:19]
	v_add_f64 v[20:21], v[22:23], -v[24:25]
	v_div_scale_f64 v[24:25], vcc_lo, v[12:13], v[1:2], v[12:13]
	s_delay_alu instid0(VALU_DEP_4) | instskip(NEXT) | instid1(VALU_DEP_4)
	v_fma_f64 v[16:17], v[16:17], v[28:29], v[16:17]
	v_add_f64 v[10:11], v[10:11], v[18:19]
	s_delay_alu instid0(VALU_DEP_4) | instskip(NEXT) | instid1(VALU_DEP_3)
	v_add_f64 v[14:15], v[14:15], -v[20:21]
	v_mul_f64 v[18:19], v[24:25], v[16:17]
	s_delay_alu instid0(VALU_DEP_2) | instskip(NEXT) | instid1(VALU_DEP_2)
	v_add_f64 v[10:11], v[10:11], v[14:15]
	v_fma_f64 v[14:15], -v[30:31], v[18:19], v[24:25]
	s_delay_alu instid0(VALU_DEP_2) | instskip(NEXT) | instid1(VALU_DEP_2)
	v_add_f64 v[10:11], v[22:23], v[10:11]
	v_div_fmas_f64 v[14:15], v[14:15], v[16:17], v[18:19]
	v_cmp_neq_f64_e32 vcc_lo, 0, v[3:4]
	s_delay_alu instid0(VALU_DEP_3) | instskip(NEXT) | instid1(VALU_DEP_4)
	v_cndmask_b32_e64 v10, v10, v3, s2
	v_cndmask_b32_e64 v11, v11, v4, s2
	s_delay_alu instid0(VALU_DEP_4) | instskip(NEXT) | instid1(VALU_DEP_3)
	v_div_fixup_f64 v[1:2], v[14:15], v[1:2], v[12:13]
	v_cndmask_b32_e32 v3, 0, v10, vcc_lo
	s_delay_alu instid0(VALU_DEP_3) | instskip(NEXT) | instid1(VALU_DEP_1)
	v_cndmask_b32_e32 v4, 0xfff00000, v11, vcc_lo
	v_fma_f64 v[1:2], v[3:4], v[7:8], v[1:2]
	s_delay_alu instid0(VALU_DEP_1)
	v_mul_f64 v[3:4], v[5:6], v[1:2]
                                        ; implicit-def: $vgpr1_vgpr2
.LBB7_132:
	s_and_not1_saveexec_b32 s2, s31
	s_cbranch_execz .LBB7_134
; %bb.133:
	v_div_scale_f64 v[3:4], null, v[1:2], v[1:2], 0x40200000
	v_div_scale_f64 v[10:11], vcc_lo, 0x40200000, v[1:2], 0x40200000
	s_mov_b32 s34, 0x838f5ed3
	s_mov_b32 s35, 0x3c74af1a
	;; [unrolled: 1-line block ×4, first 2 shown]
	s_delay_alu instid0(VALU_DEP_2) | instskip(SKIP_2) | instid1(VALU_DEP_1)
	v_rcp_f64_e32 v[5:6], v[3:4]
	s_waitcnt_depctr 0xfff
	v_fma_f64 v[7:8], -v[3:4], v[5:6], 1.0
	v_fma_f64 v[5:6], v[5:6], v[7:8], v[5:6]
	s_delay_alu instid0(VALU_DEP_1) | instskip(NEXT) | instid1(VALU_DEP_1)
	v_fma_f64 v[7:8], -v[3:4], v[5:6], 1.0
	v_fma_f64 v[5:6], v[5:6], v[7:8], v[5:6]
	s_delay_alu instid0(VALU_DEP_1) | instskip(NEXT) | instid1(VALU_DEP_1)
	v_mul_f64 v[7:8], v[10:11], v[5:6]
	v_fma_f64 v[3:4], -v[3:4], v[7:8], v[10:11]
	s_delay_alu instid0(VALU_DEP_1) | instskip(SKIP_1) | instid1(VALU_DEP_2)
	v_div_fmas_f64 v[3:4], v[3:4], v[5:6], v[7:8]
	v_cmp_gt_f64_e32 vcc_lo, 0x10000000, v[1:2]
	v_div_fixup_f64 v[3:4], v[3:4], v[1:2], 0x40200000
	v_cndmask_b32_e64 v10, 0, 1, vcc_lo
	s_delay_alu instid0(VALU_DEP_1) | instskip(NEXT) | instid1(VALU_DEP_1)
	v_lshlrev_b32_e32 v10, 8, v10
	v_ldexp_f64 v[1:2], v[1:2], v10
	s_delay_alu instid0(VALU_DEP_4) | instskip(NEXT) | instid1(VALU_DEP_2)
	v_add_f64 v[3:4], v[3:4], -2.0
	v_rsq_f64_e32 v[10:11], v[1:2]
	s_delay_alu instid0(VALU_DEP_1)
	v_fma_f64 v[5:6], v[3:4], s[36:37], s[34:35]
	s_mov_b32 s37, 0x3c5a8c5d
	s_mov_b32 s34, 0x17771d52
	;; [unrolled: 1-line block ×3, first 2 shown]
	s_waitcnt_depctr 0xfff
	v_mul_f64 v[12:13], v[1:2], v[10:11]
	v_mul_f64 v[10:11], v[10:11], 0.5
	v_fma_f64 v[7:8], v[3:4], v[5:6], s[36:37]
	s_delay_alu instid0(VALU_DEP_2) | instskip(NEXT) | instid1(VALU_DEP_2)
	v_fma_f64 v[14:15], -v[10:11], v[12:13], 0.5
	v_add_f64 v[7:8], v[7:8], s[34:35]
	s_mov_b32 s34, 0x44ee2c0b
	s_mov_b32 s35, 0x3caa7d5e
	s_delay_alu instid0(VALU_DEP_2) | instskip(SKIP_1) | instid1(VALU_DEP_3)
	v_fma_f64 v[12:13], v[12:13], v[14:15], v[12:13]
	v_fma_f64 v[10:11], v[10:11], v[14:15], v[10:11]
	v_fma_f64 v[5:6], v[3:4], v[7:8], -v[5:6]
	s_delay_alu instid0(VALU_DEP_3) | instskip(NEXT) | instid1(VALU_DEP_2)
	v_fma_f64 v[14:15], -v[12:13], v[12:13], v[1:2]
	v_add_f64 v[5:6], v[5:6], s[34:35]
	s_mov_b32 s34, 0xd8758ef2
	s_mov_b32 s35, 0xbcc5d2a3
	s_delay_alu instid0(VALU_DEP_2) | instskip(NEXT) | instid1(VALU_DEP_2)
	v_fma_f64 v[12:13], v[14:15], v[10:11], v[12:13]
	v_fma_f64 v[7:8], v[3:4], v[5:6], -v[7:8]
	s_delay_alu instid0(VALU_DEP_1) | instskip(SKIP_2) | instid1(VALU_DEP_1)
	v_add_f64 v[7:8], v[7:8], s[34:35]
	s_mov_b32 s34, 0xefee81bd
	s_mov_b32 s35, 0x3ce25ced
	v_fma_f64 v[5:6], v[3:4], v[7:8], -v[5:6]
	s_delay_alu instid0(VALU_DEP_1) | instskip(SKIP_2) | instid1(VALU_DEP_1)
	v_add_f64 v[5:6], v[5:6], s[34:35]
	s_mov_b32 s34, 0x364185ab
	s_mov_b32 s35, 0xbcff9d52
	;; [unrolled: 5-line block ×20, first 2 shown]
	v_fma_f64 v[3:4], v[3:4], v[5:6], -v[7:8]
	v_fma_f64 v[5:6], -v[12:13], v[12:13], v[1:2]
	s_delay_alu instid0(VALU_DEP_2) | instskip(NEXT) | instid1(VALU_DEP_2)
	v_add_f64 v[3:4], v[3:4], s[34:35]
	v_fma_f64 v[5:6], v[5:6], v[10:11], v[12:13]
	s_delay_alu instid0(VALU_DEP_2) | instskip(SKIP_2) | instid1(VALU_DEP_2)
	v_add_f64 v[3:4], v[3:4], -v[7:8]
	v_cndmask_b32_e64 v7, 0, 0xffffff80, vcc_lo
	v_cmp_class_f64_e64 vcc_lo, v[1:2], 0x260
	v_ldexp_f64 v[5:6], v[5:6], v7
	s_delay_alu instid0(VALU_DEP_4) | instskip(NEXT) | instid1(VALU_DEP_2)
	v_mul_f64 v[3:4], v[3:4], 0.5
	v_dual_cndmask_b32 v1, v5, v1 :: v_dual_cndmask_b32 v2, v6, v2
	s_delay_alu instid0(VALU_DEP_1) | instskip(NEXT) | instid1(VALU_DEP_1)
	v_div_scale_f64 v[5:6], null, v[1:2], v[1:2], v[3:4]
	v_rcp_f64_e32 v[7:8], v[5:6]
	s_waitcnt_depctr 0xfff
	v_fma_f64 v[10:11], -v[5:6], v[7:8], 1.0
	s_delay_alu instid0(VALU_DEP_1) | instskip(NEXT) | instid1(VALU_DEP_1)
	v_fma_f64 v[7:8], v[7:8], v[10:11], v[7:8]
	v_fma_f64 v[10:11], -v[5:6], v[7:8], 1.0
	s_delay_alu instid0(VALU_DEP_1) | instskip(SKIP_1) | instid1(VALU_DEP_1)
	v_fma_f64 v[7:8], v[7:8], v[10:11], v[7:8]
	v_div_scale_f64 v[10:11], vcc_lo, v[3:4], v[1:2], v[3:4]
	v_mul_f64 v[12:13], v[10:11], v[7:8]
	s_delay_alu instid0(VALU_DEP_1) | instskip(NEXT) | instid1(VALU_DEP_1)
	v_fma_f64 v[5:6], -v[5:6], v[12:13], v[10:11]
	v_div_fmas_f64 v[5:6], v[5:6], v[7:8], v[12:13]
	s_delay_alu instid0(VALU_DEP_1)
	v_div_fixup_f64 v[3:4], v[5:6], v[1:2], v[3:4]
.LBB7_134:
	s_or_b32 exec_lo, exec_lo, s2
.LBB7_135:
	s_delay_alu instid0(SALU_CYCLE_1)
	s_or_b32 exec_lo, exec_lo, s21
.LBB7_136:
	s_delay_alu instid0(SALU_CYCLE_1) | instskip(SKIP_3) | instid1(SALU_CYCLE_1)
	s_or_b32 exec_lo, exec_lo, s20
	v_add_nc_u32_e32 v9, 0x80, v9
	global_store_b64 v0, v[3:4], s[4:5]
	s_or_b32 exec_lo, exec_lo, s30
	s_mov_b32 s30, exec_lo
	v_cmpx_gt_i32_e64 s27, v9
	s_cbranch_execnz .LBB7_15
.LBB7_137:
	s_or_b32 exec_lo, exec_lo, s30
	s_delay_alu instid0(SALU_CYCLE_1)
	s_mov_b32 s30, exec_lo
	v_cmpx_gt_i32_e64 s27, v9
	s_cbranch_execz .LBB7_164
.LBB7_138:
	s_and_not1_b32 vcc_lo, exec_lo, s24
	s_cbranch_vccnz .LBB7_143
; %bb.139:
	v_dual_mov_b32 v0, 0 :: v_dual_mov_b32 v1, 0
	s_and_not1_b32 vcc_lo, exec_lo, s29
	s_mov_b32 s31, 0
	s_cbranch_vccnz .LBB7_171
; %bb.140:
	v_mov_b32_e32 v0, 0
	s_add_i32 s34, s28, 1
	s_cmp_eq_u32 s23, 2
	s_mov_b32 s33, 0
	s_cbranch_scc1 .LBB7_167
; %bb.141:
	v_dual_mov_b32 v1, 0 :: v_dual_mov_b32 v0, 0
	v_mov_b32_e32 v2, v9
	s_and_b32 s33, s34, 28
	s_mov_b32 s35, 0
	s_mov_b64 s[2:3], s[18:19]
	s_mov_b64 s[20:21], s[0:1]
.LBB7_142:                              ; =>This Inner Loop Header: Depth=1
	s_clause 0x1
	s_load_b256 s[36:43], s[20:21], 0x4
	s_load_b128 s[52:55], s[20:21], 0x24
	s_load_b256 s[44:51], s[2:3], 0x0
	s_add_u32 s20, s20, 48
	s_addc_u32 s21, s21, 0
	s_add_i32 s35, s35, 4
	s_add_u32 s2, s2, 32
	s_addc_u32 s3, s3, 0
	s_cmp_eq_u32 s33, s35
	s_waitcnt lgkmcnt(0)
	v_mul_hi_u32 v3, s37, v2
	s_delay_alu instid0(VALU_DEP_1) | instskip(NEXT) | instid1(VALU_DEP_1)
	v_add_nc_u32_e32 v3, v2, v3
	v_lshrrev_b32_e32 v3, s38, v3
	s_delay_alu instid0(VALU_DEP_1) | instskip(SKIP_1) | instid1(VALU_DEP_2)
	v_mul_hi_u32 v4, s40, v3
	v_mul_lo_u32 v6, v3, s36
	v_add_nc_u32_e32 v4, v3, v4
	s_delay_alu instid0(VALU_DEP_2) | instskip(NEXT) | instid1(VALU_DEP_2)
	v_sub_nc_u32_e32 v2, v2, v6
	v_lshrrev_b32_e32 v4, s41, v4
	s_delay_alu instid0(VALU_DEP_2) | instskip(SKIP_1) | instid1(VALU_DEP_3)
	v_mul_lo_u32 v6, v2, s44
	v_mul_lo_u32 v8, v2, s45
	v_mul_hi_u32 v5, s43, v4
	s_delay_alu instid0(VALU_DEP_1) | instskip(NEXT) | instid1(VALU_DEP_1)
	v_add_nc_u32_e32 v5, v4, v5
	v_lshrrev_b32_e32 v5, s52, v5
	s_delay_alu instid0(VALU_DEP_1) | instskip(SKIP_1) | instid1(VALU_DEP_2)
	v_mul_hi_u32 v7, s54, v5
	v_mul_lo_u32 v10, v5, s42
	v_add_nc_u32_e32 v2, v5, v7
	v_mul_lo_u32 v7, v4, s39
	s_delay_alu instid0(VALU_DEP_3) | instskip(NEXT) | instid1(VALU_DEP_3)
	v_sub_nc_u32_e32 v4, v4, v10
	v_lshrrev_b32_e32 v2, s55, v2
	s_delay_alu instid0(VALU_DEP_2) | instskip(SKIP_2) | instid1(VALU_DEP_4)
	v_mul_lo_u32 v10, v4, s48
	v_mul_lo_u32 v4, v4, s49
	v_sub_nc_u32_e32 v3, v3, v7
	v_mul_lo_u32 v11, v2, s53
	s_delay_alu instid0(VALU_DEP_2) | instskip(SKIP_1) | instid1(VALU_DEP_3)
	v_mul_lo_u32 v7, v3, s46
	v_mul_lo_u32 v3, v3, s47
	v_sub_nc_u32_e32 v5, v5, v11
	s_delay_alu instid0(VALU_DEP_3) | instskip(NEXT) | instid1(VALU_DEP_2)
	v_add3_u32 v0, v6, v0, v7
	v_mul_lo_u32 v11, v5, s50
	v_mul_lo_u32 v5, v5, s51
	v_add3_u32 v1, v8, v1, v3
	s_delay_alu instid0(VALU_DEP_3) | instskip(NEXT) | instid1(VALU_DEP_2)
	v_add3_u32 v0, v10, v0, v11
	v_add3_u32 v1, v4, v1, v5
	s_cbranch_scc0 .LBB7_142
	s_branch .LBB7_168
.LBB7_143:
	s_mov_b32 s31, -1
                                        ; implicit-def: $vgpr0
                                        ; implicit-def: $vgpr1
	s_branch .LBB7_171
.LBB7_144:
	v_dual_mov_b32 v2, v9 :: v_dual_mov_b32 v1, 0
.LBB7_145:
	s_and_b32 s34, s34, 3
	s_delay_alu instid0(SALU_CYCLE_1)
	s_cmp_eq_u32 s34, 0
	s_cbranch_scc1 .LBB7_148
; %bb.146:
	s_lshl_b32 s2, s33, 3
	s_mul_i32 s20, s33, 12
	s_add_u32 s2, s2, s0
	s_addc_u32 s3, s1, 0
	s_add_u32 s2, s2, 0xc4
	s_addc_u32 s3, s3, 0
	;; [unrolled: 2-line block ×3, first 2 shown]
	.p2align	6
.LBB7_147:                              ; =>This Inner Loop Header: Depth=1
	s_clause 0x1
	s_load_b64 s[36:37], s[20:21], 0x4
	s_load_b32 s33, s[20:21], 0xc
	s_load_b64 s[38:39], s[2:3], 0x0
	s_add_u32 s20, s20, 12
	s_addc_u32 s21, s21, 0
	s_add_u32 s2, s2, 8
	s_addc_u32 s3, s3, 0
	s_add_i32 s34, s34, -1
	s_delay_alu instid0(SALU_CYCLE_1) | instskip(SKIP_2) | instid1(VALU_DEP_1)
	s_cmp_lg_u32 s34, 0
	s_waitcnt lgkmcnt(0)
	v_mul_hi_u32 v3, s37, v2
	v_add_nc_u32_e32 v3, v2, v3
	s_delay_alu instid0(VALU_DEP_1) | instskip(NEXT) | instid1(VALU_DEP_1)
	v_lshrrev_b32_e32 v6, s33, v3
	v_mul_lo_u32 v3, v6, s36
	s_delay_alu instid0(VALU_DEP_1) | instskip(NEXT) | instid1(VALU_DEP_1)
	v_sub_nc_u32_e32 v2, v2, v3
	v_mad_u64_u32 v[3:4], null, v2, s38, v[0:1]
	v_mad_u64_u32 v[4:5], null, v2, s39, v[1:2]
	v_mov_b32_e32 v2, v6
	s_delay_alu instid0(VALU_DEP_2)
	v_dual_mov_b32 v0, v3 :: v_dual_mov_b32 v1, v4
	s_cbranch_scc1 .LBB7_147
.LBB7_148:
	s_and_not1_b32 vcc_lo, exec_lo, s31
	s_cbranch_vccnz .LBB7_151
; %bb.149:
	s_waitcnt lgkmcnt(0)
	v_mul_hi_u32 v0, s13, v9
	s_and_not1_b32 vcc_lo, exec_lo, s26
	s_delay_alu instid0(VALU_DEP_1) | instskip(NEXT) | instid1(VALU_DEP_1)
	v_add_nc_u32_e32 v0, v9, v0
	v_lshrrev_b32_e32 v2, s14, v0
	s_delay_alu instid0(VALU_DEP_1) | instskip(NEXT) | instid1(VALU_DEP_1)
	v_mul_lo_u32 v0, v2, s12
	v_sub_nc_u32_e32 v1, v9, v0
	s_delay_alu instid0(VALU_DEP_1)
	v_mul_lo_u32 v0, v1, s8
	v_mul_lo_u32 v1, v1, s9
	s_cbranch_vccnz .LBB7_151
; %bb.150:
	v_mul_hi_u32 v3, s16, v2
	s_delay_alu instid0(VALU_DEP_1) | instskip(NEXT) | instid1(VALU_DEP_1)
	v_add_nc_u32_e32 v3, v2, v3
	v_lshrrev_b32_e32 v3, s17, v3
	s_delay_alu instid0(VALU_DEP_1) | instskip(NEXT) | instid1(VALU_DEP_1)
	v_mul_lo_u32 v3, v3, s15
	v_sub_nc_u32_e32 v5, v2, v3
	s_delay_alu instid0(VALU_DEP_1) | instskip(NEXT) | instid1(VALU_DEP_1)
	v_mad_u64_u32 v[2:3], null, v5, s10, v[0:1]
	v_mad_u64_u32 v[3:4], null, v5, s11, v[1:2]
	s_delay_alu instid0(VALU_DEP_1)
	v_dual_mov_b32 v0, v2 :: v_dual_mov_b32 v1, v3
.LBB7_151:
	s_waitcnt lgkmcnt(0)
	global_load_b64 v[1:2], v1, s[6:7]
	v_mov_b32_e32 v3, 0
	v_mov_b32_e32 v4, 0x7ff00000
	s_mov_b32 s20, exec_lo
	s_waitcnt vmcnt(0)
	v_cmpx_neq_f64_e32 0, v[1:2]
	s_cbranch_execz .LBB7_163
; %bb.152:
	v_mov_b32_e32 v3, 0
	v_mov_b32_e32 v4, 0x7ff80000
	s_mov_b32 s21, exec_lo
	v_cmpx_ngt_f64_e32 0, v[1:2]
	s_cbranch_execz .LBB7_162
; %bb.153:
                                        ; implicit-def: $vgpr3_vgpr4
	s_mov_b32 s2, exec_lo
	v_cmpx_ge_f64_e32 2.0, v[1:2]
	s_xor_b32 s31, exec_lo, s2
	s_cbranch_execz .LBB7_159
; %bb.154:
	v_mul_f64 v[3:4], v[1:2], 0.5
	s_mov_b32 s2, exec_lo
                                        ; implicit-def: $vgpr7_vgpr8
                                        ; implicit-def: $vgpr5_vgpr6
	v_cmpx_ge_f64_e32 0x40200000, v[1:2]
	s_xor_b32 s2, exec_lo, s2
	s_cbranch_execz .LBB7_156
; %bb.155:
	s_delay_alu instid0(VALU_DEP_2)
	v_add_f64 v[5:6], v[3:4], -2.0
	s_mov_b32 s34, 0xc38a0576
	s_mov_b32 s35, 0xbc7857d0
	;; [unrolled: 1-line block ×4, first 2 shown]
	v_cmp_nlt_f64_e32 vcc_lo, 0x40900000, v[1:2]
	s_delay_alu instid0(VALU_DEP_2) | instskip(SKIP_3) | instid1(VALU_DEP_1)
	v_fma_f64 v[7:8], v[5:6], s[36:37], s[34:35]
	s_mov_b32 s37, 0xbc499f2a
	s_mov_b32 s34, 0xe593bfac
	;; [unrolled: 1-line block ×3, first 2 shown]
	v_fma_f64 v[10:11], v[5:6], v[7:8], s[36:37]
	s_mov_b32 s36, 0x6a5dcb37
	s_mov_b32 s37, 0x3e5ade15
	s_delay_alu instid0(VALU_DEP_1) | instskip(SKIP_2) | instid1(VALU_DEP_1)
	v_add_f64 v[10:11], v[10:11], s[34:35]
	s_mov_b32 s34, 0x7e0d1573
	s_mov_b32 s35, 0xbcd3eaaa
	v_fma_f64 v[7:8], v[5:6], v[10:11], -v[7:8]
	s_delay_alu instid0(VALU_DEP_1) | instskip(SKIP_2) | instid1(VALU_DEP_1)
	v_add_f64 v[7:8], v[7:8], s[34:35]
	s_mov_b32 s34, 0x615290c
	s_mov_b32 s35, 0x3d011d7f
	v_fma_f64 v[10:11], v[5:6], v[7:8], -v[10:11]
	;; [unrolled: 5-line block ×19, first 2 shown]
	s_delay_alu instid0(VALU_DEP_1) | instskip(SKIP_2) | instid1(SALU_CYCLE_1)
	v_add_f64 v[7:8], v[7:8], s[34:35]
	s_mov_b32 s34, 0x652b82fe
	s_mov_b32 s35, 0x3ff71547
	v_mul_f64 v[12:13], v[1:2], s[34:35]
	s_mov_b32 s34, 0x49d3a1b4
	s_mov_b32 s35, 0x3f710653
	s_delay_alu instid0(VALU_DEP_2) | instskip(NEXT) | instid1(VALU_DEP_2)
	v_fma_f64 v[10:11], v[5:6], v[7:8], -v[10:11]
	v_rndne_f64_e32 v[12:13], v[12:13]
	s_delay_alu instid0(VALU_DEP_2)
	v_add_f64 v[10:11], v[10:11], s[34:35]
	s_mov_b32 s34, 0xfefa39ef
	s_mov_b32 s35, 0xbfe62e42
	s_delay_alu instid0(VALU_DEP_2) | instid1(SALU_CYCLE_1)
	v_fma_f64 v[14:15], v[12:13], s[34:35], v[1:2]
	s_mov_b32 s34, 0x7913a26a
	s_mov_b32 s35, 0xbf85a29f
	s_delay_alu instid0(VALU_DEP_2) | instskip(NEXT) | instid1(VALU_DEP_1)
	v_fma_f64 v[7:8], v[5:6], v[10:11], -v[7:8]
	v_add_f64 v[7:8], v[7:8], s[34:35]
	s_mov_b32 s34, 0x3b39803f
	s_mov_b32 s35, 0xbc7abc9e
	s_delay_alu instid0(VALU_DEP_3) | instid1(SALU_CYCLE_1)
	v_fma_f64 v[14:15], v[12:13], s[34:35], v[14:15]
	s_mov_b32 s34, 0xfca7ab0c
	s_mov_b32 s35, 0x3e928af3
	s_delay_alu instid0(VALU_DEP_2) | instskip(NEXT) | instid1(VALU_DEP_2)
	v_fma_f64 v[10:11], v[5:6], v[7:8], -v[10:11]
	v_fma_f64 v[16:17], v[14:15], s[36:37], s[34:35]
	s_mov_b32 s34, 0xe7bb2349
	s_mov_b32 s35, 0x3f9951e3
	s_delay_alu instid0(VALU_DEP_2) | instid1(SALU_CYCLE_1)
	v_add_f64 v[10:11], v[10:11], s[34:35]
	s_mov_b32 s34, 0x623fde64
	s_mov_b32 s35, 0x3ec71dee
	s_delay_alu instid0(VALU_DEP_2) | instid1(SALU_CYCLE_1)
	v_fma_f64 v[16:17], v[14:15], v[16:17], s[34:35]
	s_mov_b32 s34, 0x7c89e6b0
	s_mov_b32 s35, 0x3efa0199
	s_delay_alu instid0(VALU_DEP_2) | instskip(NEXT) | instid1(VALU_DEP_2)
	v_fma_f64 v[7:8], v[5:6], v[10:11], -v[7:8]
	v_fma_f64 v[16:17], v[14:15], v[16:17], s[34:35]
	s_mov_b32 s34, 0x537c9ebc
	s_mov_b32 s35, 0xbfab1bbc
	s_delay_alu instid0(VALU_DEP_2) | instid1(SALU_CYCLE_1)
	v_add_f64 v[7:8], v[7:8], s[34:35]
	s_mov_b32 s34, 0x14761f6e
	s_mov_b32 s35, 0x3f2a01a0
	s_delay_alu instid0(VALU_DEP_2) | instid1(SALU_CYCLE_1)
	;; [unrolled: 13-line block ×4, first 2 shown]
	v_fma_f64 v[16:17], v[14:15], v[16:17], s[34:35]
	s_mov_b32 s34, 11
	s_mov_b32 s35, 0x3fe00000
	s_delay_alu instid0(VALU_DEP_2) | instskip(NEXT) | instid1(VALU_DEP_2)
	v_fma_f64 v[5:6], v[5:6], v[7:8], -v[10:11]
	v_fma_f64 v[7:8], v[14:15], v[16:17], s[34:35]
	s_mov_b32 s34, 0x724a7ffa
	s_mov_b32 s35, 0x3fd02a63
	s_delay_alu instid0(VALU_DEP_2) | instid1(SALU_CYCLE_1)
	v_add_f64 v[5:6], v[5:6], s[34:35]
	s_delay_alu instid0(VALU_DEP_2) | instskip(NEXT) | instid1(VALU_DEP_2)
	v_fma_f64 v[7:8], v[14:15], v[7:8], 1.0
	v_add_f64 v[5:6], v[5:6], -v[10:11]
	v_cvt_i32_f64_e32 v10, v[12:13]
	s_delay_alu instid0(VALU_DEP_3) | instskip(NEXT) | instid1(VALU_DEP_3)
	v_fma_f64 v[7:8], v[14:15], v[7:8], 1.0
	v_mul_f64 v[5:6], v[5:6], 0.5
	s_delay_alu instid0(VALU_DEP_2) | instskip(NEXT) | instid1(VALU_DEP_2)
	v_ldexp_f64 v[7:8], v[7:8], v10
	v_mul_f64 v[10:11], v[1:2], v[5:6]
	s_delay_alu instid0(VALU_DEP_2) | instskip(NEXT) | instid1(VALU_DEP_3)
	v_cndmask_b32_e32 v6, 0x7ff00000, v8, vcc_lo
	v_cndmask_b32_e32 v5, 0, v7, vcc_lo
	s_delay_alu instid0(VALU_DEP_1)
	v_mul_f64 v[7:8], v[5:6], v[10:11]
.LBB7_156:
	s_and_not1_saveexec_b32 s3, s2
	s_cbranch_execz .LBB7_158
; %bb.157:
	v_div_scale_f64 v[5:6], null, v[1:2], v[1:2], 0x40400000
	v_div_scale_f64 v[12:13], vcc_lo, 0x40400000, v[1:2], 0x40400000
	s_mov_b32 s34, 0xea87b950
	s_mov_b32 s35, 0x3c545b8a
	;; [unrolled: 1-line block ×4, first 2 shown]
	v_cmp_nlt_f64_e64 s2, 0x40900000, v[1:2]
	s_delay_alu instid0(VALU_DEP_3) | instskip(SKIP_2) | instid1(VALU_DEP_1)
	v_rcp_f64_e32 v[7:8], v[5:6]
	s_waitcnt_depctr 0xfff
	v_fma_f64 v[10:11], -v[5:6], v[7:8], 1.0
	v_fma_f64 v[7:8], v[7:8], v[10:11], v[7:8]
	s_delay_alu instid0(VALU_DEP_1) | instskip(NEXT) | instid1(VALU_DEP_1)
	v_fma_f64 v[10:11], -v[5:6], v[7:8], 1.0
	v_fma_f64 v[7:8], v[7:8], v[10:11], v[7:8]
	s_delay_alu instid0(VALU_DEP_1) | instskip(NEXT) | instid1(VALU_DEP_1)
	v_mul_f64 v[10:11], v[12:13], v[7:8]
	v_fma_f64 v[5:6], -v[5:6], v[10:11], v[12:13]
	s_delay_alu instid0(VALU_DEP_1) | instskip(SKIP_1) | instid1(VALU_DEP_2)
	v_div_fmas_f64 v[5:6], v[5:6], v[7:8], v[10:11]
	v_cmp_gt_f64_e32 vcc_lo, 0x10000000, v[1:2]
	v_div_fixup_f64 v[5:6], v[5:6], v[1:2], 0x40400000
	v_cndmask_b32_e64 v18, 0, 1, vcc_lo
	s_delay_alu instid0(VALU_DEP_1) | instskip(NEXT) | instid1(VALU_DEP_1)
	v_lshlrev_b32_e32 v18, 8, v18
	v_ldexp_f64 v[18:19], v[1:2], v18
	s_delay_alu instid0(VALU_DEP_4) | instskip(NEXT) | instid1(VALU_DEP_2)
	v_add_f64 v[5:6], v[5:6], -2.0
	v_rsq_f64_e32 v[20:21], v[18:19]
	s_delay_alu instid0(VALU_DEP_1)
	v_fma_f64 v[7:8], v[5:6], s[36:37], s[34:35]
	s_mov_b32 s37, 0xbc61556d
	s_mov_b32 s34, 0xb2532277
	;; [unrolled: 1-line block ×3, first 2 shown]
	s_waitcnt_depctr 0xfff
	v_mul_f64 v[22:23], v[18:19], v[20:21]
	v_mul_f64 v[20:21], v[20:21], 0.5
	v_fma_f64 v[10:11], v[5:6], v[7:8], s[36:37]
	s_mov_b32 s36, 0x6a5dcb37
	s_mov_b32 s37, 0x3e5ade15
	s_delay_alu instid0(VALU_DEP_2) | instskip(NEXT) | instid1(VALU_DEP_2)
	v_fma_f64 v[24:25], -v[20:21], v[22:23], 0.5
	v_add_f64 v[10:11], v[10:11], s[34:35]
	s_mov_b32 s34, 0x9c773320
	s_mov_b32 s35, 0xbc82806c
	s_delay_alu instid0(VALU_DEP_2) | instskip(SKIP_1) | instid1(VALU_DEP_3)
	v_fma_f64 v[22:23], v[22:23], v[24:25], v[22:23]
	v_fma_f64 v[20:21], v[20:21], v[24:25], v[20:21]
	v_fma_f64 v[7:8], v[5:6], v[10:11], -v[7:8]
	s_delay_alu instid0(VALU_DEP_3) | instskip(NEXT) | instid1(VALU_DEP_2)
	v_fma_f64 v[24:25], -v[22:23], v[22:23], v[18:19]
	v_add_f64 v[7:8], v[7:8], s[34:35]
	s_mov_b32 s34, 0xfceb588a
	s_mov_b32 s35, 0x3cb55915
	s_delay_alu instid0(VALU_DEP_1) | instskip(NEXT) | instid1(VALU_DEP_1)
	v_fma_f64 v[10:11], v[5:6], v[7:8], -v[10:11]
	v_add_f64 v[10:11], v[10:11], s[34:35]
	s_mov_b32 s34, 0x5f04a2d1
	s_mov_b32 s35, 0x3cb7d68e
	s_delay_alu instid0(VALU_DEP_1) | instskip(NEXT) | instid1(VALU_DEP_1)
	v_fma_f64 v[7:8], v[5:6], v[10:11], -v[7:8]
	;; [unrolled: 5-line block ×14, first 2 shown]
	v_add_f64 v[7:8], v[7:8], s[34:35]
	s_mov_b32 s34, 0x652b82fe
	s_mov_b32 s35, 0x3ff71547
	s_delay_alu instid0(SALU_CYCLE_1) | instskip(SKIP_2) | instid1(VALU_DEP_2)
	v_mul_f64 v[12:13], v[1:2], s[34:35]
	s_mov_b32 s34, 0x9ad53528
	s_mov_b32 s35, 0xbe30790b
	v_fma_f64 v[10:11], v[5:6], v[7:8], -v[10:11]
	s_delay_alu instid0(VALU_DEP_2) | instskip(NEXT) | instid1(VALU_DEP_2)
	v_rndne_f64_e32 v[12:13], v[12:13]
	v_add_f64 v[10:11], v[10:11], s[34:35]
	s_mov_b32 s34, 0xfefa39ef
	s_mov_b32 s35, 0xbfe62e42
	s_delay_alu instid0(VALU_DEP_2) | instid1(SALU_CYCLE_1)
	v_fma_f64 v[14:15], v[12:13], s[34:35], v[1:2]
	s_mov_b32 s34, 0x3b39803f
	s_mov_b32 s35, 0xbc7abc9e
	s_delay_alu instid0(VALU_DEP_2) | instskip(NEXT) | instid1(VALU_DEP_2)
	v_fma_f64 v[7:8], v[5:6], v[10:11], -v[7:8]
	v_fma_f64 v[14:15], v[12:13], s[34:35], v[14:15]
	s_mov_b32 s34, 0x94bb46c1
	s_mov_b32 s35, 0xbe5c4153
	s_delay_alu instid0(VALU_DEP_2) | instid1(SALU_CYCLE_1)
	v_add_f64 v[7:8], v[7:8], s[34:35]
	s_mov_b32 s34, 0xfca7ab0c
	s_mov_b32 s35, 0x3e928af3
	s_delay_alu instid0(VALU_DEP_2) | instid1(SALU_CYCLE_1)
	v_fma_f64 v[16:17], v[14:15], s[36:37], s[34:35]
	s_mov_b32 s34, 0x623fde64
	s_mov_b32 s35, 0x3ec71dee
	s_delay_alu instid0(VALU_DEP_2) | instskip(NEXT) | instid1(VALU_DEP_2)
	v_fma_f64 v[10:11], v[5:6], v[7:8], -v[10:11]
	v_fma_f64 v[16:17], v[14:15], v[16:17], s[34:35]
	s_mov_b32 s34, 0x2e9e5443
	s_mov_b32 s35, 0xbe90dbfd
	s_delay_alu instid0(VALU_DEP_2) | instid1(SALU_CYCLE_1)
	;; [unrolled: 13-line block ×5, first 2 shown]
	v_add_f64 v[7:8], v[7:8], s[34:35]
	s_mov_b32 s34, 11
	s_mov_b32 s35, 0x3fe00000
	s_delay_alu instid0(VALU_DEP_2) | instid1(SALU_CYCLE_1)
	v_fma_f64 v[16:17], v[14:15], v[16:17], s[34:35]
	s_mov_b32 s34, 0xb55b1514
	s_mov_b32 s35, 0x3fe8ea18
	s_delay_alu instid0(VALU_DEP_2) | instskip(SKIP_2) | instid1(VALU_DEP_4)
	v_fma_f64 v[5:6], v[5:6], v[7:8], -v[10:11]
	v_fma_f64 v[7:8], v[24:25], v[20:21], v[22:23]
	v_cvt_i32_f64_e32 v22, v[12:13]
	v_fma_f64 v[16:17], v[14:15], v[16:17], 1.0
	s_delay_alu instid0(VALU_DEP_4) | instskip(NEXT) | instid1(VALU_DEP_4)
	v_add_f64 v[5:6], v[5:6], s[34:35]
	v_fma_f64 v[12:13], -v[7:8], v[7:8], v[18:19]
	s_delay_alu instid0(VALU_DEP_3) | instskip(NEXT) | instid1(VALU_DEP_3)
	v_fma_f64 v[14:15], v[14:15], v[16:17], 1.0
	v_add_f64 v[5:6], v[5:6], -v[10:11]
	s_delay_alu instid0(VALU_DEP_3) | instskip(NEXT) | instid1(VALU_DEP_3)
	v_fma_f64 v[7:8], v[12:13], v[20:21], v[7:8]
	v_ldexp_f64 v[10:11], v[14:15], v22
	s_delay_alu instid0(VALU_DEP_3) | instskip(SKIP_2) | instid1(VALU_DEP_4)
	v_mul_f64 v[12:13], v[5:6], 0.5
	v_cndmask_b32_e64 v5, 0, 0xffffff80, vcc_lo
	v_cmp_class_f64_e64 vcc_lo, v[18:19], 0x260
	v_cndmask_b32_e64 v6, 0x7ff00000, v11, s2
	s_delay_alu instid0(VALU_DEP_3) | instskip(SKIP_1) | instid1(VALU_DEP_1)
	v_ldexp_f64 v[7:8], v[7:8], v5
	v_cndmask_b32_e64 v5, 0, v10, s2
	v_mul_f64 v[10:11], v[5:6], v[12:13]
	s_delay_alu instid0(VALU_DEP_3) | instskip(NEXT) | instid1(VALU_DEP_1)
	v_dual_cndmask_b32 v8, v8, v19 :: v_dual_cndmask_b32 v7, v7, v18
	v_div_scale_f64 v[12:13], null, v[7:8], v[7:8], v[10:11]
	s_delay_alu instid0(VALU_DEP_1) | instskip(SKIP_2) | instid1(VALU_DEP_1)
	v_rcp_f64_e32 v[14:15], v[12:13]
	s_waitcnt_depctr 0xfff
	v_fma_f64 v[16:17], -v[12:13], v[14:15], 1.0
	v_fma_f64 v[14:15], v[14:15], v[16:17], v[14:15]
	s_delay_alu instid0(VALU_DEP_1) | instskip(NEXT) | instid1(VALU_DEP_1)
	v_fma_f64 v[16:17], -v[12:13], v[14:15], 1.0
	v_fma_f64 v[14:15], v[14:15], v[16:17], v[14:15]
	v_div_scale_f64 v[16:17], vcc_lo, v[10:11], v[7:8], v[10:11]
	s_delay_alu instid0(VALU_DEP_1) | instskip(NEXT) | instid1(VALU_DEP_1)
	v_mul_f64 v[18:19], v[16:17], v[14:15]
	v_fma_f64 v[12:13], -v[12:13], v[18:19], v[16:17]
	s_delay_alu instid0(VALU_DEP_1) | instskip(NEXT) | instid1(VALU_DEP_1)
	v_div_fmas_f64 v[12:13], v[12:13], v[14:15], v[18:19]
	v_div_fixup_f64 v[7:8], v[12:13], v[7:8], v[10:11]
.LBB7_158:
	s_or_b32 exec_lo, exec_lo, s3
	s_delay_alu instid0(VALU_DEP_2)
	v_frexp_mant_f64_e32 v[10:11], v[3:4]
	s_mov_b32 s3, 0x3fe55555
	s_mov_b32 s2, 0x55555555
	v_mov_b32_e32 v12, 0
	v_fma_f64 v[24:25], v[1:2], v[1:2], -2.0
	s_mov_b32 s34, 0x7a0399e0
	s_mov_b32 s35, 0xbce5dd51
	;; [unrolled: 1-line block ×4, first 2 shown]
	v_frexp_exp_i32_f64_e32 v28, v[3:4]
	s_delay_alu instid0(VALU_DEP_4) | instskip(SKIP_1) | instid1(VALU_DEP_3)
	v_cmp_gt_f64_e32 vcc_lo, s[2:3], v[10:11]
	s_mov_b32 s2, 0x55555780
	v_fma_f64 v[26:27], v[24:25], s[36:37], s[34:35]
	s_mov_b32 s37, 0x3c603228
	s_mov_b32 s34, 0xddd0e045
	;; [unrolled: 1-line block ×3, first 2 shown]
	v_cndmask_b32_e64 v13, 0x3ff00000, 2.0, vcc_lo
	s_delay_alu instid0(VALU_DEP_1) | instskip(NEXT) | instid1(VALU_DEP_1)
	v_mul_f64 v[10:11], v[10:11], v[12:13]
	v_add_f64 v[12:13], v[10:11], 1.0
	v_add_f64 v[18:19], v[10:11], -1.0
	s_delay_alu instid0(VALU_DEP_2) | instskip(SKIP_1) | instid1(VALU_DEP_1)
	v_rcp_f64_e32 v[14:15], v[12:13]
	v_add_f64 v[20:21], v[12:13], -1.0
	v_add_f64 v[10:11], v[10:11], -v[20:21]
	s_waitcnt_depctr 0xfff
	v_fma_f64 v[16:17], -v[12:13], v[14:15], 1.0
	s_delay_alu instid0(VALU_DEP_1) | instskip(NEXT) | instid1(VALU_DEP_1)
	v_fma_f64 v[14:15], v[16:17], v[14:15], v[14:15]
	v_fma_f64 v[16:17], -v[12:13], v[14:15], 1.0
	s_delay_alu instid0(VALU_DEP_1) | instskip(NEXT) | instid1(VALU_DEP_1)
	v_fma_f64 v[14:15], v[16:17], v[14:15], v[14:15]
	v_mul_f64 v[16:17], v[18:19], v[14:15]
	s_delay_alu instid0(VALU_DEP_1) | instskip(NEXT) | instid1(VALU_DEP_1)
	v_mul_f64 v[22:23], v[12:13], v[16:17]
	v_fma_f64 v[12:13], v[16:17], v[12:13], -v[22:23]
	s_delay_alu instid0(VALU_DEP_1) | instskip(NEXT) | instid1(VALU_DEP_1)
	v_fma_f64 v[10:11], v[16:17], v[10:11], v[12:13]
	v_add_f64 v[12:13], v[22:23], v[10:11]
	s_delay_alu instid0(VALU_DEP_1) | instskip(SKIP_1) | instid1(VALU_DEP_2)
	v_add_f64 v[20:21], v[18:19], -v[12:13]
	v_add_f64 v[22:23], v[12:13], -v[22:23]
	;; [unrolled: 1-line block ×3, first 2 shown]
	s_delay_alu instid0(VALU_DEP_2) | instskip(NEXT) | instid1(VALU_DEP_2)
	v_add_f64 v[10:11], v[22:23], -v[10:11]
	v_add_f64 v[12:13], v[18:19], -v[12:13]
	v_fma_f64 v[18:19], v[24:25], v[26:27], s[36:37]
	s_mov_b32 s36, 0xbf559e2b
	s_mov_b32 s37, 0x3fc3ab76
	s_delay_alu instid0(VALU_DEP_2) | instskip(NEXT) | instid1(VALU_DEP_2)
	v_add_f64 v[10:11], v[10:11], v[12:13]
	v_add_f64 v[12:13], v[18:19], s[34:35]
	s_mov_b32 s34, 0xb84626ca
	s_mov_b32 s35, 0xbde3663b
	s_delay_alu instid0(VALU_DEP_2) | instskip(NEXT) | instid1(VALU_DEP_2)
	v_add_f64 v[10:11], v[20:21], v[10:11]
	v_fma_f64 v[18:19], v[24:25], v[12:13], -v[26:27]
	s_delay_alu instid0(VALU_DEP_2) | instskip(NEXT) | instid1(VALU_DEP_2)
	v_mul_f64 v[10:11], v[14:15], v[10:11]
	v_add_f64 v[14:15], v[18:19], s[34:35]
	s_mov_b32 s34, 0x145c31d0
	s_mov_b32 s35, 0xbe57c41d
	s_delay_alu instid0(VALU_DEP_2) | instskip(NEXT) | instid1(VALU_DEP_2)
	v_add_f64 v[18:19], v[16:17], v[10:11]
	v_fma_f64 v[12:13], v[24:25], v[14:15], -v[12:13]
	s_delay_alu instid0(VALU_DEP_2) | instskip(NEXT) | instid1(VALU_DEP_2)
	v_mul_f64 v[20:21], v[18:19], v[18:19]
	v_add_f64 v[12:13], v[12:13], s[34:35]
	s_mov_b32 s34, 0x6b47b09a
	s_mov_b32 s35, 0x3fc38538
	v_add_f64 v[16:17], v[18:19], -v[16:17]
	s_delay_alu instid0(VALU_DEP_3) | instskip(NEXT) | instid1(VALU_DEP_3)
	v_fma_f64 v[22:23], v[20:21], s[36:37], s[34:35]
	v_fma_f64 v[14:15], v[24:25], v[12:13], -v[14:15]
	s_mov_b32 s34, 0xd7f4df2e
	s_mov_b32 s35, 0x3fc7474d
	v_mul_f64 v[26:27], v[18:19], v[20:21]
	s_delay_alu instid0(VALU_DEP_4) | instskip(NEXT) | instid1(VALU_DEP_4)
	v_add_f64 v[10:11], v[10:11], -v[16:17]
	v_fma_f64 v[22:23], v[20:21], v[22:23], s[34:35]
	s_mov_b32 s34, 0x2c832e3a
	s_mov_b32 s35, 0xbec469b3
	s_delay_alu instid0(VALU_DEP_4) | instid1(SALU_CYCLE_1)
	v_add_f64 v[14:15], v[14:15], s[34:35]
	s_mov_b32 s34, 0x16291751
	s_mov_b32 s35, 0x3fcc71c0
	s_delay_alu instid0(VALU_DEP_3) | instskip(NEXT) | instid1(VALU_DEP_3)
	v_ldexp_f64 v[10:11], v[10:11], 1
	v_fma_f64 v[22:23], v[20:21], v[22:23], s[34:35]
	s_mov_b32 s34, 0x9b27acf1
	s_mov_b32 s35, 0x3fd24924
	s_delay_alu instid0(VALU_DEP_3) | instskip(NEXT) | instid1(VALU_DEP_2)
	v_fma_f64 v[12:13], v[24:25], v[14:15], -v[12:13]
	v_fma_f64 v[22:23], v[20:21], v[22:23], s[34:35]
	s_mov_b32 s34, 0xe5a3bd02
	s_mov_b32 s35, 0xbf26ade2
	s_delay_alu instid0(VALU_DEP_2) | instid1(SALU_CYCLE_1)
	v_add_f64 v[12:13], v[12:13], s[34:35]
	s_mov_b32 s34, 0x998ef7b6
	s_mov_b32 s35, 0x3fd99999
	s_delay_alu instid0(VALU_DEP_2) | instid1(SALU_CYCLE_1)
	v_fma_f64 v[22:23], v[20:21], v[22:23], s[34:35]
	s_delay_alu instid0(VALU_DEP_2) | instskip(NEXT) | instid1(VALU_DEP_2)
	v_fma_f64 v[14:15], v[24:25], v[12:13], -v[14:15]
	v_fma_f64 v[20:21], v[20:21], v[22:23], s[2:3]
	s_mov_b32 s2, 0x9d7d4192
	s_mov_b32 s3, 0xbf7c9293
	v_ldexp_f64 v[22:23], v[18:19], 1
	s_delay_alu instid0(VALU_DEP_3) | instskip(SKIP_2) | instid1(VALU_DEP_3)
	v_add_f64 v[14:15], v[14:15], s[2:3]
	s_mov_b32 s2, 0x43c1db74
	s_mov_b32 s3, 0xbfbf6372
	v_mul_f64 v[20:21], v[26:27], v[20:21]
	v_subrev_co_ci_u32_e32 v26, vcc_lo, 0, v28, vcc_lo
	s_delay_alu instid0(VALU_DEP_3) | instskip(NEXT) | instid1(VALU_DEP_2)
	v_fma_f64 v[12:13], v[24:25], v[14:15], -v[12:13]
	v_cvt_f64_i32_e32 v[26:27], v26
	s_delay_alu instid0(VALU_DEP_4) | instskip(NEXT) | instid1(VALU_DEP_3)
	v_add_f64 v[18:19], v[22:23], v[20:21]
	v_add_f64 v[12:13], v[12:13], s[2:3]
	s_mov_b32 s2, 0xfefa39ef
	s_mov_b32 s3, 0x3fe62e42
	s_delay_alu instid0(VALU_DEP_3) | instid1(SALU_CYCLE_1)
	v_mul_f64 v[28:29], v[26:27], s[2:3]
	s_delay_alu instid0(VALU_DEP_3) | instskip(NEXT) | instid1(VALU_DEP_3)
	v_add_f64 v[16:17], v[18:19], -v[22:23]
	v_fma_f64 v[14:15], v[24:25], v[12:13], -v[14:15]
	s_delay_alu instid0(VALU_DEP_3) | instskip(SKIP_2) | instid1(VALU_DEP_3)
	v_fma_f64 v[22:23], v[26:27], s[2:3], -v[28:29]
	s_mov_b32 s2, 0x757b0dd4
	s_mov_b32 s3, 0xbfd69a1b
	v_add_f64 v[16:17], v[20:21], -v[16:17]
	s_delay_alu instid0(VALU_DEP_3)
	v_add_f64 v[14:15], v[14:15], s[2:3]
	s_mov_b32 s2, 0x3b39803f
	s_mov_b32 s3, 0x3c7abc9e
	s_delay_alu instid0(VALU_DEP_3) | instid1(SALU_CYCLE_1)
	v_fma_f64 v[20:21], v[26:27], s[2:3], v[22:23]
	s_mov_b32 s2, 0x361008ca
	s_mov_b32 s3, 0x3ff867a1
	s_delay_alu instid0(VALU_DEP_3) | instskip(NEXT) | instid1(VALU_DEP_3)
	v_add_f64 v[10:11], v[10:11], v[16:17]
	v_fma_f64 v[14:15], v[24:25], v[14:15], -v[12:13]
	s_delay_alu instid0(VALU_DEP_3) | instskip(NEXT) | instid1(VALU_DEP_3)
	v_add_f64 v[16:17], v[28:29], v[20:21]
	v_add_f64 v[22:23], v[18:19], v[10:11]
	s_delay_alu instid0(VALU_DEP_3) | instskip(SKIP_1) | instid1(VALU_DEP_4)
	v_add_f64 v[14:15], v[14:15], s[2:3]
	v_cmp_eq_f64_e64 s2, 0x7ff00000, v[3:4]
	v_add_f64 v[26:27], v[16:17], -v[28:29]
	s_delay_alu instid0(VALU_DEP_4) | instskip(SKIP_2) | instid1(VALU_DEP_4)
	v_add_f64 v[24:25], v[16:17], v[22:23]
	v_add_f64 v[18:19], v[22:23], -v[18:19]
	v_add_f64 v[12:13], v[14:15], -v[12:13]
	;; [unrolled: 1-line block ×3, first 2 shown]
	s_delay_alu instid0(VALU_DEP_4) | instskip(NEXT) | instid1(VALU_DEP_4)
	v_add_f64 v[14:15], v[24:25], -v[16:17]
	v_add_f64 v[10:11], v[10:11], -v[18:19]
	s_delay_alu instid0(VALU_DEP_4) | instskip(NEXT) | instid1(VALU_DEP_3)
	v_mul_f64 v[12:13], v[12:13], 0.5
	v_add_f64 v[28:29], v[24:25], -v[14:15]
	v_add_f64 v[14:15], v[22:23], -v[14:15]
	s_delay_alu instid0(VALU_DEP_4) | instskip(NEXT) | instid1(VALU_DEP_4)
	v_add_f64 v[22:23], v[20:21], v[10:11]
	v_div_scale_f64 v[30:31], null, v[1:2], v[1:2], v[12:13]
	s_delay_alu instid0(VALU_DEP_4) | instskip(NEXT) | instid1(VALU_DEP_3)
	v_add_f64 v[16:17], v[16:17], -v[28:29]
	v_add_f64 v[26:27], v[22:23], -v[20:21]
	s_delay_alu instid0(VALU_DEP_3) | instskip(NEXT) | instid1(VALU_DEP_2)
	v_rcp_f64_e32 v[18:19], v[30:31]
	v_add_f64 v[14:15], v[14:15], v[16:17]
	s_delay_alu instid0(VALU_DEP_2) | instskip(SKIP_3) | instid1(VALU_DEP_2)
	v_add_f64 v[10:11], v[10:11], -v[26:27]
	s_waitcnt_depctr 0xfff
	v_fma_f64 v[16:17], -v[30:31], v[18:19], 1.0
	v_add_f64 v[14:15], v[22:23], v[14:15]
	v_fma_f64 v[16:17], v[18:19], v[16:17], v[18:19]
	v_add_f64 v[18:19], v[22:23], -v[26:27]
	s_delay_alu instid0(VALU_DEP_3) | instskip(NEXT) | instid1(VALU_DEP_3)
	v_add_f64 v[22:23], v[24:25], v[14:15]
	v_fma_f64 v[28:29], -v[30:31], v[16:17], 1.0
	s_delay_alu instid0(VALU_DEP_3) | instskip(NEXT) | instid1(VALU_DEP_3)
	v_add_f64 v[18:19], v[20:21], -v[18:19]
	v_add_f64 v[20:21], v[22:23], -v[24:25]
	v_div_scale_f64 v[24:25], vcc_lo, v[12:13], v[1:2], v[12:13]
	s_delay_alu instid0(VALU_DEP_4) | instskip(NEXT) | instid1(VALU_DEP_4)
	v_fma_f64 v[16:17], v[16:17], v[28:29], v[16:17]
	v_add_f64 v[10:11], v[10:11], v[18:19]
	s_delay_alu instid0(VALU_DEP_4) | instskip(NEXT) | instid1(VALU_DEP_3)
	v_add_f64 v[14:15], v[14:15], -v[20:21]
	v_mul_f64 v[18:19], v[24:25], v[16:17]
	s_delay_alu instid0(VALU_DEP_2) | instskip(NEXT) | instid1(VALU_DEP_2)
	v_add_f64 v[10:11], v[10:11], v[14:15]
	v_fma_f64 v[14:15], -v[30:31], v[18:19], v[24:25]
	s_delay_alu instid0(VALU_DEP_2) | instskip(NEXT) | instid1(VALU_DEP_2)
	v_add_f64 v[10:11], v[22:23], v[10:11]
	v_div_fmas_f64 v[14:15], v[14:15], v[16:17], v[18:19]
	v_cmp_neq_f64_e32 vcc_lo, 0, v[3:4]
	s_delay_alu instid0(VALU_DEP_3) | instskip(NEXT) | instid1(VALU_DEP_4)
	v_cndmask_b32_e64 v10, v10, v3, s2
	v_cndmask_b32_e64 v11, v11, v4, s2
	s_delay_alu instid0(VALU_DEP_4) | instskip(NEXT) | instid1(VALU_DEP_3)
	v_div_fixup_f64 v[1:2], v[14:15], v[1:2], v[12:13]
	v_cndmask_b32_e32 v3, 0, v10, vcc_lo
	s_delay_alu instid0(VALU_DEP_3) | instskip(NEXT) | instid1(VALU_DEP_1)
	v_cndmask_b32_e32 v4, 0xfff00000, v11, vcc_lo
	v_fma_f64 v[1:2], v[3:4], v[7:8], v[1:2]
	s_delay_alu instid0(VALU_DEP_1)
	v_mul_f64 v[3:4], v[5:6], v[1:2]
                                        ; implicit-def: $vgpr1_vgpr2
.LBB7_159:
	s_and_not1_saveexec_b32 s2, s31
	s_cbranch_execz .LBB7_161
; %bb.160:
	v_div_scale_f64 v[3:4], null, v[1:2], v[1:2], 0x40200000
	v_div_scale_f64 v[10:11], vcc_lo, 0x40200000, v[1:2], 0x40200000
	s_mov_b32 s34, 0x838f5ed3
	s_mov_b32 s35, 0x3c74af1a
	;; [unrolled: 1-line block ×4, first 2 shown]
	s_delay_alu instid0(VALU_DEP_2) | instskip(SKIP_2) | instid1(VALU_DEP_1)
	v_rcp_f64_e32 v[5:6], v[3:4]
	s_waitcnt_depctr 0xfff
	v_fma_f64 v[7:8], -v[3:4], v[5:6], 1.0
	v_fma_f64 v[5:6], v[5:6], v[7:8], v[5:6]
	s_delay_alu instid0(VALU_DEP_1) | instskip(NEXT) | instid1(VALU_DEP_1)
	v_fma_f64 v[7:8], -v[3:4], v[5:6], 1.0
	v_fma_f64 v[5:6], v[5:6], v[7:8], v[5:6]
	s_delay_alu instid0(VALU_DEP_1) | instskip(NEXT) | instid1(VALU_DEP_1)
	v_mul_f64 v[7:8], v[10:11], v[5:6]
	v_fma_f64 v[3:4], -v[3:4], v[7:8], v[10:11]
	s_delay_alu instid0(VALU_DEP_1) | instskip(SKIP_1) | instid1(VALU_DEP_2)
	v_div_fmas_f64 v[3:4], v[3:4], v[5:6], v[7:8]
	v_cmp_gt_f64_e32 vcc_lo, 0x10000000, v[1:2]
	v_div_fixup_f64 v[3:4], v[3:4], v[1:2], 0x40200000
	v_cndmask_b32_e64 v10, 0, 1, vcc_lo
	s_delay_alu instid0(VALU_DEP_1) | instskip(NEXT) | instid1(VALU_DEP_1)
	v_lshlrev_b32_e32 v10, 8, v10
	v_ldexp_f64 v[1:2], v[1:2], v10
	s_delay_alu instid0(VALU_DEP_4) | instskip(NEXT) | instid1(VALU_DEP_2)
	v_add_f64 v[3:4], v[3:4], -2.0
	v_rsq_f64_e32 v[10:11], v[1:2]
	s_delay_alu instid0(VALU_DEP_1)
	v_fma_f64 v[5:6], v[3:4], s[36:37], s[34:35]
	s_mov_b32 s37, 0x3c5a8c5d
	s_mov_b32 s34, 0x17771d52
	;; [unrolled: 1-line block ×3, first 2 shown]
	s_waitcnt_depctr 0xfff
	v_mul_f64 v[12:13], v[1:2], v[10:11]
	v_mul_f64 v[10:11], v[10:11], 0.5
	v_fma_f64 v[7:8], v[3:4], v[5:6], s[36:37]
	s_delay_alu instid0(VALU_DEP_2) | instskip(NEXT) | instid1(VALU_DEP_2)
	v_fma_f64 v[14:15], -v[10:11], v[12:13], 0.5
	v_add_f64 v[7:8], v[7:8], s[34:35]
	s_mov_b32 s34, 0x44ee2c0b
	s_mov_b32 s35, 0x3caa7d5e
	s_delay_alu instid0(VALU_DEP_2) | instskip(SKIP_1) | instid1(VALU_DEP_3)
	v_fma_f64 v[12:13], v[12:13], v[14:15], v[12:13]
	v_fma_f64 v[10:11], v[10:11], v[14:15], v[10:11]
	v_fma_f64 v[5:6], v[3:4], v[7:8], -v[5:6]
	s_delay_alu instid0(VALU_DEP_3) | instskip(NEXT) | instid1(VALU_DEP_2)
	v_fma_f64 v[14:15], -v[12:13], v[12:13], v[1:2]
	v_add_f64 v[5:6], v[5:6], s[34:35]
	s_mov_b32 s34, 0xd8758ef2
	s_mov_b32 s35, 0xbcc5d2a3
	s_delay_alu instid0(VALU_DEP_2) | instskip(NEXT) | instid1(VALU_DEP_2)
	v_fma_f64 v[12:13], v[14:15], v[10:11], v[12:13]
	v_fma_f64 v[7:8], v[3:4], v[5:6], -v[7:8]
	s_delay_alu instid0(VALU_DEP_1) | instskip(SKIP_2) | instid1(VALU_DEP_1)
	v_add_f64 v[7:8], v[7:8], s[34:35]
	s_mov_b32 s34, 0xefee81bd
	s_mov_b32 s35, 0x3ce25ced
	v_fma_f64 v[5:6], v[3:4], v[7:8], -v[5:6]
	s_delay_alu instid0(VALU_DEP_1) | instskip(SKIP_2) | instid1(VALU_DEP_1)
	v_add_f64 v[5:6], v[5:6], s[34:35]
	s_mov_b32 s34, 0x364185ab
	s_mov_b32 s35, 0xbcff9d52
	;; [unrolled: 5-line block ×20, first 2 shown]
	v_fma_f64 v[3:4], v[3:4], v[5:6], -v[7:8]
	v_fma_f64 v[5:6], -v[12:13], v[12:13], v[1:2]
	s_delay_alu instid0(VALU_DEP_2) | instskip(NEXT) | instid1(VALU_DEP_2)
	v_add_f64 v[3:4], v[3:4], s[34:35]
	v_fma_f64 v[5:6], v[5:6], v[10:11], v[12:13]
	s_delay_alu instid0(VALU_DEP_2) | instskip(SKIP_2) | instid1(VALU_DEP_2)
	v_add_f64 v[3:4], v[3:4], -v[7:8]
	v_cndmask_b32_e64 v7, 0, 0xffffff80, vcc_lo
	v_cmp_class_f64_e64 vcc_lo, v[1:2], 0x260
	v_ldexp_f64 v[5:6], v[5:6], v7
	s_delay_alu instid0(VALU_DEP_4) | instskip(NEXT) | instid1(VALU_DEP_2)
	v_mul_f64 v[3:4], v[3:4], 0.5
	v_dual_cndmask_b32 v1, v5, v1 :: v_dual_cndmask_b32 v2, v6, v2
	s_delay_alu instid0(VALU_DEP_1) | instskip(NEXT) | instid1(VALU_DEP_1)
	v_div_scale_f64 v[5:6], null, v[1:2], v[1:2], v[3:4]
	v_rcp_f64_e32 v[7:8], v[5:6]
	s_waitcnt_depctr 0xfff
	v_fma_f64 v[10:11], -v[5:6], v[7:8], 1.0
	s_delay_alu instid0(VALU_DEP_1) | instskip(NEXT) | instid1(VALU_DEP_1)
	v_fma_f64 v[7:8], v[7:8], v[10:11], v[7:8]
	v_fma_f64 v[10:11], -v[5:6], v[7:8], 1.0
	s_delay_alu instid0(VALU_DEP_1) | instskip(SKIP_1) | instid1(VALU_DEP_1)
	v_fma_f64 v[7:8], v[7:8], v[10:11], v[7:8]
	v_div_scale_f64 v[10:11], vcc_lo, v[3:4], v[1:2], v[3:4]
	v_mul_f64 v[12:13], v[10:11], v[7:8]
	s_delay_alu instid0(VALU_DEP_1) | instskip(NEXT) | instid1(VALU_DEP_1)
	v_fma_f64 v[5:6], -v[5:6], v[12:13], v[10:11]
	v_div_fmas_f64 v[5:6], v[5:6], v[7:8], v[12:13]
	s_delay_alu instid0(VALU_DEP_1)
	v_div_fixup_f64 v[3:4], v[5:6], v[1:2], v[3:4]
.LBB7_161:
	s_or_b32 exec_lo, exec_lo, s2
.LBB7_162:
	s_delay_alu instid0(SALU_CYCLE_1)
	s_or_b32 exec_lo, exec_lo, s21
.LBB7_163:
	s_delay_alu instid0(SALU_CYCLE_1) | instskip(SKIP_3) | instid1(SALU_CYCLE_1)
	s_or_b32 exec_lo, exec_lo, s20
	v_add_nc_u32_e32 v9, 0x80, v9
	global_store_b64 v0, v[3:4], s[4:5]
	s_or_b32 exec_lo, exec_lo, s30
	s_mov_b32 s30, exec_lo
	v_cmpx_gt_i32_e64 s27, v9
	s_cbranch_execnz .LBB7_138
.LBB7_164:
	s_or_b32 exec_lo, exec_lo, s30
	s_delay_alu instid0(SALU_CYCLE_1)
	s_mov_b32 s20, exec_lo
	v_cmpx_gt_i32_e64 s27, v9
	s_cbranch_execnz .LBB7_187
.LBB7_165:
	s_or_b32 exec_lo, exec_lo, s20
                                        ; implicit-def: $vgpr6
                                        ; implicit-def: $vgpr9
	s_and_not1_saveexec_b32 s2, s25
	s_cbranch_execnz .LBB7_8
.LBB7_166:
	s_nop 0
	s_sendmsg sendmsg(MSG_DEALLOC_VGPRS)
	s_endpgm
.LBB7_167:
	v_dual_mov_b32 v2, v9 :: v_dual_mov_b32 v1, 0
.LBB7_168:
	s_and_b32 s34, s34, 3
	s_delay_alu instid0(SALU_CYCLE_1)
	s_cmp_eq_u32 s34, 0
	s_cbranch_scc1 .LBB7_171
; %bb.169:
	s_lshl_b32 s2, s33, 3
	s_mul_i32 s20, s33, 12
	s_add_u32 s2, s2, s0
	s_addc_u32 s3, s1, 0
	s_add_u32 s2, s2, 0xc4
	s_addc_u32 s3, s3, 0
	;; [unrolled: 2-line block ×3, first 2 shown]
	.p2align	6
.LBB7_170:                              ; =>This Inner Loop Header: Depth=1
	s_clause 0x1
	s_load_b64 s[36:37], s[20:21], 0x4
	s_load_b32 s33, s[20:21], 0xc
	s_load_b64 s[38:39], s[2:3], 0x0
	s_add_u32 s20, s20, 12
	s_addc_u32 s21, s21, 0
	s_add_u32 s2, s2, 8
	s_addc_u32 s3, s3, 0
	s_add_i32 s34, s34, -1
	s_delay_alu instid0(SALU_CYCLE_1) | instskip(SKIP_2) | instid1(VALU_DEP_1)
	s_cmp_lg_u32 s34, 0
	s_waitcnt lgkmcnt(0)
	v_mul_hi_u32 v3, s37, v2
	v_add_nc_u32_e32 v3, v2, v3
	s_delay_alu instid0(VALU_DEP_1) | instskip(NEXT) | instid1(VALU_DEP_1)
	v_lshrrev_b32_e32 v6, s33, v3
	v_mul_lo_u32 v3, v6, s36
	s_delay_alu instid0(VALU_DEP_1) | instskip(NEXT) | instid1(VALU_DEP_1)
	v_sub_nc_u32_e32 v2, v2, v3
	v_mad_u64_u32 v[3:4], null, v2, s38, v[0:1]
	v_mad_u64_u32 v[4:5], null, v2, s39, v[1:2]
	v_mov_b32_e32 v2, v6
	s_delay_alu instid0(VALU_DEP_2)
	v_dual_mov_b32 v0, v3 :: v_dual_mov_b32 v1, v4
	s_cbranch_scc1 .LBB7_170
.LBB7_171:
	s_and_not1_b32 vcc_lo, exec_lo, s31
	s_cbranch_vccnz .LBB7_174
; %bb.172:
	s_waitcnt lgkmcnt(0)
	v_mul_hi_u32 v0, s13, v9
	s_and_not1_b32 vcc_lo, exec_lo, s26
	s_delay_alu instid0(VALU_DEP_1) | instskip(NEXT) | instid1(VALU_DEP_1)
	v_add_nc_u32_e32 v0, v9, v0
	v_lshrrev_b32_e32 v2, s14, v0
	s_delay_alu instid0(VALU_DEP_1) | instskip(NEXT) | instid1(VALU_DEP_1)
	v_mul_lo_u32 v0, v2, s12
	v_sub_nc_u32_e32 v1, v9, v0
	s_delay_alu instid0(VALU_DEP_1)
	v_mul_lo_u32 v0, v1, s8
	v_mul_lo_u32 v1, v1, s9
	s_cbranch_vccnz .LBB7_174
; %bb.173:
	v_mul_hi_u32 v3, s16, v2
	s_delay_alu instid0(VALU_DEP_1) | instskip(NEXT) | instid1(VALU_DEP_1)
	v_add_nc_u32_e32 v3, v2, v3
	v_lshrrev_b32_e32 v3, s17, v3
	s_delay_alu instid0(VALU_DEP_1) | instskip(NEXT) | instid1(VALU_DEP_1)
	v_mul_lo_u32 v3, v3, s15
	v_sub_nc_u32_e32 v5, v2, v3
	s_delay_alu instid0(VALU_DEP_1) | instskip(NEXT) | instid1(VALU_DEP_1)
	v_mad_u64_u32 v[2:3], null, v5, s10, v[0:1]
	v_mad_u64_u32 v[3:4], null, v5, s11, v[1:2]
	s_delay_alu instid0(VALU_DEP_1)
	v_dual_mov_b32 v0, v2 :: v_dual_mov_b32 v1, v3
.LBB7_174:
	s_waitcnt lgkmcnt(0)
	global_load_b64 v[1:2], v1, s[6:7]
	v_mov_b32_e32 v3, 0
	v_mov_b32_e32 v4, 0x7ff00000
	s_mov_b32 s20, exec_lo
	s_waitcnt vmcnt(0)
	v_cmpx_neq_f64_e32 0, v[1:2]
	s_cbranch_execz .LBB7_186
; %bb.175:
	v_mov_b32_e32 v3, 0
	v_mov_b32_e32 v4, 0x7ff80000
	s_mov_b32 s21, exec_lo
	v_cmpx_ngt_f64_e32 0, v[1:2]
	s_cbranch_execz .LBB7_185
; %bb.176:
                                        ; implicit-def: $vgpr3_vgpr4
	s_mov_b32 s2, exec_lo
	v_cmpx_ge_f64_e32 2.0, v[1:2]
	s_xor_b32 s31, exec_lo, s2
	s_cbranch_execz .LBB7_182
; %bb.177:
	v_mul_f64 v[3:4], v[1:2], 0.5
	s_mov_b32 s2, exec_lo
                                        ; implicit-def: $vgpr7_vgpr8
                                        ; implicit-def: $vgpr5_vgpr6
	v_cmpx_ge_f64_e32 0x40200000, v[1:2]
	s_xor_b32 s2, exec_lo, s2
	s_cbranch_execz .LBB7_179
; %bb.178:
	s_delay_alu instid0(VALU_DEP_2)
	v_add_f64 v[5:6], v[3:4], -2.0
	s_mov_b32 s34, 0xc38a0576
	s_mov_b32 s35, 0xbc7857d0
	;; [unrolled: 1-line block ×4, first 2 shown]
	v_cmp_nlt_f64_e32 vcc_lo, 0x40900000, v[1:2]
	s_delay_alu instid0(VALU_DEP_2) | instskip(SKIP_3) | instid1(VALU_DEP_1)
	v_fma_f64 v[7:8], v[5:6], s[36:37], s[34:35]
	s_mov_b32 s37, 0xbc499f2a
	s_mov_b32 s34, 0xe593bfac
	;; [unrolled: 1-line block ×3, first 2 shown]
	v_fma_f64 v[10:11], v[5:6], v[7:8], s[36:37]
	s_mov_b32 s36, 0x6a5dcb37
	s_mov_b32 s37, 0x3e5ade15
	s_delay_alu instid0(VALU_DEP_1) | instskip(SKIP_2) | instid1(VALU_DEP_1)
	v_add_f64 v[10:11], v[10:11], s[34:35]
	s_mov_b32 s34, 0x7e0d1573
	s_mov_b32 s35, 0xbcd3eaaa
	v_fma_f64 v[7:8], v[5:6], v[10:11], -v[7:8]
	s_delay_alu instid0(VALU_DEP_1) | instskip(SKIP_2) | instid1(VALU_DEP_1)
	v_add_f64 v[7:8], v[7:8], s[34:35]
	s_mov_b32 s34, 0x615290c
	s_mov_b32 s35, 0x3d011d7f
	v_fma_f64 v[10:11], v[5:6], v[7:8], -v[10:11]
	;; [unrolled: 5-line block ×19, first 2 shown]
	s_delay_alu instid0(VALU_DEP_1) | instskip(SKIP_2) | instid1(SALU_CYCLE_1)
	v_add_f64 v[7:8], v[7:8], s[34:35]
	s_mov_b32 s34, 0x652b82fe
	s_mov_b32 s35, 0x3ff71547
	v_mul_f64 v[12:13], v[1:2], s[34:35]
	s_mov_b32 s34, 0x49d3a1b4
	s_mov_b32 s35, 0x3f710653
	s_delay_alu instid0(VALU_DEP_2) | instskip(NEXT) | instid1(VALU_DEP_2)
	v_fma_f64 v[10:11], v[5:6], v[7:8], -v[10:11]
	v_rndne_f64_e32 v[12:13], v[12:13]
	s_delay_alu instid0(VALU_DEP_2)
	v_add_f64 v[10:11], v[10:11], s[34:35]
	s_mov_b32 s34, 0xfefa39ef
	s_mov_b32 s35, 0xbfe62e42
	s_delay_alu instid0(VALU_DEP_2) | instid1(SALU_CYCLE_1)
	v_fma_f64 v[14:15], v[12:13], s[34:35], v[1:2]
	s_mov_b32 s34, 0x7913a26a
	s_mov_b32 s35, 0xbf85a29f
	s_delay_alu instid0(VALU_DEP_2) | instskip(NEXT) | instid1(VALU_DEP_1)
	v_fma_f64 v[7:8], v[5:6], v[10:11], -v[7:8]
	v_add_f64 v[7:8], v[7:8], s[34:35]
	s_mov_b32 s34, 0x3b39803f
	s_mov_b32 s35, 0xbc7abc9e
	s_delay_alu instid0(VALU_DEP_3) | instid1(SALU_CYCLE_1)
	v_fma_f64 v[14:15], v[12:13], s[34:35], v[14:15]
	s_mov_b32 s34, 0xfca7ab0c
	s_mov_b32 s35, 0x3e928af3
	s_delay_alu instid0(VALU_DEP_2) | instskip(NEXT) | instid1(VALU_DEP_2)
	v_fma_f64 v[10:11], v[5:6], v[7:8], -v[10:11]
	v_fma_f64 v[16:17], v[14:15], s[36:37], s[34:35]
	s_mov_b32 s34, 0xe7bb2349
	s_mov_b32 s35, 0x3f9951e3
	s_delay_alu instid0(VALU_DEP_2) | instid1(SALU_CYCLE_1)
	v_add_f64 v[10:11], v[10:11], s[34:35]
	s_mov_b32 s34, 0x623fde64
	s_mov_b32 s35, 0x3ec71dee
	s_delay_alu instid0(VALU_DEP_2) | instid1(SALU_CYCLE_1)
	v_fma_f64 v[16:17], v[14:15], v[16:17], s[34:35]
	s_mov_b32 s34, 0x7c89e6b0
	s_mov_b32 s35, 0x3efa0199
	s_delay_alu instid0(VALU_DEP_2) | instskip(NEXT) | instid1(VALU_DEP_2)
	v_fma_f64 v[7:8], v[5:6], v[10:11], -v[7:8]
	v_fma_f64 v[16:17], v[14:15], v[16:17], s[34:35]
	s_mov_b32 s34, 0x537c9ebc
	s_mov_b32 s35, 0xbfab1bbc
	s_delay_alu instid0(VALU_DEP_2) | instid1(SALU_CYCLE_1)
	v_add_f64 v[7:8], v[7:8], s[34:35]
	s_mov_b32 s34, 0x14761f6e
	s_mov_b32 s35, 0x3f2a01a0
	s_delay_alu instid0(VALU_DEP_2) | instid1(SALU_CYCLE_1)
	;; [unrolled: 13-line block ×4, first 2 shown]
	v_fma_f64 v[16:17], v[14:15], v[16:17], s[34:35]
	s_mov_b32 s34, 11
	s_mov_b32 s35, 0x3fe00000
	s_delay_alu instid0(VALU_DEP_2) | instskip(NEXT) | instid1(VALU_DEP_2)
	v_fma_f64 v[5:6], v[5:6], v[7:8], -v[10:11]
	v_fma_f64 v[7:8], v[14:15], v[16:17], s[34:35]
	s_mov_b32 s34, 0x724a7ffa
	s_mov_b32 s35, 0x3fd02a63
	s_delay_alu instid0(VALU_DEP_2) | instid1(SALU_CYCLE_1)
	v_add_f64 v[5:6], v[5:6], s[34:35]
	s_delay_alu instid0(VALU_DEP_2) | instskip(NEXT) | instid1(VALU_DEP_2)
	v_fma_f64 v[7:8], v[14:15], v[7:8], 1.0
	v_add_f64 v[5:6], v[5:6], -v[10:11]
	v_cvt_i32_f64_e32 v10, v[12:13]
	s_delay_alu instid0(VALU_DEP_3) | instskip(NEXT) | instid1(VALU_DEP_3)
	v_fma_f64 v[7:8], v[14:15], v[7:8], 1.0
	v_mul_f64 v[5:6], v[5:6], 0.5
	s_delay_alu instid0(VALU_DEP_2) | instskip(NEXT) | instid1(VALU_DEP_2)
	v_ldexp_f64 v[7:8], v[7:8], v10
	v_mul_f64 v[10:11], v[1:2], v[5:6]
	s_delay_alu instid0(VALU_DEP_2) | instskip(NEXT) | instid1(VALU_DEP_3)
	v_cndmask_b32_e32 v6, 0x7ff00000, v8, vcc_lo
	v_cndmask_b32_e32 v5, 0, v7, vcc_lo
	s_delay_alu instid0(VALU_DEP_1)
	v_mul_f64 v[7:8], v[5:6], v[10:11]
.LBB7_179:
	s_and_not1_saveexec_b32 s3, s2
	s_cbranch_execz .LBB7_181
; %bb.180:
	v_div_scale_f64 v[5:6], null, v[1:2], v[1:2], 0x40400000
	v_div_scale_f64 v[12:13], vcc_lo, 0x40400000, v[1:2], 0x40400000
	s_mov_b32 s34, 0xea87b950
	s_mov_b32 s35, 0x3c545b8a
	;; [unrolled: 1-line block ×4, first 2 shown]
	v_cmp_nlt_f64_e64 s2, 0x40900000, v[1:2]
	s_delay_alu instid0(VALU_DEP_3) | instskip(SKIP_2) | instid1(VALU_DEP_1)
	v_rcp_f64_e32 v[7:8], v[5:6]
	s_waitcnt_depctr 0xfff
	v_fma_f64 v[10:11], -v[5:6], v[7:8], 1.0
	v_fma_f64 v[7:8], v[7:8], v[10:11], v[7:8]
	s_delay_alu instid0(VALU_DEP_1) | instskip(NEXT) | instid1(VALU_DEP_1)
	v_fma_f64 v[10:11], -v[5:6], v[7:8], 1.0
	v_fma_f64 v[7:8], v[7:8], v[10:11], v[7:8]
	s_delay_alu instid0(VALU_DEP_1) | instskip(NEXT) | instid1(VALU_DEP_1)
	v_mul_f64 v[10:11], v[12:13], v[7:8]
	v_fma_f64 v[5:6], -v[5:6], v[10:11], v[12:13]
	s_delay_alu instid0(VALU_DEP_1) | instskip(SKIP_1) | instid1(VALU_DEP_2)
	v_div_fmas_f64 v[5:6], v[5:6], v[7:8], v[10:11]
	v_cmp_gt_f64_e32 vcc_lo, 0x10000000, v[1:2]
	v_div_fixup_f64 v[5:6], v[5:6], v[1:2], 0x40400000
	v_cndmask_b32_e64 v18, 0, 1, vcc_lo
	s_delay_alu instid0(VALU_DEP_1) | instskip(NEXT) | instid1(VALU_DEP_1)
	v_lshlrev_b32_e32 v18, 8, v18
	v_ldexp_f64 v[18:19], v[1:2], v18
	s_delay_alu instid0(VALU_DEP_4) | instskip(NEXT) | instid1(VALU_DEP_2)
	v_add_f64 v[5:6], v[5:6], -2.0
	v_rsq_f64_e32 v[20:21], v[18:19]
	s_delay_alu instid0(VALU_DEP_1)
	v_fma_f64 v[7:8], v[5:6], s[36:37], s[34:35]
	s_mov_b32 s37, 0xbc61556d
	s_mov_b32 s34, 0xb2532277
	;; [unrolled: 1-line block ×3, first 2 shown]
	s_waitcnt_depctr 0xfff
	v_mul_f64 v[22:23], v[18:19], v[20:21]
	v_mul_f64 v[20:21], v[20:21], 0.5
	v_fma_f64 v[10:11], v[5:6], v[7:8], s[36:37]
	s_mov_b32 s36, 0x6a5dcb37
	s_mov_b32 s37, 0x3e5ade15
	s_delay_alu instid0(VALU_DEP_2) | instskip(NEXT) | instid1(VALU_DEP_2)
	v_fma_f64 v[24:25], -v[20:21], v[22:23], 0.5
	v_add_f64 v[10:11], v[10:11], s[34:35]
	s_mov_b32 s34, 0x9c773320
	s_mov_b32 s35, 0xbc82806c
	s_delay_alu instid0(VALU_DEP_2) | instskip(SKIP_1) | instid1(VALU_DEP_3)
	v_fma_f64 v[22:23], v[22:23], v[24:25], v[22:23]
	v_fma_f64 v[20:21], v[20:21], v[24:25], v[20:21]
	v_fma_f64 v[7:8], v[5:6], v[10:11], -v[7:8]
	s_delay_alu instid0(VALU_DEP_3) | instskip(NEXT) | instid1(VALU_DEP_2)
	v_fma_f64 v[24:25], -v[22:23], v[22:23], v[18:19]
	v_add_f64 v[7:8], v[7:8], s[34:35]
	s_mov_b32 s34, 0xfceb588a
	s_mov_b32 s35, 0x3cb55915
	s_delay_alu instid0(VALU_DEP_1) | instskip(NEXT) | instid1(VALU_DEP_1)
	v_fma_f64 v[10:11], v[5:6], v[7:8], -v[10:11]
	v_add_f64 v[10:11], v[10:11], s[34:35]
	s_mov_b32 s34, 0x5f04a2d1
	s_mov_b32 s35, 0x3cb7d68e
	s_delay_alu instid0(VALU_DEP_1) | instskip(NEXT) | instid1(VALU_DEP_1)
	v_fma_f64 v[7:8], v[5:6], v[10:11], -v[7:8]
	;; [unrolled: 5-line block ×14, first 2 shown]
	v_add_f64 v[7:8], v[7:8], s[34:35]
	s_mov_b32 s34, 0x652b82fe
	s_mov_b32 s35, 0x3ff71547
	s_delay_alu instid0(SALU_CYCLE_1) | instskip(SKIP_2) | instid1(VALU_DEP_2)
	v_mul_f64 v[12:13], v[1:2], s[34:35]
	s_mov_b32 s34, 0x9ad53528
	s_mov_b32 s35, 0xbe30790b
	v_fma_f64 v[10:11], v[5:6], v[7:8], -v[10:11]
	s_delay_alu instid0(VALU_DEP_2) | instskip(NEXT) | instid1(VALU_DEP_2)
	v_rndne_f64_e32 v[12:13], v[12:13]
	v_add_f64 v[10:11], v[10:11], s[34:35]
	s_mov_b32 s34, 0xfefa39ef
	s_mov_b32 s35, 0xbfe62e42
	s_delay_alu instid0(VALU_DEP_2) | instid1(SALU_CYCLE_1)
	v_fma_f64 v[14:15], v[12:13], s[34:35], v[1:2]
	s_mov_b32 s34, 0x3b39803f
	s_mov_b32 s35, 0xbc7abc9e
	s_delay_alu instid0(VALU_DEP_2) | instskip(NEXT) | instid1(VALU_DEP_2)
	v_fma_f64 v[7:8], v[5:6], v[10:11], -v[7:8]
	v_fma_f64 v[14:15], v[12:13], s[34:35], v[14:15]
	s_mov_b32 s34, 0x94bb46c1
	s_mov_b32 s35, 0xbe5c4153
	s_delay_alu instid0(VALU_DEP_2) | instid1(SALU_CYCLE_1)
	v_add_f64 v[7:8], v[7:8], s[34:35]
	s_mov_b32 s34, 0xfca7ab0c
	s_mov_b32 s35, 0x3e928af3
	s_delay_alu instid0(VALU_DEP_2) | instid1(SALU_CYCLE_1)
	v_fma_f64 v[16:17], v[14:15], s[36:37], s[34:35]
	s_mov_b32 s34, 0x623fde64
	s_mov_b32 s35, 0x3ec71dee
	s_delay_alu instid0(VALU_DEP_2) | instskip(NEXT) | instid1(VALU_DEP_2)
	v_fma_f64 v[10:11], v[5:6], v[7:8], -v[10:11]
	v_fma_f64 v[16:17], v[14:15], v[16:17], s[34:35]
	s_mov_b32 s34, 0x2e9e5443
	s_mov_b32 s35, 0xbe90dbfd
	s_delay_alu instid0(VALU_DEP_2) | instid1(SALU_CYCLE_1)
	v_add_f64 v[10:11], v[10:11], s[34:35]
	s_mov_b32 s34, 0x7c89e6b0
	s_mov_b32 s35, 0x3efa0199
	s_delay_alu instid0(VALU_DEP_2) | instid1(SALU_CYCLE_1)
	v_fma_f64 v[16:17], v[14:15], v[16:17], s[34:35]
	s_mov_b32 s34, 0x14761f6e
	s_mov_b32 s35, 0x3f2a01a0
	s_delay_alu instid0(VALU_DEP_2) | instskip(NEXT) | instid1(VALU_DEP_2)
	v_fma_f64 v[7:8], v[5:6], v[10:11], -v[7:8]
	v_fma_f64 v[16:17], v[14:15], v[16:17], s[34:35]
	s_mov_b32 s34, 0x49ca0373
	s_mov_b32 s35, 0xbed048df
	s_delay_alu instid0(VALU_DEP_2) | instid1(SALU_CYCLE_1)
	v_add_f64 v[7:8], v[7:8], s[34:35]
	s_mov_b32 s34, 0x1852b7b0
	s_mov_b32 s35, 0x3f56c16c
	s_delay_alu instid0(VALU_DEP_2) | instid1(SALU_CYCLE_1)
	v_fma_f64 v[16:17], v[14:15], v[16:17], s[34:35]
	s_mov_b32 s34, 0x11122322
	s_mov_b32 s35, 0x3f811111
	s_delay_alu instid0(VALU_DEP_2) | instskip(NEXT) | instid1(VALU_DEP_2)
	v_fma_f64 v[10:11], v[5:6], v[7:8], -v[10:11]
	v_fma_f64 v[16:17], v[14:15], v[16:17], s[34:35]
	s_mov_b32 s34, 0x804aa9a6
	s_mov_b32 s35, 0xbf1cfd7f
	s_delay_alu instid0(VALU_DEP_2) | instid1(SALU_CYCLE_1)
	v_add_f64 v[10:11], v[10:11], s[34:35]
	s_mov_b32 s34, 0x555502a1
	s_mov_b32 s35, 0x3fa55555
	s_delay_alu instid0(VALU_DEP_2) | instid1(SALU_CYCLE_1)
	v_fma_f64 v[16:17], v[14:15], v[16:17], s[34:35]
	s_mov_b32 s34, 0x55555511
	s_mov_b32 s35, 0x3fc55555
	s_delay_alu instid0(VALU_DEP_2) | instskip(NEXT) | instid1(VALU_DEP_2)
	v_fma_f64 v[7:8], v[5:6], v[10:11], -v[7:8]
	v_fma_f64 v[16:17], v[14:15], v[16:17], s[34:35]
	s_mov_b32 s34, 0x53fcdb4c
	s_mov_b32 s35, 0xbf83fda0
	s_delay_alu instid0(VALU_DEP_2) | instid1(SALU_CYCLE_1)
	v_add_f64 v[7:8], v[7:8], s[34:35]
	s_mov_b32 s34, 11
	s_mov_b32 s35, 0x3fe00000
	s_delay_alu instid0(VALU_DEP_2) | instid1(SALU_CYCLE_1)
	v_fma_f64 v[16:17], v[14:15], v[16:17], s[34:35]
	s_mov_b32 s34, 0xb55b1514
	s_mov_b32 s35, 0x3fe8ea18
	s_delay_alu instid0(VALU_DEP_2) | instskip(SKIP_2) | instid1(VALU_DEP_4)
	v_fma_f64 v[5:6], v[5:6], v[7:8], -v[10:11]
	v_fma_f64 v[7:8], v[24:25], v[20:21], v[22:23]
	v_cvt_i32_f64_e32 v22, v[12:13]
	v_fma_f64 v[16:17], v[14:15], v[16:17], 1.0
	s_delay_alu instid0(VALU_DEP_4) | instskip(NEXT) | instid1(VALU_DEP_4)
	v_add_f64 v[5:6], v[5:6], s[34:35]
	v_fma_f64 v[12:13], -v[7:8], v[7:8], v[18:19]
	s_delay_alu instid0(VALU_DEP_3) | instskip(NEXT) | instid1(VALU_DEP_3)
	v_fma_f64 v[14:15], v[14:15], v[16:17], 1.0
	v_add_f64 v[5:6], v[5:6], -v[10:11]
	s_delay_alu instid0(VALU_DEP_3) | instskip(NEXT) | instid1(VALU_DEP_3)
	v_fma_f64 v[7:8], v[12:13], v[20:21], v[7:8]
	v_ldexp_f64 v[10:11], v[14:15], v22
	s_delay_alu instid0(VALU_DEP_3) | instskip(SKIP_2) | instid1(VALU_DEP_4)
	v_mul_f64 v[12:13], v[5:6], 0.5
	v_cndmask_b32_e64 v5, 0, 0xffffff80, vcc_lo
	v_cmp_class_f64_e64 vcc_lo, v[18:19], 0x260
	v_cndmask_b32_e64 v6, 0x7ff00000, v11, s2
	s_delay_alu instid0(VALU_DEP_3) | instskip(SKIP_1) | instid1(VALU_DEP_1)
	v_ldexp_f64 v[7:8], v[7:8], v5
	v_cndmask_b32_e64 v5, 0, v10, s2
	v_mul_f64 v[10:11], v[5:6], v[12:13]
	s_delay_alu instid0(VALU_DEP_3) | instskip(NEXT) | instid1(VALU_DEP_1)
	v_dual_cndmask_b32 v8, v8, v19 :: v_dual_cndmask_b32 v7, v7, v18
	v_div_scale_f64 v[12:13], null, v[7:8], v[7:8], v[10:11]
	s_delay_alu instid0(VALU_DEP_1) | instskip(SKIP_2) | instid1(VALU_DEP_1)
	v_rcp_f64_e32 v[14:15], v[12:13]
	s_waitcnt_depctr 0xfff
	v_fma_f64 v[16:17], -v[12:13], v[14:15], 1.0
	v_fma_f64 v[14:15], v[14:15], v[16:17], v[14:15]
	s_delay_alu instid0(VALU_DEP_1) | instskip(NEXT) | instid1(VALU_DEP_1)
	v_fma_f64 v[16:17], -v[12:13], v[14:15], 1.0
	v_fma_f64 v[14:15], v[14:15], v[16:17], v[14:15]
	v_div_scale_f64 v[16:17], vcc_lo, v[10:11], v[7:8], v[10:11]
	s_delay_alu instid0(VALU_DEP_1) | instskip(NEXT) | instid1(VALU_DEP_1)
	v_mul_f64 v[18:19], v[16:17], v[14:15]
	v_fma_f64 v[12:13], -v[12:13], v[18:19], v[16:17]
	s_delay_alu instid0(VALU_DEP_1) | instskip(NEXT) | instid1(VALU_DEP_1)
	v_div_fmas_f64 v[12:13], v[12:13], v[14:15], v[18:19]
	v_div_fixup_f64 v[7:8], v[12:13], v[7:8], v[10:11]
.LBB7_181:
	s_or_b32 exec_lo, exec_lo, s3
	s_delay_alu instid0(VALU_DEP_2)
	v_frexp_mant_f64_e32 v[10:11], v[3:4]
	s_mov_b32 s3, 0x3fe55555
	s_mov_b32 s2, 0x55555555
	v_mov_b32_e32 v12, 0
	v_fma_f64 v[24:25], v[1:2], v[1:2], -2.0
	s_mov_b32 s34, 0x7a0399e0
	s_mov_b32 s35, 0xbce5dd51
	;; [unrolled: 1-line block ×4, first 2 shown]
	v_frexp_exp_i32_f64_e32 v28, v[3:4]
	s_delay_alu instid0(VALU_DEP_4) | instskip(SKIP_1) | instid1(VALU_DEP_3)
	v_cmp_gt_f64_e32 vcc_lo, s[2:3], v[10:11]
	s_mov_b32 s2, 0x55555780
	v_fma_f64 v[26:27], v[24:25], s[36:37], s[34:35]
	s_mov_b32 s37, 0x3c603228
	s_mov_b32 s34, 0xddd0e045
	;; [unrolled: 1-line block ×3, first 2 shown]
	v_cndmask_b32_e64 v13, 0x3ff00000, 2.0, vcc_lo
	s_delay_alu instid0(VALU_DEP_1) | instskip(NEXT) | instid1(VALU_DEP_1)
	v_mul_f64 v[10:11], v[10:11], v[12:13]
	v_add_f64 v[12:13], v[10:11], 1.0
	v_add_f64 v[18:19], v[10:11], -1.0
	s_delay_alu instid0(VALU_DEP_2) | instskip(SKIP_1) | instid1(VALU_DEP_1)
	v_rcp_f64_e32 v[14:15], v[12:13]
	v_add_f64 v[20:21], v[12:13], -1.0
	v_add_f64 v[10:11], v[10:11], -v[20:21]
	s_waitcnt_depctr 0xfff
	v_fma_f64 v[16:17], -v[12:13], v[14:15], 1.0
	s_delay_alu instid0(VALU_DEP_1) | instskip(NEXT) | instid1(VALU_DEP_1)
	v_fma_f64 v[14:15], v[16:17], v[14:15], v[14:15]
	v_fma_f64 v[16:17], -v[12:13], v[14:15], 1.0
	s_delay_alu instid0(VALU_DEP_1) | instskip(NEXT) | instid1(VALU_DEP_1)
	v_fma_f64 v[14:15], v[16:17], v[14:15], v[14:15]
	v_mul_f64 v[16:17], v[18:19], v[14:15]
	s_delay_alu instid0(VALU_DEP_1) | instskip(NEXT) | instid1(VALU_DEP_1)
	v_mul_f64 v[22:23], v[12:13], v[16:17]
	v_fma_f64 v[12:13], v[16:17], v[12:13], -v[22:23]
	s_delay_alu instid0(VALU_DEP_1) | instskip(NEXT) | instid1(VALU_DEP_1)
	v_fma_f64 v[10:11], v[16:17], v[10:11], v[12:13]
	v_add_f64 v[12:13], v[22:23], v[10:11]
	s_delay_alu instid0(VALU_DEP_1) | instskip(SKIP_1) | instid1(VALU_DEP_2)
	v_add_f64 v[20:21], v[18:19], -v[12:13]
	v_add_f64 v[22:23], v[12:13], -v[22:23]
	;; [unrolled: 1-line block ×3, first 2 shown]
	s_delay_alu instid0(VALU_DEP_2) | instskip(NEXT) | instid1(VALU_DEP_2)
	v_add_f64 v[10:11], v[22:23], -v[10:11]
	v_add_f64 v[12:13], v[18:19], -v[12:13]
	v_fma_f64 v[18:19], v[24:25], v[26:27], s[36:37]
	s_mov_b32 s36, 0xbf559e2b
	s_mov_b32 s37, 0x3fc3ab76
	s_delay_alu instid0(VALU_DEP_2) | instskip(NEXT) | instid1(VALU_DEP_2)
	v_add_f64 v[10:11], v[10:11], v[12:13]
	v_add_f64 v[12:13], v[18:19], s[34:35]
	s_mov_b32 s34, 0xb84626ca
	s_mov_b32 s35, 0xbde3663b
	s_delay_alu instid0(VALU_DEP_2) | instskip(NEXT) | instid1(VALU_DEP_2)
	v_add_f64 v[10:11], v[20:21], v[10:11]
	v_fma_f64 v[18:19], v[24:25], v[12:13], -v[26:27]
	s_delay_alu instid0(VALU_DEP_2) | instskip(NEXT) | instid1(VALU_DEP_2)
	v_mul_f64 v[10:11], v[14:15], v[10:11]
	v_add_f64 v[14:15], v[18:19], s[34:35]
	s_mov_b32 s34, 0x145c31d0
	s_mov_b32 s35, 0xbe57c41d
	s_delay_alu instid0(VALU_DEP_2) | instskip(NEXT) | instid1(VALU_DEP_2)
	v_add_f64 v[18:19], v[16:17], v[10:11]
	v_fma_f64 v[12:13], v[24:25], v[14:15], -v[12:13]
	s_delay_alu instid0(VALU_DEP_2) | instskip(NEXT) | instid1(VALU_DEP_2)
	v_mul_f64 v[20:21], v[18:19], v[18:19]
	v_add_f64 v[12:13], v[12:13], s[34:35]
	s_mov_b32 s34, 0x6b47b09a
	s_mov_b32 s35, 0x3fc38538
	v_add_f64 v[16:17], v[18:19], -v[16:17]
	s_delay_alu instid0(VALU_DEP_3) | instskip(NEXT) | instid1(VALU_DEP_3)
	v_fma_f64 v[22:23], v[20:21], s[36:37], s[34:35]
	v_fma_f64 v[14:15], v[24:25], v[12:13], -v[14:15]
	s_mov_b32 s34, 0xd7f4df2e
	s_mov_b32 s35, 0x3fc7474d
	v_mul_f64 v[26:27], v[18:19], v[20:21]
	s_delay_alu instid0(VALU_DEP_4) | instskip(NEXT) | instid1(VALU_DEP_4)
	v_add_f64 v[10:11], v[10:11], -v[16:17]
	v_fma_f64 v[22:23], v[20:21], v[22:23], s[34:35]
	s_mov_b32 s34, 0x2c832e3a
	s_mov_b32 s35, 0xbec469b3
	s_delay_alu instid0(VALU_DEP_4) | instid1(SALU_CYCLE_1)
	v_add_f64 v[14:15], v[14:15], s[34:35]
	s_mov_b32 s34, 0x16291751
	s_mov_b32 s35, 0x3fcc71c0
	s_delay_alu instid0(VALU_DEP_3) | instskip(NEXT) | instid1(VALU_DEP_3)
	v_ldexp_f64 v[10:11], v[10:11], 1
	v_fma_f64 v[22:23], v[20:21], v[22:23], s[34:35]
	s_mov_b32 s34, 0x9b27acf1
	s_mov_b32 s35, 0x3fd24924
	s_delay_alu instid0(VALU_DEP_3) | instskip(NEXT) | instid1(VALU_DEP_2)
	v_fma_f64 v[12:13], v[24:25], v[14:15], -v[12:13]
	v_fma_f64 v[22:23], v[20:21], v[22:23], s[34:35]
	s_mov_b32 s34, 0xe5a3bd02
	s_mov_b32 s35, 0xbf26ade2
	s_delay_alu instid0(VALU_DEP_2) | instid1(SALU_CYCLE_1)
	v_add_f64 v[12:13], v[12:13], s[34:35]
	s_mov_b32 s34, 0x998ef7b6
	s_mov_b32 s35, 0x3fd99999
	s_delay_alu instid0(VALU_DEP_2) | instid1(SALU_CYCLE_1)
	v_fma_f64 v[22:23], v[20:21], v[22:23], s[34:35]
	s_delay_alu instid0(VALU_DEP_2) | instskip(NEXT) | instid1(VALU_DEP_2)
	v_fma_f64 v[14:15], v[24:25], v[12:13], -v[14:15]
	v_fma_f64 v[20:21], v[20:21], v[22:23], s[2:3]
	s_mov_b32 s2, 0x9d7d4192
	s_mov_b32 s3, 0xbf7c9293
	v_ldexp_f64 v[22:23], v[18:19], 1
	s_delay_alu instid0(VALU_DEP_3) | instskip(SKIP_2) | instid1(VALU_DEP_3)
	v_add_f64 v[14:15], v[14:15], s[2:3]
	s_mov_b32 s2, 0x43c1db74
	s_mov_b32 s3, 0xbfbf6372
	v_mul_f64 v[20:21], v[26:27], v[20:21]
	v_subrev_co_ci_u32_e32 v26, vcc_lo, 0, v28, vcc_lo
	s_delay_alu instid0(VALU_DEP_3) | instskip(NEXT) | instid1(VALU_DEP_2)
	v_fma_f64 v[12:13], v[24:25], v[14:15], -v[12:13]
	v_cvt_f64_i32_e32 v[26:27], v26
	s_delay_alu instid0(VALU_DEP_4) | instskip(NEXT) | instid1(VALU_DEP_3)
	v_add_f64 v[18:19], v[22:23], v[20:21]
	v_add_f64 v[12:13], v[12:13], s[2:3]
	s_mov_b32 s2, 0xfefa39ef
	s_mov_b32 s3, 0x3fe62e42
	s_delay_alu instid0(VALU_DEP_3) | instid1(SALU_CYCLE_1)
	v_mul_f64 v[28:29], v[26:27], s[2:3]
	s_delay_alu instid0(VALU_DEP_3) | instskip(NEXT) | instid1(VALU_DEP_3)
	v_add_f64 v[16:17], v[18:19], -v[22:23]
	v_fma_f64 v[14:15], v[24:25], v[12:13], -v[14:15]
	s_delay_alu instid0(VALU_DEP_3) | instskip(SKIP_2) | instid1(VALU_DEP_3)
	v_fma_f64 v[22:23], v[26:27], s[2:3], -v[28:29]
	s_mov_b32 s2, 0x757b0dd4
	s_mov_b32 s3, 0xbfd69a1b
	v_add_f64 v[16:17], v[20:21], -v[16:17]
	s_delay_alu instid0(VALU_DEP_3)
	v_add_f64 v[14:15], v[14:15], s[2:3]
	s_mov_b32 s2, 0x3b39803f
	s_mov_b32 s3, 0x3c7abc9e
	s_delay_alu instid0(VALU_DEP_3) | instid1(SALU_CYCLE_1)
	v_fma_f64 v[20:21], v[26:27], s[2:3], v[22:23]
	s_mov_b32 s2, 0x361008ca
	s_mov_b32 s3, 0x3ff867a1
	s_delay_alu instid0(VALU_DEP_3) | instskip(NEXT) | instid1(VALU_DEP_3)
	v_add_f64 v[10:11], v[10:11], v[16:17]
	v_fma_f64 v[14:15], v[24:25], v[14:15], -v[12:13]
	s_delay_alu instid0(VALU_DEP_3) | instskip(NEXT) | instid1(VALU_DEP_3)
	v_add_f64 v[16:17], v[28:29], v[20:21]
	v_add_f64 v[22:23], v[18:19], v[10:11]
	s_delay_alu instid0(VALU_DEP_3) | instskip(SKIP_1) | instid1(VALU_DEP_4)
	v_add_f64 v[14:15], v[14:15], s[2:3]
	v_cmp_eq_f64_e64 s2, 0x7ff00000, v[3:4]
	v_add_f64 v[26:27], v[16:17], -v[28:29]
	s_delay_alu instid0(VALU_DEP_4) | instskip(SKIP_2) | instid1(VALU_DEP_4)
	v_add_f64 v[24:25], v[16:17], v[22:23]
	v_add_f64 v[18:19], v[22:23], -v[18:19]
	v_add_f64 v[12:13], v[14:15], -v[12:13]
	;; [unrolled: 1-line block ×3, first 2 shown]
	s_delay_alu instid0(VALU_DEP_4) | instskip(NEXT) | instid1(VALU_DEP_4)
	v_add_f64 v[14:15], v[24:25], -v[16:17]
	v_add_f64 v[10:11], v[10:11], -v[18:19]
	s_delay_alu instid0(VALU_DEP_4) | instskip(NEXT) | instid1(VALU_DEP_3)
	v_mul_f64 v[12:13], v[12:13], 0.5
	v_add_f64 v[28:29], v[24:25], -v[14:15]
	v_add_f64 v[14:15], v[22:23], -v[14:15]
	s_delay_alu instid0(VALU_DEP_4) | instskip(NEXT) | instid1(VALU_DEP_4)
	v_add_f64 v[22:23], v[20:21], v[10:11]
	v_div_scale_f64 v[30:31], null, v[1:2], v[1:2], v[12:13]
	s_delay_alu instid0(VALU_DEP_4) | instskip(NEXT) | instid1(VALU_DEP_3)
	v_add_f64 v[16:17], v[16:17], -v[28:29]
	v_add_f64 v[26:27], v[22:23], -v[20:21]
	s_delay_alu instid0(VALU_DEP_3) | instskip(NEXT) | instid1(VALU_DEP_2)
	v_rcp_f64_e32 v[18:19], v[30:31]
	v_add_f64 v[14:15], v[14:15], v[16:17]
	s_delay_alu instid0(VALU_DEP_2) | instskip(SKIP_3) | instid1(VALU_DEP_2)
	v_add_f64 v[10:11], v[10:11], -v[26:27]
	s_waitcnt_depctr 0xfff
	v_fma_f64 v[16:17], -v[30:31], v[18:19], 1.0
	v_add_f64 v[14:15], v[22:23], v[14:15]
	v_fma_f64 v[16:17], v[18:19], v[16:17], v[18:19]
	v_add_f64 v[18:19], v[22:23], -v[26:27]
	s_delay_alu instid0(VALU_DEP_3) | instskip(NEXT) | instid1(VALU_DEP_3)
	v_add_f64 v[22:23], v[24:25], v[14:15]
	v_fma_f64 v[28:29], -v[30:31], v[16:17], 1.0
	s_delay_alu instid0(VALU_DEP_3) | instskip(NEXT) | instid1(VALU_DEP_3)
	v_add_f64 v[18:19], v[20:21], -v[18:19]
	v_add_f64 v[20:21], v[22:23], -v[24:25]
	v_div_scale_f64 v[24:25], vcc_lo, v[12:13], v[1:2], v[12:13]
	s_delay_alu instid0(VALU_DEP_4) | instskip(NEXT) | instid1(VALU_DEP_4)
	v_fma_f64 v[16:17], v[16:17], v[28:29], v[16:17]
	v_add_f64 v[10:11], v[10:11], v[18:19]
	s_delay_alu instid0(VALU_DEP_4) | instskip(NEXT) | instid1(VALU_DEP_3)
	v_add_f64 v[14:15], v[14:15], -v[20:21]
	v_mul_f64 v[18:19], v[24:25], v[16:17]
	s_delay_alu instid0(VALU_DEP_2) | instskip(NEXT) | instid1(VALU_DEP_2)
	v_add_f64 v[10:11], v[10:11], v[14:15]
	v_fma_f64 v[14:15], -v[30:31], v[18:19], v[24:25]
	s_delay_alu instid0(VALU_DEP_2) | instskip(NEXT) | instid1(VALU_DEP_2)
	v_add_f64 v[10:11], v[22:23], v[10:11]
	v_div_fmas_f64 v[14:15], v[14:15], v[16:17], v[18:19]
	v_cmp_neq_f64_e32 vcc_lo, 0, v[3:4]
	s_delay_alu instid0(VALU_DEP_3) | instskip(NEXT) | instid1(VALU_DEP_4)
	v_cndmask_b32_e64 v10, v10, v3, s2
	v_cndmask_b32_e64 v11, v11, v4, s2
	s_delay_alu instid0(VALU_DEP_4) | instskip(NEXT) | instid1(VALU_DEP_3)
	v_div_fixup_f64 v[1:2], v[14:15], v[1:2], v[12:13]
	v_cndmask_b32_e32 v3, 0, v10, vcc_lo
	s_delay_alu instid0(VALU_DEP_3) | instskip(NEXT) | instid1(VALU_DEP_1)
	v_cndmask_b32_e32 v4, 0xfff00000, v11, vcc_lo
	v_fma_f64 v[1:2], v[3:4], v[7:8], v[1:2]
	s_delay_alu instid0(VALU_DEP_1)
	v_mul_f64 v[3:4], v[5:6], v[1:2]
                                        ; implicit-def: $vgpr1_vgpr2
.LBB7_182:
	s_and_not1_saveexec_b32 s2, s31
	s_cbranch_execz .LBB7_184
; %bb.183:
	v_div_scale_f64 v[3:4], null, v[1:2], v[1:2], 0x40200000
	v_div_scale_f64 v[10:11], vcc_lo, 0x40200000, v[1:2], 0x40200000
	s_mov_b32 s34, 0x838f5ed3
	s_mov_b32 s35, 0x3c74af1a
	;; [unrolled: 1-line block ×4, first 2 shown]
	s_delay_alu instid0(VALU_DEP_2) | instskip(SKIP_2) | instid1(VALU_DEP_1)
	v_rcp_f64_e32 v[5:6], v[3:4]
	s_waitcnt_depctr 0xfff
	v_fma_f64 v[7:8], -v[3:4], v[5:6], 1.0
	v_fma_f64 v[5:6], v[5:6], v[7:8], v[5:6]
	s_delay_alu instid0(VALU_DEP_1) | instskip(NEXT) | instid1(VALU_DEP_1)
	v_fma_f64 v[7:8], -v[3:4], v[5:6], 1.0
	v_fma_f64 v[5:6], v[5:6], v[7:8], v[5:6]
	s_delay_alu instid0(VALU_DEP_1) | instskip(NEXT) | instid1(VALU_DEP_1)
	v_mul_f64 v[7:8], v[10:11], v[5:6]
	v_fma_f64 v[3:4], -v[3:4], v[7:8], v[10:11]
	s_delay_alu instid0(VALU_DEP_1) | instskip(SKIP_1) | instid1(VALU_DEP_2)
	v_div_fmas_f64 v[3:4], v[3:4], v[5:6], v[7:8]
	v_cmp_gt_f64_e32 vcc_lo, 0x10000000, v[1:2]
	v_div_fixup_f64 v[3:4], v[3:4], v[1:2], 0x40200000
	v_cndmask_b32_e64 v10, 0, 1, vcc_lo
	s_delay_alu instid0(VALU_DEP_1) | instskip(NEXT) | instid1(VALU_DEP_1)
	v_lshlrev_b32_e32 v10, 8, v10
	v_ldexp_f64 v[1:2], v[1:2], v10
	s_delay_alu instid0(VALU_DEP_4) | instskip(NEXT) | instid1(VALU_DEP_2)
	v_add_f64 v[3:4], v[3:4], -2.0
	v_rsq_f64_e32 v[10:11], v[1:2]
	s_delay_alu instid0(VALU_DEP_1)
	v_fma_f64 v[5:6], v[3:4], s[36:37], s[34:35]
	s_mov_b32 s37, 0x3c5a8c5d
	s_mov_b32 s34, 0x17771d52
	;; [unrolled: 1-line block ×3, first 2 shown]
	s_waitcnt_depctr 0xfff
	v_mul_f64 v[12:13], v[1:2], v[10:11]
	v_mul_f64 v[10:11], v[10:11], 0.5
	v_fma_f64 v[7:8], v[3:4], v[5:6], s[36:37]
	s_delay_alu instid0(VALU_DEP_2) | instskip(NEXT) | instid1(VALU_DEP_2)
	v_fma_f64 v[14:15], -v[10:11], v[12:13], 0.5
	v_add_f64 v[7:8], v[7:8], s[34:35]
	s_mov_b32 s34, 0x44ee2c0b
	s_mov_b32 s35, 0x3caa7d5e
	s_delay_alu instid0(VALU_DEP_2) | instskip(SKIP_1) | instid1(VALU_DEP_3)
	v_fma_f64 v[12:13], v[12:13], v[14:15], v[12:13]
	v_fma_f64 v[10:11], v[10:11], v[14:15], v[10:11]
	v_fma_f64 v[5:6], v[3:4], v[7:8], -v[5:6]
	s_delay_alu instid0(VALU_DEP_3) | instskip(NEXT) | instid1(VALU_DEP_2)
	v_fma_f64 v[14:15], -v[12:13], v[12:13], v[1:2]
	v_add_f64 v[5:6], v[5:6], s[34:35]
	s_mov_b32 s34, 0xd8758ef2
	s_mov_b32 s35, 0xbcc5d2a3
	s_delay_alu instid0(VALU_DEP_2) | instskip(NEXT) | instid1(VALU_DEP_2)
	v_fma_f64 v[12:13], v[14:15], v[10:11], v[12:13]
	v_fma_f64 v[7:8], v[3:4], v[5:6], -v[7:8]
	s_delay_alu instid0(VALU_DEP_1) | instskip(SKIP_2) | instid1(VALU_DEP_1)
	v_add_f64 v[7:8], v[7:8], s[34:35]
	s_mov_b32 s34, 0xefee81bd
	s_mov_b32 s35, 0x3ce25ced
	v_fma_f64 v[5:6], v[3:4], v[7:8], -v[5:6]
	s_delay_alu instid0(VALU_DEP_1) | instskip(SKIP_2) | instid1(VALU_DEP_1)
	v_add_f64 v[5:6], v[5:6], s[34:35]
	s_mov_b32 s34, 0x364185ab
	s_mov_b32 s35, 0xbcff9d52
	;; [unrolled: 5-line block ×20, first 2 shown]
	v_fma_f64 v[3:4], v[3:4], v[5:6], -v[7:8]
	v_fma_f64 v[5:6], -v[12:13], v[12:13], v[1:2]
	s_delay_alu instid0(VALU_DEP_2) | instskip(NEXT) | instid1(VALU_DEP_2)
	v_add_f64 v[3:4], v[3:4], s[34:35]
	v_fma_f64 v[5:6], v[5:6], v[10:11], v[12:13]
	s_delay_alu instid0(VALU_DEP_2) | instskip(SKIP_2) | instid1(VALU_DEP_2)
	v_add_f64 v[3:4], v[3:4], -v[7:8]
	v_cndmask_b32_e64 v7, 0, 0xffffff80, vcc_lo
	v_cmp_class_f64_e64 vcc_lo, v[1:2], 0x260
	v_ldexp_f64 v[5:6], v[5:6], v7
	s_delay_alu instid0(VALU_DEP_4) | instskip(NEXT) | instid1(VALU_DEP_2)
	v_mul_f64 v[3:4], v[3:4], 0.5
	v_dual_cndmask_b32 v1, v5, v1 :: v_dual_cndmask_b32 v2, v6, v2
	s_delay_alu instid0(VALU_DEP_1) | instskip(NEXT) | instid1(VALU_DEP_1)
	v_div_scale_f64 v[5:6], null, v[1:2], v[1:2], v[3:4]
	v_rcp_f64_e32 v[7:8], v[5:6]
	s_waitcnt_depctr 0xfff
	v_fma_f64 v[10:11], -v[5:6], v[7:8], 1.0
	s_delay_alu instid0(VALU_DEP_1) | instskip(NEXT) | instid1(VALU_DEP_1)
	v_fma_f64 v[7:8], v[7:8], v[10:11], v[7:8]
	v_fma_f64 v[10:11], -v[5:6], v[7:8], 1.0
	s_delay_alu instid0(VALU_DEP_1) | instskip(SKIP_1) | instid1(VALU_DEP_1)
	v_fma_f64 v[7:8], v[7:8], v[10:11], v[7:8]
	v_div_scale_f64 v[10:11], vcc_lo, v[3:4], v[1:2], v[3:4]
	v_mul_f64 v[12:13], v[10:11], v[7:8]
	s_delay_alu instid0(VALU_DEP_1) | instskip(NEXT) | instid1(VALU_DEP_1)
	v_fma_f64 v[5:6], -v[5:6], v[12:13], v[10:11]
	v_div_fmas_f64 v[5:6], v[5:6], v[7:8], v[12:13]
	s_delay_alu instid0(VALU_DEP_1)
	v_div_fixup_f64 v[3:4], v[5:6], v[1:2], v[3:4]
.LBB7_184:
	s_or_b32 exec_lo, exec_lo, s2
.LBB7_185:
	s_delay_alu instid0(SALU_CYCLE_1)
	s_or_b32 exec_lo, exec_lo, s21
.LBB7_186:
	s_delay_alu instid0(SALU_CYCLE_1) | instskip(SKIP_3) | instid1(SALU_CYCLE_1)
	s_or_b32 exec_lo, exec_lo, s20
	v_add_nc_u32_e32 v9, 0x80, v9
	global_store_b64 v0, v[3:4], s[4:5]
	s_or_b32 exec_lo, exec_lo, s30
	s_mov_b32 s20, exec_lo
	v_cmpx_gt_i32_e64 s27, v9
	s_cbranch_execz .LBB7_165
.LBB7_187:
	s_and_not1_b32 vcc_lo, exec_lo, s24
	s_cbranch_vccnz .LBB7_192
; %bb.188:
	v_dual_mov_b32 v0, 0 :: v_dual_mov_b32 v1, 0
	s_and_not1_b32 vcc_lo, exec_lo, s29
	s_mov_b32 s21, 0
	s_cbranch_vccnz .LBB7_197
; %bb.189:
	v_mov_b32_e32 v0, 0
	s_add_i32 s28, s28, 1
	s_cmp_eq_u32 s23, 2
	s_mov_b32 s27, 0
	s_cbranch_scc1 .LBB7_193
; %bb.190:
	v_dual_mov_b32 v1, 0 :: v_dual_mov_b32 v0, 0
	v_mov_b32_e32 v2, v9
	s_and_b32 s27, s28, 28
	s_mov_b32 s29, 0
	s_mov_b64 s[2:3], s[0:1]
.LBB7_191:                              ; =>This Inner Loop Header: Depth=1
	s_clause 0x1
	s_load_b256 s[36:43], s[2:3], 0x4
	s_load_b128 s[52:55], s[2:3], 0x24
	s_load_b256 s[44:51], s[18:19], 0x0
	s_add_u32 s2, s2, 48
	s_addc_u32 s3, s3, 0
	s_add_i32 s29, s29, 4
	s_add_u32 s18, s18, 32
	s_addc_u32 s19, s19, 0
	s_cmp_eq_u32 s27, s29
	s_waitcnt lgkmcnt(0)
	v_mul_hi_u32 v3, s37, v2
	s_delay_alu instid0(VALU_DEP_1) | instskip(NEXT) | instid1(VALU_DEP_1)
	v_add_nc_u32_e32 v3, v2, v3
	v_lshrrev_b32_e32 v3, s38, v3
	s_delay_alu instid0(VALU_DEP_1) | instskip(SKIP_1) | instid1(VALU_DEP_2)
	v_mul_hi_u32 v4, s40, v3
	v_mul_lo_u32 v6, v3, s36
	v_add_nc_u32_e32 v4, v3, v4
	s_delay_alu instid0(VALU_DEP_2) | instskip(NEXT) | instid1(VALU_DEP_2)
	v_sub_nc_u32_e32 v2, v2, v6
	v_lshrrev_b32_e32 v4, s41, v4
	s_delay_alu instid0(VALU_DEP_2) | instskip(SKIP_1) | instid1(VALU_DEP_3)
	v_mul_lo_u32 v6, v2, s44
	v_mul_lo_u32 v8, v2, s45
	v_mul_hi_u32 v5, s43, v4
	s_delay_alu instid0(VALU_DEP_1) | instskip(NEXT) | instid1(VALU_DEP_1)
	v_add_nc_u32_e32 v5, v4, v5
	v_lshrrev_b32_e32 v5, s52, v5
	s_delay_alu instid0(VALU_DEP_1) | instskip(SKIP_1) | instid1(VALU_DEP_2)
	v_mul_hi_u32 v7, s54, v5
	v_mul_lo_u32 v10, v5, s42
	v_add_nc_u32_e32 v2, v5, v7
	v_mul_lo_u32 v7, v4, s39
	s_delay_alu instid0(VALU_DEP_3) | instskip(NEXT) | instid1(VALU_DEP_3)
	v_sub_nc_u32_e32 v4, v4, v10
	v_lshrrev_b32_e32 v2, s55, v2
	s_delay_alu instid0(VALU_DEP_2) | instskip(SKIP_2) | instid1(VALU_DEP_4)
	v_mul_lo_u32 v10, v4, s48
	v_mul_lo_u32 v4, v4, s49
	v_sub_nc_u32_e32 v3, v3, v7
	v_mul_lo_u32 v11, v2, s53
	s_delay_alu instid0(VALU_DEP_2) | instskip(SKIP_1) | instid1(VALU_DEP_3)
	v_mul_lo_u32 v7, v3, s46
	v_mul_lo_u32 v3, v3, s47
	v_sub_nc_u32_e32 v5, v5, v11
	s_delay_alu instid0(VALU_DEP_3) | instskip(NEXT) | instid1(VALU_DEP_2)
	v_add3_u32 v0, v6, v0, v7
	v_mul_lo_u32 v11, v5, s50
	v_mul_lo_u32 v5, v5, s51
	v_add3_u32 v1, v8, v1, v3
	s_delay_alu instid0(VALU_DEP_3) | instskip(NEXT) | instid1(VALU_DEP_2)
	v_add3_u32 v0, v10, v0, v11
	v_add3_u32 v1, v4, v1, v5
	s_cbranch_scc0 .LBB7_191
	s_branch .LBB7_194
.LBB7_192:
	s_mov_b32 s21, -1
                                        ; implicit-def: $vgpr0
                                        ; implicit-def: $vgpr1
	s_branch .LBB7_197
.LBB7_193:
	v_dual_mov_b32 v2, v9 :: v_dual_mov_b32 v1, 0
.LBB7_194:
	s_and_b32 s28, s28, 3
	s_delay_alu instid0(SALU_CYCLE_1)
	s_cmp_eq_u32 s28, 0
	s_cbranch_scc1 .LBB7_197
; %bb.195:
	s_lshl_b32 s2, s27, 3
	s_mul_i32 s18, s27, 12
	s_add_u32 s2, s2, s0
	s_addc_u32 s3, s1, 0
	s_add_u32 s2, s2, 0xc4
	s_addc_u32 s3, s3, 0
	s_add_u32 s18, s0, s18
	s_addc_u32 s19, s1, 0
	.p2align	6
.LBB7_196:                              ; =>This Inner Loop Header: Depth=1
	s_clause 0x1
	s_load_b64 s[30:31], s[18:19], 0x4
	s_load_b32 s27, s[18:19], 0xc
	s_load_b64 s[34:35], s[2:3], 0x0
	s_add_u32 s18, s18, 12
	s_addc_u32 s19, s19, 0
	s_add_u32 s2, s2, 8
	s_addc_u32 s3, s3, 0
	s_add_i32 s28, s28, -1
	s_delay_alu instid0(SALU_CYCLE_1) | instskip(SKIP_2) | instid1(VALU_DEP_1)
	s_cmp_lg_u32 s28, 0
	s_waitcnt lgkmcnt(0)
	v_mul_hi_u32 v3, s31, v2
	v_add_nc_u32_e32 v3, v2, v3
	s_delay_alu instid0(VALU_DEP_1) | instskip(NEXT) | instid1(VALU_DEP_1)
	v_lshrrev_b32_e32 v6, s27, v3
	v_mul_lo_u32 v3, v6, s30
	s_delay_alu instid0(VALU_DEP_1) | instskip(NEXT) | instid1(VALU_DEP_1)
	v_sub_nc_u32_e32 v2, v2, v3
	v_mad_u64_u32 v[3:4], null, v2, s34, v[0:1]
	v_mad_u64_u32 v[4:5], null, v2, s35, v[1:2]
	v_mov_b32_e32 v2, v6
	s_delay_alu instid0(VALU_DEP_2)
	v_dual_mov_b32 v0, v3 :: v_dual_mov_b32 v1, v4
	s_cbranch_scc1 .LBB7_196
.LBB7_197:
	s_and_not1_b32 vcc_lo, exec_lo, s21
	s_cbranch_vccnz .LBB7_200
; %bb.198:
	s_waitcnt lgkmcnt(0)
	v_mul_hi_u32 v0, s13, v9
	s_and_not1_b32 vcc_lo, exec_lo, s26
	s_delay_alu instid0(VALU_DEP_1) | instskip(NEXT) | instid1(VALU_DEP_1)
	v_add_nc_u32_e32 v0, v9, v0
	v_lshrrev_b32_e32 v2, s14, v0
	s_delay_alu instid0(VALU_DEP_1) | instskip(NEXT) | instid1(VALU_DEP_1)
	v_mul_lo_u32 v0, v2, s12
	v_sub_nc_u32_e32 v1, v9, v0
	s_delay_alu instid0(VALU_DEP_1)
	v_mul_lo_u32 v0, v1, s8
	v_mul_lo_u32 v1, v1, s9
	s_cbranch_vccnz .LBB7_200
; %bb.199:
	v_mul_hi_u32 v3, s16, v2
	s_delay_alu instid0(VALU_DEP_1) | instskip(NEXT) | instid1(VALU_DEP_1)
	v_add_nc_u32_e32 v3, v2, v3
	v_lshrrev_b32_e32 v3, s17, v3
	s_delay_alu instid0(VALU_DEP_1) | instskip(NEXT) | instid1(VALU_DEP_1)
	v_mul_lo_u32 v3, v3, s15
	v_sub_nc_u32_e32 v5, v2, v3
	s_delay_alu instid0(VALU_DEP_1) | instskip(NEXT) | instid1(VALU_DEP_1)
	v_mad_u64_u32 v[2:3], null, v5, s10, v[0:1]
	v_mad_u64_u32 v[3:4], null, v5, s11, v[1:2]
	s_delay_alu instid0(VALU_DEP_1)
	v_dual_mov_b32 v0, v2 :: v_dual_mov_b32 v1, v3
.LBB7_200:
	s_waitcnt lgkmcnt(0)
	global_load_b64 v[1:2], v1, s[6:7]
	v_mov_b32_e32 v3, 0
	v_mov_b32_e32 v4, 0x7ff00000
	s_mov_b32 s6, exec_lo
	s_waitcnt vmcnt(0)
	v_cmpx_neq_f64_e32 0, v[1:2]
	s_cbranch_execz .LBB7_212
; %bb.201:
	v_mov_b32_e32 v3, 0
	v_mov_b32_e32 v4, 0x7ff80000
	s_mov_b32 s7, exec_lo
	v_cmpx_ngt_f64_e32 0, v[1:2]
	s_cbranch_execz .LBB7_211
; %bb.202:
                                        ; implicit-def: $vgpr3_vgpr4
	s_mov_b32 s2, exec_lo
	v_cmpx_ge_f64_e32 2.0, v[1:2]
	s_xor_b32 s8, exec_lo, s2
	s_cbranch_execz .LBB7_208
; %bb.203:
	v_mul_f64 v[3:4], v[1:2], 0.5
	s_mov_b32 s2, exec_lo
                                        ; implicit-def: $vgpr7_vgpr8
                                        ; implicit-def: $vgpr5_vgpr6
	v_cmpx_ge_f64_e32 0x40200000, v[1:2]
	s_xor_b32 s2, exec_lo, s2
	s_cbranch_execz .LBB7_205
; %bb.204:
	s_delay_alu instid0(VALU_DEP_2)
	v_add_f64 v[5:6], v[3:4], -2.0
	s_mov_b32 s10, 0xc38a0576
	s_mov_b32 s11, 0xbc7857d0
	;; [unrolled: 1-line block ×4, first 2 shown]
	v_cmp_nlt_f64_e32 vcc_lo, 0x40900000, v[1:2]
	s_delay_alu instid0(VALU_DEP_2) | instskip(SKIP_3) | instid1(VALU_DEP_1)
	v_fma_f64 v[7:8], v[5:6], s[12:13], s[10:11]
	s_mov_b32 s13, 0xbc499f2a
	s_mov_b32 s10, 0xe593bfac
	;; [unrolled: 1-line block ×3, first 2 shown]
	v_fma_f64 v[9:10], v[5:6], v[7:8], s[12:13]
	s_mov_b32 s12, 0x6a5dcb37
	s_mov_b32 s13, 0x3e5ade15
	s_delay_alu instid0(VALU_DEP_1) | instskip(SKIP_2) | instid1(VALU_DEP_1)
	v_add_f64 v[9:10], v[9:10], s[10:11]
	s_mov_b32 s10, 0x7e0d1573
	s_mov_b32 s11, 0xbcd3eaaa
	v_fma_f64 v[7:8], v[5:6], v[9:10], -v[7:8]
	s_delay_alu instid0(VALU_DEP_1) | instskip(SKIP_2) | instid1(VALU_DEP_1)
	v_add_f64 v[7:8], v[7:8], s[10:11]
	s_mov_b32 s10, 0x615290c
	s_mov_b32 s11, 0x3d011d7f
	v_fma_f64 v[9:10], v[5:6], v[7:8], -v[9:10]
	;; [unrolled: 5-line block ×19, first 2 shown]
	s_delay_alu instid0(VALU_DEP_1) | instskip(SKIP_2) | instid1(SALU_CYCLE_1)
	v_add_f64 v[7:8], v[7:8], s[10:11]
	s_mov_b32 s10, 0x652b82fe
	s_mov_b32 s11, 0x3ff71547
	v_mul_f64 v[11:12], v[1:2], s[10:11]
	s_mov_b32 s10, 0x49d3a1b4
	s_mov_b32 s11, 0x3f710653
	s_delay_alu instid0(VALU_DEP_2) | instskip(NEXT) | instid1(VALU_DEP_2)
	v_fma_f64 v[9:10], v[5:6], v[7:8], -v[9:10]
	v_rndne_f64_e32 v[11:12], v[11:12]
	s_delay_alu instid0(VALU_DEP_2)
	v_add_f64 v[9:10], v[9:10], s[10:11]
	s_mov_b32 s10, 0xfefa39ef
	s_mov_b32 s11, 0xbfe62e42
	s_delay_alu instid0(VALU_DEP_2) | instid1(SALU_CYCLE_1)
	v_fma_f64 v[13:14], v[11:12], s[10:11], v[1:2]
	s_mov_b32 s10, 0x7913a26a
	s_mov_b32 s11, 0xbf85a29f
	s_delay_alu instid0(VALU_DEP_2) | instskip(NEXT) | instid1(VALU_DEP_1)
	v_fma_f64 v[7:8], v[5:6], v[9:10], -v[7:8]
	v_add_f64 v[7:8], v[7:8], s[10:11]
	s_mov_b32 s10, 0x3b39803f
	s_mov_b32 s11, 0xbc7abc9e
	s_delay_alu instid0(VALU_DEP_3) | instid1(SALU_CYCLE_1)
	v_fma_f64 v[13:14], v[11:12], s[10:11], v[13:14]
	s_mov_b32 s10, 0xfca7ab0c
	s_mov_b32 s11, 0x3e928af3
	s_delay_alu instid0(VALU_DEP_2) | instskip(NEXT) | instid1(VALU_DEP_2)
	v_fma_f64 v[9:10], v[5:6], v[7:8], -v[9:10]
	v_fma_f64 v[15:16], v[13:14], s[12:13], s[10:11]
	s_mov_b32 s10, 0xe7bb2349
	s_mov_b32 s11, 0x3f9951e3
	s_delay_alu instid0(VALU_DEP_2) | instid1(SALU_CYCLE_1)
	v_add_f64 v[9:10], v[9:10], s[10:11]
	s_mov_b32 s10, 0x623fde64
	s_mov_b32 s11, 0x3ec71dee
	s_delay_alu instid0(VALU_DEP_2) | instid1(SALU_CYCLE_1)
	v_fma_f64 v[15:16], v[13:14], v[15:16], s[10:11]
	s_mov_b32 s10, 0x7c89e6b0
	s_mov_b32 s11, 0x3efa0199
	s_delay_alu instid0(VALU_DEP_2) | instskip(NEXT) | instid1(VALU_DEP_2)
	v_fma_f64 v[7:8], v[5:6], v[9:10], -v[7:8]
	v_fma_f64 v[15:16], v[13:14], v[15:16], s[10:11]
	s_mov_b32 s10, 0x537c9ebc
	s_mov_b32 s11, 0xbfab1bbc
	s_delay_alu instid0(VALU_DEP_2) | instid1(SALU_CYCLE_1)
	v_add_f64 v[7:8], v[7:8], s[10:11]
	s_mov_b32 s10, 0x14761f6e
	s_mov_b32 s11, 0x3f2a01a0
	s_delay_alu instid0(VALU_DEP_2) | instid1(SALU_CYCLE_1)
	;; [unrolled: 13-line block ×4, first 2 shown]
	v_fma_f64 v[15:16], v[13:14], v[15:16], s[10:11]
	s_mov_b32 s10, 11
	s_mov_b32 s11, 0x3fe00000
	s_delay_alu instid0(VALU_DEP_2) | instskip(NEXT) | instid1(VALU_DEP_2)
	v_fma_f64 v[5:6], v[5:6], v[7:8], -v[9:10]
	v_fma_f64 v[7:8], v[13:14], v[15:16], s[10:11]
	s_mov_b32 s10, 0x724a7ffa
	s_mov_b32 s11, 0x3fd02a63
	s_delay_alu instid0(VALU_DEP_2) | instid1(SALU_CYCLE_1)
	v_add_f64 v[5:6], v[5:6], s[10:11]
	s_delay_alu instid0(VALU_DEP_2) | instskip(NEXT) | instid1(VALU_DEP_2)
	v_fma_f64 v[7:8], v[13:14], v[7:8], 1.0
	v_add_f64 v[5:6], v[5:6], -v[9:10]
	v_cvt_i32_f64_e32 v9, v[11:12]
	s_delay_alu instid0(VALU_DEP_3) | instskip(NEXT) | instid1(VALU_DEP_3)
	v_fma_f64 v[7:8], v[13:14], v[7:8], 1.0
	v_mul_f64 v[5:6], v[5:6], 0.5
	s_delay_alu instid0(VALU_DEP_2) | instskip(NEXT) | instid1(VALU_DEP_2)
	v_ldexp_f64 v[7:8], v[7:8], v9
	v_mul_f64 v[9:10], v[1:2], v[5:6]
	s_delay_alu instid0(VALU_DEP_2) | instskip(NEXT) | instid1(VALU_DEP_3)
	v_cndmask_b32_e32 v6, 0x7ff00000, v8, vcc_lo
	v_cndmask_b32_e32 v5, 0, v7, vcc_lo
	s_delay_alu instid0(VALU_DEP_1)
	v_mul_f64 v[7:8], v[5:6], v[9:10]
.LBB7_205:
	s_and_not1_saveexec_b32 s3, s2
	s_cbranch_execz .LBB7_207
; %bb.206:
	v_div_scale_f64 v[5:6], null, v[1:2], v[1:2], 0x40400000
	v_div_scale_f64 v[11:12], vcc_lo, 0x40400000, v[1:2], 0x40400000
	s_mov_b32 s10, 0xea87b950
	s_mov_b32 s11, 0x3c545b8a
	;; [unrolled: 1-line block ×4, first 2 shown]
	v_cmp_nlt_f64_e64 s2, 0x40900000, v[1:2]
	s_delay_alu instid0(VALU_DEP_3) | instskip(SKIP_2) | instid1(VALU_DEP_1)
	v_rcp_f64_e32 v[7:8], v[5:6]
	s_waitcnt_depctr 0xfff
	v_fma_f64 v[9:10], -v[5:6], v[7:8], 1.0
	v_fma_f64 v[7:8], v[7:8], v[9:10], v[7:8]
	s_delay_alu instid0(VALU_DEP_1) | instskip(NEXT) | instid1(VALU_DEP_1)
	v_fma_f64 v[9:10], -v[5:6], v[7:8], 1.0
	v_fma_f64 v[7:8], v[7:8], v[9:10], v[7:8]
	s_delay_alu instid0(VALU_DEP_1) | instskip(NEXT) | instid1(VALU_DEP_1)
	v_mul_f64 v[9:10], v[11:12], v[7:8]
	v_fma_f64 v[5:6], -v[5:6], v[9:10], v[11:12]
	s_delay_alu instid0(VALU_DEP_1) | instskip(SKIP_1) | instid1(VALU_DEP_2)
	v_div_fmas_f64 v[5:6], v[5:6], v[7:8], v[9:10]
	v_cmp_gt_f64_e32 vcc_lo, 0x10000000, v[1:2]
	v_div_fixup_f64 v[5:6], v[5:6], v[1:2], 0x40400000
	v_cndmask_b32_e64 v17, 0, 1, vcc_lo
	s_delay_alu instid0(VALU_DEP_1) | instskip(NEXT) | instid1(VALU_DEP_1)
	v_lshlrev_b32_e32 v17, 8, v17
	v_ldexp_f64 v[17:18], v[1:2], v17
	s_delay_alu instid0(VALU_DEP_4) | instskip(NEXT) | instid1(VALU_DEP_2)
	v_add_f64 v[5:6], v[5:6], -2.0
	v_rsq_f64_e32 v[19:20], v[17:18]
	s_delay_alu instid0(VALU_DEP_1)
	v_fma_f64 v[7:8], v[5:6], s[12:13], s[10:11]
	s_mov_b32 s13, 0xbc61556d
	s_mov_b32 s10, 0xb2532277
	;; [unrolled: 1-line block ×3, first 2 shown]
	s_waitcnt_depctr 0xfff
	v_mul_f64 v[21:22], v[17:18], v[19:20]
	v_mul_f64 v[19:20], v[19:20], 0.5
	v_fma_f64 v[9:10], v[5:6], v[7:8], s[12:13]
	s_mov_b32 s12, 0x6a5dcb37
	s_mov_b32 s13, 0x3e5ade15
	s_delay_alu instid0(VALU_DEP_2) | instskip(NEXT) | instid1(VALU_DEP_2)
	v_fma_f64 v[23:24], -v[19:20], v[21:22], 0.5
	v_add_f64 v[9:10], v[9:10], s[10:11]
	s_mov_b32 s10, 0x9c773320
	s_mov_b32 s11, 0xbc82806c
	s_delay_alu instid0(VALU_DEP_2) | instskip(SKIP_1) | instid1(VALU_DEP_3)
	v_fma_f64 v[21:22], v[21:22], v[23:24], v[21:22]
	v_fma_f64 v[19:20], v[19:20], v[23:24], v[19:20]
	v_fma_f64 v[7:8], v[5:6], v[9:10], -v[7:8]
	s_delay_alu instid0(VALU_DEP_3) | instskip(NEXT) | instid1(VALU_DEP_2)
	v_fma_f64 v[23:24], -v[21:22], v[21:22], v[17:18]
	v_add_f64 v[7:8], v[7:8], s[10:11]
	s_mov_b32 s10, 0xfceb588a
	s_mov_b32 s11, 0x3cb55915
	s_delay_alu instid0(VALU_DEP_1) | instskip(NEXT) | instid1(VALU_DEP_1)
	v_fma_f64 v[9:10], v[5:6], v[7:8], -v[9:10]
	v_add_f64 v[9:10], v[9:10], s[10:11]
	s_mov_b32 s10, 0x5f04a2d1
	s_mov_b32 s11, 0x3cb7d68e
	s_delay_alu instid0(VALU_DEP_1) | instskip(NEXT) | instid1(VALU_DEP_1)
	v_fma_f64 v[7:8], v[5:6], v[9:10], -v[7:8]
	;; [unrolled: 5-line block ×14, first 2 shown]
	v_add_f64 v[7:8], v[7:8], s[10:11]
	s_mov_b32 s10, 0x652b82fe
	s_mov_b32 s11, 0x3ff71547
	s_delay_alu instid0(SALU_CYCLE_1) | instskip(SKIP_2) | instid1(VALU_DEP_2)
	v_mul_f64 v[11:12], v[1:2], s[10:11]
	s_mov_b32 s10, 0x9ad53528
	s_mov_b32 s11, 0xbe30790b
	v_fma_f64 v[9:10], v[5:6], v[7:8], -v[9:10]
	s_delay_alu instid0(VALU_DEP_2) | instskip(NEXT) | instid1(VALU_DEP_2)
	v_rndne_f64_e32 v[11:12], v[11:12]
	v_add_f64 v[9:10], v[9:10], s[10:11]
	s_mov_b32 s10, 0xfefa39ef
	s_mov_b32 s11, 0xbfe62e42
	s_delay_alu instid0(VALU_DEP_2) | instid1(SALU_CYCLE_1)
	v_fma_f64 v[13:14], v[11:12], s[10:11], v[1:2]
	s_mov_b32 s10, 0x3b39803f
	s_mov_b32 s11, 0xbc7abc9e
	s_delay_alu instid0(VALU_DEP_2) | instskip(NEXT) | instid1(VALU_DEP_2)
	v_fma_f64 v[7:8], v[5:6], v[9:10], -v[7:8]
	v_fma_f64 v[13:14], v[11:12], s[10:11], v[13:14]
	s_mov_b32 s10, 0x94bb46c1
	s_mov_b32 s11, 0xbe5c4153
	s_delay_alu instid0(VALU_DEP_2) | instid1(SALU_CYCLE_1)
	v_add_f64 v[7:8], v[7:8], s[10:11]
	s_mov_b32 s10, 0xfca7ab0c
	s_mov_b32 s11, 0x3e928af3
	s_delay_alu instid0(VALU_DEP_2) | instid1(SALU_CYCLE_1)
	v_fma_f64 v[15:16], v[13:14], s[12:13], s[10:11]
	s_mov_b32 s10, 0x623fde64
	s_mov_b32 s11, 0x3ec71dee
	s_delay_alu instid0(VALU_DEP_2) | instskip(NEXT) | instid1(VALU_DEP_2)
	v_fma_f64 v[9:10], v[5:6], v[7:8], -v[9:10]
	v_fma_f64 v[15:16], v[13:14], v[15:16], s[10:11]
	s_mov_b32 s10, 0x2e9e5443
	s_mov_b32 s11, 0xbe90dbfd
	s_delay_alu instid0(VALU_DEP_2) | instid1(SALU_CYCLE_1)
	v_add_f64 v[9:10], v[9:10], s[10:11]
	s_mov_b32 s10, 0x7c89e6b0
	s_mov_b32 s11, 0x3efa0199
	s_delay_alu instid0(VALU_DEP_2) | instid1(SALU_CYCLE_1)
	v_fma_f64 v[15:16], v[13:14], v[15:16], s[10:11]
	s_mov_b32 s10, 0x14761f6e
	s_mov_b32 s11, 0x3f2a01a0
	s_delay_alu instid0(VALU_DEP_2) | instskip(NEXT) | instid1(VALU_DEP_2)
	v_fma_f64 v[7:8], v[5:6], v[9:10], -v[7:8]
	v_fma_f64 v[15:16], v[13:14], v[15:16], s[10:11]
	s_mov_b32 s10, 0x49ca0373
	s_mov_b32 s11, 0xbed048df
	s_delay_alu instid0(VALU_DEP_2) | instid1(SALU_CYCLE_1)
	v_add_f64 v[7:8], v[7:8], s[10:11]
	s_mov_b32 s10, 0x1852b7b0
	s_mov_b32 s11, 0x3f56c16c
	s_delay_alu instid0(VALU_DEP_2) | instid1(SALU_CYCLE_1)
	v_fma_f64 v[15:16], v[13:14], v[15:16], s[10:11]
	s_mov_b32 s10, 0x11122322
	s_mov_b32 s11, 0x3f811111
	s_delay_alu instid0(VALU_DEP_2) | instskip(NEXT) | instid1(VALU_DEP_2)
	v_fma_f64 v[9:10], v[5:6], v[7:8], -v[9:10]
	v_fma_f64 v[15:16], v[13:14], v[15:16], s[10:11]
	s_mov_b32 s10, 0x804aa9a6
	s_mov_b32 s11, 0xbf1cfd7f
	s_delay_alu instid0(VALU_DEP_2) | instid1(SALU_CYCLE_1)
	v_add_f64 v[9:10], v[9:10], s[10:11]
	s_mov_b32 s10, 0x555502a1
	s_mov_b32 s11, 0x3fa55555
	s_delay_alu instid0(VALU_DEP_2) | instid1(SALU_CYCLE_1)
	v_fma_f64 v[15:16], v[13:14], v[15:16], s[10:11]
	s_mov_b32 s10, 0x55555511
	s_mov_b32 s11, 0x3fc55555
	s_delay_alu instid0(VALU_DEP_2) | instskip(NEXT) | instid1(VALU_DEP_2)
	v_fma_f64 v[7:8], v[5:6], v[9:10], -v[7:8]
	v_fma_f64 v[15:16], v[13:14], v[15:16], s[10:11]
	s_mov_b32 s10, 0x53fcdb4c
	s_mov_b32 s11, 0xbf83fda0
	s_delay_alu instid0(VALU_DEP_2) | instid1(SALU_CYCLE_1)
	v_add_f64 v[7:8], v[7:8], s[10:11]
	s_mov_b32 s10, 11
	s_mov_b32 s11, 0x3fe00000
	s_delay_alu instid0(VALU_DEP_2) | instid1(SALU_CYCLE_1)
	v_fma_f64 v[15:16], v[13:14], v[15:16], s[10:11]
	s_mov_b32 s10, 0xb55b1514
	s_mov_b32 s11, 0x3fe8ea18
	s_delay_alu instid0(VALU_DEP_2) | instskip(SKIP_2) | instid1(VALU_DEP_4)
	v_fma_f64 v[5:6], v[5:6], v[7:8], -v[9:10]
	v_fma_f64 v[7:8], v[23:24], v[19:20], v[21:22]
	v_cvt_i32_f64_e32 v21, v[11:12]
	v_fma_f64 v[15:16], v[13:14], v[15:16], 1.0
	s_delay_alu instid0(VALU_DEP_4) | instskip(NEXT) | instid1(VALU_DEP_4)
	v_add_f64 v[5:6], v[5:6], s[10:11]
	v_fma_f64 v[11:12], -v[7:8], v[7:8], v[17:18]
	s_delay_alu instid0(VALU_DEP_3) | instskip(NEXT) | instid1(VALU_DEP_3)
	v_fma_f64 v[13:14], v[13:14], v[15:16], 1.0
	v_add_f64 v[5:6], v[5:6], -v[9:10]
	s_delay_alu instid0(VALU_DEP_3) | instskip(NEXT) | instid1(VALU_DEP_3)
	v_fma_f64 v[7:8], v[11:12], v[19:20], v[7:8]
	v_ldexp_f64 v[9:10], v[13:14], v21
	s_delay_alu instid0(VALU_DEP_3) | instskip(SKIP_2) | instid1(VALU_DEP_4)
	v_mul_f64 v[11:12], v[5:6], 0.5
	v_cndmask_b32_e64 v5, 0, 0xffffff80, vcc_lo
	v_cmp_class_f64_e64 vcc_lo, v[17:18], 0x260
	v_cndmask_b32_e64 v6, 0x7ff00000, v10, s2
	s_delay_alu instid0(VALU_DEP_3) | instskip(SKIP_1) | instid1(VALU_DEP_1)
	v_ldexp_f64 v[7:8], v[7:8], v5
	v_cndmask_b32_e64 v5, 0, v9, s2
	v_mul_f64 v[9:10], v[5:6], v[11:12]
	s_delay_alu instid0(VALU_DEP_3) | instskip(NEXT) | instid1(VALU_DEP_1)
	v_dual_cndmask_b32 v8, v8, v18 :: v_dual_cndmask_b32 v7, v7, v17
	v_div_scale_f64 v[11:12], null, v[7:8], v[7:8], v[9:10]
	s_delay_alu instid0(VALU_DEP_1) | instskip(SKIP_2) | instid1(VALU_DEP_1)
	v_rcp_f64_e32 v[13:14], v[11:12]
	s_waitcnt_depctr 0xfff
	v_fma_f64 v[15:16], -v[11:12], v[13:14], 1.0
	v_fma_f64 v[13:14], v[13:14], v[15:16], v[13:14]
	s_delay_alu instid0(VALU_DEP_1) | instskip(NEXT) | instid1(VALU_DEP_1)
	v_fma_f64 v[15:16], -v[11:12], v[13:14], 1.0
	v_fma_f64 v[13:14], v[13:14], v[15:16], v[13:14]
	v_div_scale_f64 v[15:16], vcc_lo, v[9:10], v[7:8], v[9:10]
	s_delay_alu instid0(VALU_DEP_1) | instskip(NEXT) | instid1(VALU_DEP_1)
	v_mul_f64 v[17:18], v[15:16], v[13:14]
	v_fma_f64 v[11:12], -v[11:12], v[17:18], v[15:16]
	s_delay_alu instid0(VALU_DEP_1) | instskip(NEXT) | instid1(VALU_DEP_1)
	v_div_fmas_f64 v[11:12], v[11:12], v[13:14], v[17:18]
	v_div_fixup_f64 v[7:8], v[11:12], v[7:8], v[9:10]
.LBB7_207:
	s_or_b32 exec_lo, exec_lo, s3
	s_delay_alu instid0(VALU_DEP_2)
	v_frexp_mant_f64_e32 v[9:10], v[3:4]
	s_mov_b32 s3, 0x3fe55555
	s_mov_b32 s2, 0x55555555
	v_mov_b32_e32 v11, 0
	v_fma_f64 v[23:24], v[1:2], v[1:2], -2.0
	s_mov_b32 s10, 0x7a0399e0
	s_mov_b32 s11, 0xbce5dd51
	;; [unrolled: 1-line block ×4, first 2 shown]
	v_frexp_exp_i32_f64_e32 v27, v[3:4]
	s_delay_alu instid0(VALU_DEP_4) | instskip(SKIP_1) | instid1(VALU_DEP_3)
	v_cmp_gt_f64_e32 vcc_lo, s[2:3], v[9:10]
	s_mov_b32 s2, 0x55555780
	v_fma_f64 v[25:26], v[23:24], s[12:13], s[10:11]
	s_mov_b32 s13, 0x3c603228
	s_mov_b32 s10, 0xddd0e045
	;; [unrolled: 1-line block ×3, first 2 shown]
	v_cndmask_b32_e64 v12, 0x3ff00000, 2.0, vcc_lo
	s_delay_alu instid0(VALU_DEP_1) | instskip(NEXT) | instid1(VALU_DEP_1)
	v_mul_f64 v[9:10], v[9:10], v[11:12]
	v_add_f64 v[11:12], v[9:10], 1.0
	v_add_f64 v[17:18], v[9:10], -1.0
	s_delay_alu instid0(VALU_DEP_2) | instskip(SKIP_1) | instid1(VALU_DEP_1)
	v_rcp_f64_e32 v[13:14], v[11:12]
	v_add_f64 v[19:20], v[11:12], -1.0
	v_add_f64 v[9:10], v[9:10], -v[19:20]
	s_waitcnt_depctr 0xfff
	v_fma_f64 v[15:16], -v[11:12], v[13:14], 1.0
	s_delay_alu instid0(VALU_DEP_1) | instskip(NEXT) | instid1(VALU_DEP_1)
	v_fma_f64 v[13:14], v[15:16], v[13:14], v[13:14]
	v_fma_f64 v[15:16], -v[11:12], v[13:14], 1.0
	s_delay_alu instid0(VALU_DEP_1) | instskip(NEXT) | instid1(VALU_DEP_1)
	v_fma_f64 v[13:14], v[15:16], v[13:14], v[13:14]
	v_mul_f64 v[15:16], v[17:18], v[13:14]
	s_delay_alu instid0(VALU_DEP_1) | instskip(NEXT) | instid1(VALU_DEP_1)
	v_mul_f64 v[21:22], v[11:12], v[15:16]
	v_fma_f64 v[11:12], v[15:16], v[11:12], -v[21:22]
	s_delay_alu instid0(VALU_DEP_1) | instskip(NEXT) | instid1(VALU_DEP_1)
	v_fma_f64 v[9:10], v[15:16], v[9:10], v[11:12]
	v_add_f64 v[11:12], v[21:22], v[9:10]
	s_delay_alu instid0(VALU_DEP_1) | instskip(SKIP_1) | instid1(VALU_DEP_2)
	v_add_f64 v[19:20], v[17:18], -v[11:12]
	v_add_f64 v[21:22], v[11:12], -v[21:22]
	;; [unrolled: 1-line block ×3, first 2 shown]
	s_delay_alu instid0(VALU_DEP_2) | instskip(NEXT) | instid1(VALU_DEP_2)
	v_add_f64 v[9:10], v[21:22], -v[9:10]
	v_add_f64 v[11:12], v[17:18], -v[11:12]
	v_fma_f64 v[17:18], v[23:24], v[25:26], s[12:13]
	s_mov_b32 s12, 0xbf559e2b
	s_mov_b32 s13, 0x3fc3ab76
	s_delay_alu instid0(VALU_DEP_2) | instskip(NEXT) | instid1(VALU_DEP_2)
	v_add_f64 v[9:10], v[9:10], v[11:12]
	v_add_f64 v[11:12], v[17:18], s[10:11]
	s_mov_b32 s10, 0xb84626ca
	s_mov_b32 s11, 0xbde3663b
	s_delay_alu instid0(VALU_DEP_2) | instskip(NEXT) | instid1(VALU_DEP_2)
	v_add_f64 v[9:10], v[19:20], v[9:10]
	v_fma_f64 v[17:18], v[23:24], v[11:12], -v[25:26]
	s_delay_alu instid0(VALU_DEP_2) | instskip(NEXT) | instid1(VALU_DEP_2)
	v_mul_f64 v[9:10], v[13:14], v[9:10]
	v_add_f64 v[13:14], v[17:18], s[10:11]
	s_mov_b32 s10, 0x145c31d0
	s_mov_b32 s11, 0xbe57c41d
	s_delay_alu instid0(VALU_DEP_2) | instskip(NEXT) | instid1(VALU_DEP_2)
	v_add_f64 v[17:18], v[15:16], v[9:10]
	v_fma_f64 v[11:12], v[23:24], v[13:14], -v[11:12]
	s_delay_alu instid0(VALU_DEP_2) | instskip(NEXT) | instid1(VALU_DEP_2)
	v_mul_f64 v[19:20], v[17:18], v[17:18]
	v_add_f64 v[11:12], v[11:12], s[10:11]
	s_mov_b32 s10, 0x6b47b09a
	s_mov_b32 s11, 0x3fc38538
	v_add_f64 v[15:16], v[17:18], -v[15:16]
	s_delay_alu instid0(VALU_DEP_3) | instskip(NEXT) | instid1(VALU_DEP_3)
	v_fma_f64 v[21:22], v[19:20], s[12:13], s[10:11]
	v_fma_f64 v[13:14], v[23:24], v[11:12], -v[13:14]
	s_mov_b32 s10, 0xd7f4df2e
	s_mov_b32 s11, 0x3fc7474d
	v_mul_f64 v[25:26], v[17:18], v[19:20]
	s_delay_alu instid0(VALU_DEP_4) | instskip(NEXT) | instid1(VALU_DEP_4)
	v_add_f64 v[9:10], v[9:10], -v[15:16]
	v_fma_f64 v[21:22], v[19:20], v[21:22], s[10:11]
	s_mov_b32 s10, 0x2c832e3a
	s_mov_b32 s11, 0xbec469b3
	s_delay_alu instid0(VALU_DEP_4) | instid1(SALU_CYCLE_1)
	v_add_f64 v[13:14], v[13:14], s[10:11]
	s_mov_b32 s10, 0x16291751
	s_mov_b32 s11, 0x3fcc71c0
	s_delay_alu instid0(VALU_DEP_3) | instskip(NEXT) | instid1(VALU_DEP_3)
	v_ldexp_f64 v[9:10], v[9:10], 1
	v_fma_f64 v[21:22], v[19:20], v[21:22], s[10:11]
	s_mov_b32 s10, 0x9b27acf1
	s_mov_b32 s11, 0x3fd24924
	s_delay_alu instid0(VALU_DEP_3) | instskip(NEXT) | instid1(VALU_DEP_2)
	v_fma_f64 v[11:12], v[23:24], v[13:14], -v[11:12]
	v_fma_f64 v[21:22], v[19:20], v[21:22], s[10:11]
	s_mov_b32 s10, 0xe5a3bd02
	s_mov_b32 s11, 0xbf26ade2
	s_delay_alu instid0(VALU_DEP_2) | instid1(SALU_CYCLE_1)
	v_add_f64 v[11:12], v[11:12], s[10:11]
	s_mov_b32 s10, 0x998ef7b6
	s_mov_b32 s11, 0x3fd99999
	s_delay_alu instid0(VALU_DEP_2) | instid1(SALU_CYCLE_1)
	v_fma_f64 v[21:22], v[19:20], v[21:22], s[10:11]
	s_delay_alu instid0(VALU_DEP_2) | instskip(NEXT) | instid1(VALU_DEP_2)
	v_fma_f64 v[13:14], v[23:24], v[11:12], -v[13:14]
	v_fma_f64 v[19:20], v[19:20], v[21:22], s[2:3]
	s_mov_b32 s2, 0x9d7d4192
	s_mov_b32 s3, 0xbf7c9293
	v_ldexp_f64 v[21:22], v[17:18], 1
	s_delay_alu instid0(VALU_DEP_3) | instskip(SKIP_2) | instid1(VALU_DEP_3)
	v_add_f64 v[13:14], v[13:14], s[2:3]
	s_mov_b32 s2, 0x43c1db74
	s_mov_b32 s3, 0xbfbf6372
	v_mul_f64 v[19:20], v[25:26], v[19:20]
	v_subrev_co_ci_u32_e32 v25, vcc_lo, 0, v27, vcc_lo
	s_delay_alu instid0(VALU_DEP_3) | instskip(NEXT) | instid1(VALU_DEP_2)
	v_fma_f64 v[11:12], v[23:24], v[13:14], -v[11:12]
	v_cvt_f64_i32_e32 v[25:26], v25
	s_delay_alu instid0(VALU_DEP_4) | instskip(NEXT) | instid1(VALU_DEP_3)
	v_add_f64 v[17:18], v[21:22], v[19:20]
	v_add_f64 v[11:12], v[11:12], s[2:3]
	s_mov_b32 s2, 0xfefa39ef
	s_mov_b32 s3, 0x3fe62e42
	s_delay_alu instid0(VALU_DEP_3) | instid1(SALU_CYCLE_1)
	v_mul_f64 v[27:28], v[25:26], s[2:3]
	s_delay_alu instid0(VALU_DEP_3) | instskip(NEXT) | instid1(VALU_DEP_3)
	v_add_f64 v[15:16], v[17:18], -v[21:22]
	v_fma_f64 v[13:14], v[23:24], v[11:12], -v[13:14]
	s_delay_alu instid0(VALU_DEP_3) | instskip(SKIP_2) | instid1(VALU_DEP_3)
	v_fma_f64 v[21:22], v[25:26], s[2:3], -v[27:28]
	s_mov_b32 s2, 0x757b0dd4
	s_mov_b32 s3, 0xbfd69a1b
	v_add_f64 v[15:16], v[19:20], -v[15:16]
	s_delay_alu instid0(VALU_DEP_3)
	v_add_f64 v[13:14], v[13:14], s[2:3]
	s_mov_b32 s2, 0x3b39803f
	s_mov_b32 s3, 0x3c7abc9e
	s_delay_alu instid0(VALU_DEP_3) | instid1(SALU_CYCLE_1)
	v_fma_f64 v[19:20], v[25:26], s[2:3], v[21:22]
	s_mov_b32 s2, 0x361008ca
	s_mov_b32 s3, 0x3ff867a1
	s_delay_alu instid0(VALU_DEP_3) | instskip(NEXT) | instid1(VALU_DEP_3)
	v_add_f64 v[9:10], v[9:10], v[15:16]
	v_fma_f64 v[13:14], v[23:24], v[13:14], -v[11:12]
	s_delay_alu instid0(VALU_DEP_3) | instskip(NEXT) | instid1(VALU_DEP_3)
	v_add_f64 v[15:16], v[27:28], v[19:20]
	v_add_f64 v[21:22], v[17:18], v[9:10]
	s_delay_alu instid0(VALU_DEP_3) | instskip(SKIP_1) | instid1(VALU_DEP_4)
	v_add_f64 v[13:14], v[13:14], s[2:3]
	v_cmp_eq_f64_e64 s2, 0x7ff00000, v[3:4]
	v_add_f64 v[25:26], v[15:16], -v[27:28]
	s_delay_alu instid0(VALU_DEP_4) | instskip(SKIP_2) | instid1(VALU_DEP_4)
	v_add_f64 v[23:24], v[15:16], v[21:22]
	v_add_f64 v[17:18], v[21:22], -v[17:18]
	v_add_f64 v[11:12], v[13:14], -v[11:12]
	;; [unrolled: 1-line block ×3, first 2 shown]
	s_delay_alu instid0(VALU_DEP_4) | instskip(NEXT) | instid1(VALU_DEP_4)
	v_add_f64 v[13:14], v[23:24], -v[15:16]
	v_add_f64 v[9:10], v[9:10], -v[17:18]
	s_delay_alu instid0(VALU_DEP_4) | instskip(NEXT) | instid1(VALU_DEP_3)
	v_mul_f64 v[11:12], v[11:12], 0.5
	v_add_f64 v[27:28], v[23:24], -v[13:14]
	v_add_f64 v[13:14], v[21:22], -v[13:14]
	s_delay_alu instid0(VALU_DEP_4) | instskip(NEXT) | instid1(VALU_DEP_4)
	v_add_f64 v[21:22], v[19:20], v[9:10]
	v_div_scale_f64 v[29:30], null, v[1:2], v[1:2], v[11:12]
	s_delay_alu instid0(VALU_DEP_4) | instskip(NEXT) | instid1(VALU_DEP_3)
	v_add_f64 v[15:16], v[15:16], -v[27:28]
	v_add_f64 v[25:26], v[21:22], -v[19:20]
	s_delay_alu instid0(VALU_DEP_3) | instskip(NEXT) | instid1(VALU_DEP_2)
	v_rcp_f64_e32 v[17:18], v[29:30]
	v_add_f64 v[13:14], v[13:14], v[15:16]
	s_delay_alu instid0(VALU_DEP_2) | instskip(SKIP_3) | instid1(VALU_DEP_2)
	v_add_f64 v[9:10], v[9:10], -v[25:26]
	s_waitcnt_depctr 0xfff
	v_fma_f64 v[15:16], -v[29:30], v[17:18], 1.0
	v_add_f64 v[13:14], v[21:22], v[13:14]
	v_fma_f64 v[15:16], v[17:18], v[15:16], v[17:18]
	v_add_f64 v[17:18], v[21:22], -v[25:26]
	s_delay_alu instid0(VALU_DEP_3) | instskip(NEXT) | instid1(VALU_DEP_3)
	v_add_f64 v[21:22], v[23:24], v[13:14]
	v_fma_f64 v[27:28], -v[29:30], v[15:16], 1.0
	s_delay_alu instid0(VALU_DEP_3) | instskip(NEXT) | instid1(VALU_DEP_3)
	v_add_f64 v[17:18], v[19:20], -v[17:18]
	v_add_f64 v[19:20], v[21:22], -v[23:24]
	v_div_scale_f64 v[23:24], vcc_lo, v[11:12], v[1:2], v[11:12]
	s_delay_alu instid0(VALU_DEP_4) | instskip(NEXT) | instid1(VALU_DEP_4)
	v_fma_f64 v[15:16], v[15:16], v[27:28], v[15:16]
	v_add_f64 v[9:10], v[9:10], v[17:18]
	s_delay_alu instid0(VALU_DEP_4) | instskip(NEXT) | instid1(VALU_DEP_3)
	v_add_f64 v[13:14], v[13:14], -v[19:20]
	v_mul_f64 v[17:18], v[23:24], v[15:16]
	s_delay_alu instid0(VALU_DEP_2) | instskip(NEXT) | instid1(VALU_DEP_2)
	v_add_f64 v[9:10], v[9:10], v[13:14]
	v_fma_f64 v[13:14], -v[29:30], v[17:18], v[23:24]
	s_delay_alu instid0(VALU_DEP_2) | instskip(NEXT) | instid1(VALU_DEP_2)
	v_add_f64 v[9:10], v[21:22], v[9:10]
	v_div_fmas_f64 v[13:14], v[13:14], v[15:16], v[17:18]
	v_cmp_neq_f64_e32 vcc_lo, 0, v[3:4]
	s_delay_alu instid0(VALU_DEP_3) | instskip(NEXT) | instid1(VALU_DEP_4)
	v_cndmask_b32_e64 v9, v9, v3, s2
	v_cndmask_b32_e64 v10, v10, v4, s2
	s_delay_alu instid0(VALU_DEP_4) | instskip(NEXT) | instid1(VALU_DEP_2)
	v_div_fixup_f64 v[1:2], v[13:14], v[1:2], v[11:12]
	v_cndmask_b32_e32 v4, 0xfff00000, v10, vcc_lo
	s_delay_alu instid0(VALU_DEP_4) | instskip(NEXT) | instid1(VALU_DEP_1)
	v_cndmask_b32_e32 v3, 0, v9, vcc_lo
	v_fma_f64 v[1:2], v[3:4], v[7:8], v[1:2]
	s_delay_alu instid0(VALU_DEP_1)
	v_mul_f64 v[3:4], v[5:6], v[1:2]
                                        ; implicit-def: $vgpr1_vgpr2
.LBB7_208:
	s_and_not1_saveexec_b32 s2, s8
	s_cbranch_execz .LBB7_210
; %bb.209:
	v_div_scale_f64 v[3:4], null, v[1:2], v[1:2], 0x40200000
	v_div_scale_f64 v[9:10], vcc_lo, 0x40200000, v[1:2], 0x40200000
	s_mov_b32 s8, 0x838f5ed3
	s_mov_b32 s9, 0x3c74af1a
	;; [unrolled: 1-line block ×4, first 2 shown]
	s_delay_alu instid0(VALU_DEP_2) | instskip(SKIP_2) | instid1(VALU_DEP_1)
	v_rcp_f64_e32 v[5:6], v[3:4]
	s_waitcnt_depctr 0xfff
	v_fma_f64 v[7:8], -v[3:4], v[5:6], 1.0
	v_fma_f64 v[5:6], v[5:6], v[7:8], v[5:6]
	s_delay_alu instid0(VALU_DEP_1) | instskip(NEXT) | instid1(VALU_DEP_1)
	v_fma_f64 v[7:8], -v[3:4], v[5:6], 1.0
	v_fma_f64 v[5:6], v[5:6], v[7:8], v[5:6]
	s_delay_alu instid0(VALU_DEP_1) | instskip(NEXT) | instid1(VALU_DEP_1)
	v_mul_f64 v[7:8], v[9:10], v[5:6]
	v_fma_f64 v[3:4], -v[3:4], v[7:8], v[9:10]
	s_delay_alu instid0(VALU_DEP_1) | instskip(SKIP_1) | instid1(VALU_DEP_2)
	v_div_fmas_f64 v[3:4], v[3:4], v[5:6], v[7:8]
	v_cmp_gt_f64_e32 vcc_lo, 0x10000000, v[1:2]
	v_div_fixup_f64 v[3:4], v[3:4], v[1:2], 0x40200000
	v_cndmask_b32_e64 v9, 0, 1, vcc_lo
	s_delay_alu instid0(VALU_DEP_1) | instskip(NEXT) | instid1(VALU_DEP_1)
	v_lshlrev_b32_e32 v9, 8, v9
	v_ldexp_f64 v[1:2], v[1:2], v9
	s_delay_alu instid0(VALU_DEP_4) | instskip(NEXT) | instid1(VALU_DEP_2)
	v_add_f64 v[3:4], v[3:4], -2.0
	v_rsq_f64_e32 v[9:10], v[1:2]
	s_delay_alu instid0(VALU_DEP_1)
	v_fma_f64 v[5:6], v[3:4], s[10:11], s[8:9]
	s_mov_b32 s11, 0x3c5a8c5d
	s_mov_b32 s8, 0x17771d52
	;; [unrolled: 1-line block ×3, first 2 shown]
	s_waitcnt_depctr 0xfff
	v_mul_f64 v[11:12], v[1:2], v[9:10]
	v_mul_f64 v[9:10], v[9:10], 0.5
	v_fma_f64 v[7:8], v[3:4], v[5:6], s[10:11]
	s_delay_alu instid0(VALU_DEP_2) | instskip(NEXT) | instid1(VALU_DEP_2)
	v_fma_f64 v[13:14], -v[9:10], v[11:12], 0.5
	v_add_f64 v[7:8], v[7:8], s[8:9]
	s_mov_b32 s8, 0x44ee2c0b
	s_mov_b32 s9, 0x3caa7d5e
	s_delay_alu instid0(VALU_DEP_2) | instskip(SKIP_1) | instid1(VALU_DEP_3)
	v_fma_f64 v[11:12], v[11:12], v[13:14], v[11:12]
	v_fma_f64 v[9:10], v[9:10], v[13:14], v[9:10]
	v_fma_f64 v[5:6], v[3:4], v[7:8], -v[5:6]
	s_delay_alu instid0(VALU_DEP_3) | instskip(NEXT) | instid1(VALU_DEP_2)
	v_fma_f64 v[13:14], -v[11:12], v[11:12], v[1:2]
	v_add_f64 v[5:6], v[5:6], s[8:9]
	s_mov_b32 s8, 0xd8758ef2
	s_mov_b32 s9, 0xbcc5d2a3
	s_delay_alu instid0(VALU_DEP_2) | instskip(NEXT) | instid1(VALU_DEP_2)
	v_fma_f64 v[11:12], v[13:14], v[9:10], v[11:12]
	v_fma_f64 v[7:8], v[3:4], v[5:6], -v[7:8]
	s_delay_alu instid0(VALU_DEP_1) | instskip(SKIP_2) | instid1(VALU_DEP_1)
	v_add_f64 v[7:8], v[7:8], s[8:9]
	s_mov_b32 s8, 0xefee81bd
	s_mov_b32 s9, 0x3ce25ced
	v_fma_f64 v[5:6], v[3:4], v[7:8], -v[5:6]
	s_delay_alu instid0(VALU_DEP_1) | instskip(SKIP_2) | instid1(VALU_DEP_1)
	v_add_f64 v[5:6], v[5:6], s[8:9]
	s_mov_b32 s8, 0x364185ab
	s_mov_b32 s9, 0xbcff9d52
	;; [unrolled: 5-line block ×20, first 2 shown]
	v_fma_f64 v[3:4], v[3:4], v[5:6], -v[7:8]
	v_fma_f64 v[5:6], -v[11:12], v[11:12], v[1:2]
	s_delay_alu instid0(VALU_DEP_2) | instskip(NEXT) | instid1(VALU_DEP_2)
	v_add_f64 v[3:4], v[3:4], s[8:9]
	v_fma_f64 v[5:6], v[5:6], v[9:10], v[11:12]
	s_delay_alu instid0(VALU_DEP_2) | instskip(SKIP_2) | instid1(VALU_DEP_2)
	v_add_f64 v[3:4], v[3:4], -v[7:8]
	v_cndmask_b32_e64 v7, 0, 0xffffff80, vcc_lo
	v_cmp_class_f64_e64 vcc_lo, v[1:2], 0x260
	v_ldexp_f64 v[5:6], v[5:6], v7
	s_delay_alu instid0(VALU_DEP_4) | instskip(NEXT) | instid1(VALU_DEP_2)
	v_mul_f64 v[3:4], v[3:4], 0.5
	v_dual_cndmask_b32 v2, v6, v2 :: v_dual_cndmask_b32 v1, v5, v1
	s_delay_alu instid0(VALU_DEP_1) | instskip(NEXT) | instid1(VALU_DEP_1)
	v_div_scale_f64 v[5:6], null, v[1:2], v[1:2], v[3:4]
	v_rcp_f64_e32 v[7:8], v[5:6]
	s_waitcnt_depctr 0xfff
	v_fma_f64 v[9:10], -v[5:6], v[7:8], 1.0
	s_delay_alu instid0(VALU_DEP_1) | instskip(NEXT) | instid1(VALU_DEP_1)
	v_fma_f64 v[7:8], v[7:8], v[9:10], v[7:8]
	v_fma_f64 v[9:10], -v[5:6], v[7:8], 1.0
	s_delay_alu instid0(VALU_DEP_1) | instskip(SKIP_1) | instid1(VALU_DEP_1)
	v_fma_f64 v[7:8], v[7:8], v[9:10], v[7:8]
	v_div_scale_f64 v[9:10], vcc_lo, v[3:4], v[1:2], v[3:4]
	v_mul_f64 v[11:12], v[9:10], v[7:8]
	s_delay_alu instid0(VALU_DEP_1) | instskip(NEXT) | instid1(VALU_DEP_1)
	v_fma_f64 v[5:6], -v[5:6], v[11:12], v[9:10]
	v_div_fmas_f64 v[5:6], v[5:6], v[7:8], v[11:12]
	s_delay_alu instid0(VALU_DEP_1)
	v_div_fixup_f64 v[3:4], v[5:6], v[1:2], v[3:4]
.LBB7_210:
	s_or_b32 exec_lo, exec_lo, s2
.LBB7_211:
	s_delay_alu instid0(SALU_CYCLE_1)
	s_or_b32 exec_lo, exec_lo, s7
.LBB7_212:
	s_delay_alu instid0(SALU_CYCLE_1)
	s_or_b32 exec_lo, exec_lo, s6
	global_store_b64 v0, v[3:4], s[4:5]
	s_or_b32 exec_lo, exec_lo, s20
                                        ; implicit-def: $vgpr6
                                        ; implicit-def: $vgpr9
	s_and_not1_saveexec_b32 s2, s25
	s_cbranch_execz .LBB7_166
	s_branch .LBB7_8
	.section	.rodata,"a",@progbits
	.p2align	6, 0x0
	.amdhsa_kernel _ZN2at6native32elementwise_kernel_manual_unrollILi128ELi4EZNS0_22gpu_kernel_impl_nocastIZZZNS0_12_GLOBAL__N_137scaled_modified_bessel_k1_kernel_cudaERNS_18TensorIteratorBaseEENKUlvE_clEvENKUlvE_clEvEUldE_EEvS5_RKT_EUlibE_EEviT1_
		.amdhsa_group_segment_fixed_size 0
		.amdhsa_private_segment_fixed_size 0
		.amdhsa_kernarg_size 360
		.amdhsa_user_sgpr_count 15
		.amdhsa_user_sgpr_dispatch_ptr 0
		.amdhsa_user_sgpr_queue_ptr 0
		.amdhsa_user_sgpr_kernarg_segment_ptr 1
		.amdhsa_user_sgpr_dispatch_id 0
		.amdhsa_user_sgpr_private_segment_size 0
		.amdhsa_wavefront_size32 1
		.amdhsa_uses_dynamic_stack 0
		.amdhsa_enable_private_segment 0
		.amdhsa_system_sgpr_workgroup_id_x 1
		.amdhsa_system_sgpr_workgroup_id_y 0
		.amdhsa_system_sgpr_workgroup_id_z 0
		.amdhsa_system_sgpr_workgroup_info 0
		.amdhsa_system_vgpr_workitem_id 0
		.amdhsa_next_free_vgpr 41
		.amdhsa_next_free_sgpr 56
		.amdhsa_reserve_vcc 1
		.amdhsa_float_round_mode_32 0
		.amdhsa_float_round_mode_16_64 0
		.amdhsa_float_denorm_mode_32 3
		.amdhsa_float_denorm_mode_16_64 3
		.amdhsa_dx10_clamp 1
		.amdhsa_ieee_mode 1
		.amdhsa_fp16_overflow 0
		.amdhsa_workgroup_processor_mode 1
		.amdhsa_memory_ordered 1
		.amdhsa_forward_progress 0
		.amdhsa_shared_vgpr_count 0
		.amdhsa_exception_fp_ieee_invalid_op 0
		.amdhsa_exception_fp_denorm_src 0
		.amdhsa_exception_fp_ieee_div_zero 0
		.amdhsa_exception_fp_ieee_overflow 0
		.amdhsa_exception_fp_ieee_underflow 0
		.amdhsa_exception_fp_ieee_inexact 0
		.amdhsa_exception_int_div_zero 0
	.end_amdhsa_kernel
	.section	.text._ZN2at6native32elementwise_kernel_manual_unrollILi128ELi4EZNS0_22gpu_kernel_impl_nocastIZZZNS0_12_GLOBAL__N_137scaled_modified_bessel_k1_kernel_cudaERNS_18TensorIteratorBaseEENKUlvE_clEvENKUlvE_clEvEUldE_EEvS5_RKT_EUlibE_EEviT1_,"axG",@progbits,_ZN2at6native32elementwise_kernel_manual_unrollILi128ELi4EZNS0_22gpu_kernel_impl_nocastIZZZNS0_12_GLOBAL__N_137scaled_modified_bessel_k1_kernel_cudaERNS_18TensorIteratorBaseEENKUlvE_clEvENKUlvE_clEvEUldE_EEvS5_RKT_EUlibE_EEviT1_,comdat
.Lfunc_end7:
	.size	_ZN2at6native32elementwise_kernel_manual_unrollILi128ELi4EZNS0_22gpu_kernel_impl_nocastIZZZNS0_12_GLOBAL__N_137scaled_modified_bessel_k1_kernel_cudaERNS_18TensorIteratorBaseEENKUlvE_clEvENKUlvE_clEvEUldE_EEvS5_RKT_EUlibE_EEviT1_, .Lfunc_end7-_ZN2at6native32elementwise_kernel_manual_unrollILi128ELi4EZNS0_22gpu_kernel_impl_nocastIZZZNS0_12_GLOBAL__N_137scaled_modified_bessel_k1_kernel_cudaERNS_18TensorIteratorBaseEENKUlvE_clEvENKUlvE_clEvEUldE_EEvS5_RKT_EUlibE_EEviT1_
                                        ; -- End function
	.section	.AMDGPU.csdata,"",@progbits
; Kernel info:
; codeLenInByte = 55496
; NumSgprs: 58
; NumVgprs: 41
; ScratchSize: 0
; MemoryBound: 0
; FloatMode: 240
; IeeeMode: 1
; LDSByteSize: 0 bytes/workgroup (compile time only)
; SGPRBlocks: 7
; VGPRBlocks: 5
; NumSGPRsForWavesPerEU: 58
; NumVGPRsForWavesPerEU: 41
; Occupancy: 16
; WaveLimiterHint : 1
; COMPUTE_PGM_RSRC2:SCRATCH_EN: 0
; COMPUTE_PGM_RSRC2:USER_SGPR: 15
; COMPUTE_PGM_RSRC2:TRAP_HANDLER: 0
; COMPUTE_PGM_RSRC2:TGID_X_EN: 1
; COMPUTE_PGM_RSRC2:TGID_Y_EN: 0
; COMPUTE_PGM_RSRC2:TGID_Z_EN: 0
; COMPUTE_PGM_RSRC2:TIDIG_COMP_CNT: 0
	.text
	.p2align	2                               ; -- Begin function _ZN2at6native6invokeIZZZNS0_12_GLOBAL__N_137scaled_modified_bessel_k1_kernel_cudaERNS_18TensorIteratorBaseEENKUlvE_clEvENKUlvE_clEvEUldE_i15function_traitsIS7_EEENT1_11result_typeERKT_PrKPcPKT0_PKN3c1010ScalarTypeEi
	.type	_ZN2at6native6invokeIZZZNS0_12_GLOBAL__N_137scaled_modified_bessel_k1_kernel_cudaERNS_18TensorIteratorBaseEENKUlvE_clEvENKUlvE_clEvEUldE_i15function_traitsIS7_EEENT1_11result_typeERKT_PrKPcPKT0_PKN3c1010ScalarTypeEi,@function
_ZN2at6native6invokeIZZZNS0_12_GLOBAL__N_137scaled_modified_bessel_k1_kernel_cudaERNS_18TensorIteratorBaseEENKUlvE_clEvENKUlvE_clEvEUldE_i15function_traitsIS7_EEENT1_11result_typeERKT_PrKPcPKT0_PKN3c1010ScalarTypeEi: ; @_ZN2at6native6invokeIZZZNS0_12_GLOBAL__N_137scaled_modified_bessel_k1_kernel_cudaERNS_18TensorIteratorBaseEENKUlvE_clEvENKUlvE_clEvEUldE_i15function_traitsIS7_EEENT1_11result_typeERKT_PrKPcPKT0_PKN3c1010ScalarTypeEi
; %bb.0:
	s_waitcnt vmcnt(0) expcnt(0) lgkmcnt(0)
	v_mul_lo_u32 v2, v4, v2
	v_and_b32_e32 v4, 0xff, v3
	s_mov_b32 s0, 0
	s_mov_b32 s1, exec_lo
	s_delay_alu instid0(VALU_DEP_2) | instskip(SKIP_1) | instid1(VALU_DEP_2)
	v_ashrrev_i32_e32 v5, 31, v2
	v_add_co_u32 v0, vcc_lo, v0, v2
                                        ; implicit-def: $vgpr2_vgpr3
	v_add_co_ci_u32_e32 v1, vcc_lo, v1, v5, vcc_lo
	v_cmpx_lt_i16_e32 10, v4
	s_xor_b32 s2, exec_lo, s1
	s_cbranch_execz .LBB8_7
; %bb.1:
	s_mov_b32 s3, 0
	s_mov_b32 s6, 0
	;; [unrolled: 1-line block ×3, first 2 shown]
                                        ; implicit-def: $vgpr2_vgpr3
	s_mov_b32 s0, exec_lo
	v_cmpx_lt_i16_e32 25, v4
	s_xor_b32 s5, exec_lo, s0
	s_cbranch_execnz .LBB8_64
; %bb.2:
	s_and_not1_saveexec_b32 s5, s5
	s_cbranch_execnz .LBB8_99
.LBB8_3:
	s_or_b32 exec_lo, exec_lo, s5
	s_and_saveexec_b32 s0, s6
	s_cbranch_execnz .LBB8_126
.LBB8_4:
	s_or_b32 exec_lo, exec_lo, s0
	s_and_saveexec_b32 s0, s3
	s_delay_alu instid0(SALU_CYCLE_1)
	s_xor_b32 s0, exec_lo, s0
	s_cbranch_execz .LBB8_6
.LBB8_5:
	flat_load_u8 v0, v[0:1]
	v_mov_b32_e32 v2, 0
	s_or_b32 s4, s4, exec_lo
	s_waitcnt vmcnt(0) lgkmcnt(0)
	v_cmp_ne_u16_e32 vcc_lo, 0, v0
	v_cndmask_b32_e64 v3, 0, 0x3ff00000, vcc_lo
.LBB8_6:
	s_or_b32 exec_lo, exec_lo, s0
	s_delay_alu instid0(SALU_CYCLE_1)
	s_and_b32 s0, s4, exec_lo
                                        ; implicit-def: $vgpr4
                                        ; implicit-def: $vgpr0_vgpr1
.LBB8_7:
	s_and_not1_saveexec_b32 s1, s2
	s_cbranch_execnz .LBB8_10
; %bb.8:
	s_or_b32 exec_lo, exec_lo, s1
                                        ; implicit-def: $vgpr0_vgpr1
	s_and_saveexec_b32 s2, s0
	s_cbranch_execnz .LBB8_51
.LBB8_9:
	s_or_b32 exec_lo, exec_lo, s2
	s_waitcnt vmcnt(0) lgkmcnt(0)
	s_setpc_b64 s[30:31]
.LBB8_10:
	s_mov_b32 s2, exec_lo
                                        ; implicit-def: $vgpr2_vgpr3
	v_cmpx_lt_i16_e32 4, v4
	s_xor_b32 s2, exec_lo, s2
	s_cbranch_execz .LBB8_32
; %bb.11:
	s_mov_b32 s3, exec_lo
                                        ; implicit-def: $vgpr2_vgpr3
	v_cmpx_lt_i16_e32 7, v4
	s_xor_b32 s3, exec_lo, s3
	s_cbranch_execz .LBB8_21
; %bb.12:
	;; [unrolled: 6-line block ×4, first 2 shown]
	flat_load_b64 v[2:3], v[0:1]
                                        ; implicit-def: $vgpr0_vgpr1
.LBB8_15:
	s_and_not1_saveexec_b32 s5, s5
	s_cbranch_execz .LBB8_17
; %bb.16:
	flat_load_b32 v0, v[0:1]
	s_waitcnt vmcnt(0) lgkmcnt(0)
	v_cvt_f64_f32_e32 v[2:3], v0
.LBB8_17:
	s_or_b32 exec_lo, exec_lo, s5
                                        ; implicit-def: $vgpr0_vgpr1
.LBB8_18:
	s_and_not1_saveexec_b32 s4, s4
	s_cbranch_execz .LBB8_20
; %bb.19:
	flat_load_b32 v0, v[0:1]
	s_waitcnt vmcnt(0) lgkmcnt(0)
	v_cvt_f32_f16_e32 v0, v0
	s_delay_alu instid0(VALU_DEP_1)
	v_cvt_f64_f32_e32 v[2:3], v0
.LBB8_20:
	s_or_b32 exec_lo, exec_lo, s4
                                        ; implicit-def: $vgpr0_vgpr1
                                        ; implicit-def: $vgpr4
.LBB8_21:
	s_and_not1_saveexec_b32 s3, s3
	s_cbranch_execz .LBB8_31
; %bb.22:
	s_mov_b32 s4, exec_lo
                                        ; implicit-def: $vgpr2_vgpr3
	v_cmpx_lt_i16_e32 5, v4
	s_xor_b32 s4, exec_lo, s4
	s_cbranch_execz .LBB8_28
; %bb.23:
	s_mov_b32 s5, exec_lo
                                        ; implicit-def: $vgpr2_vgpr3
	v_cmpx_lt_i16_e32 6, v4
	s_xor_b32 s5, exec_lo, s5
	s_cbranch_execz .LBB8_25
; %bb.24:
	s_waitcnt vmcnt(0) lgkmcnt(0)
	flat_load_b64 v[2:3], v[0:1]
                                        ; implicit-def: $vgpr0_vgpr1
.LBB8_25:
	s_and_not1_saveexec_b32 s5, s5
	s_cbranch_execz .LBB8_27
; %bb.26:
	flat_load_b32 v0, v[0:1]
	s_waitcnt vmcnt(0) lgkmcnt(0)
	v_cvt_f64_f32_e32 v[2:3], v0
.LBB8_27:
	s_or_b32 exec_lo, exec_lo, s5
                                        ; implicit-def: $vgpr0_vgpr1
.LBB8_28:
	s_and_not1_saveexec_b32 s4, s4
	s_cbranch_execz .LBB8_30
; %bb.29:
	flat_load_u16 v0, v[0:1]
	s_waitcnt vmcnt(0) lgkmcnt(0)
	v_cvt_f32_f16_e32 v0, v0
	s_delay_alu instid0(VALU_DEP_1)
	v_cvt_f64_f32_e32 v[2:3], v0
.LBB8_30:
	s_or_b32 exec_lo, exec_lo, s4
.LBB8_31:
	s_delay_alu instid0(SALU_CYCLE_1)
	s_or_b32 exec_lo, exec_lo, s3
                                        ; implicit-def: $vgpr4
                                        ; implicit-def: $vgpr0_vgpr1
.LBB8_32:
	s_and_not1_saveexec_b32 s2, s2
	s_cbranch_execz .LBB8_50
; %bb.33:
	s_mov_b32 s3, exec_lo
                                        ; implicit-def: $vgpr2_vgpr3
	v_cmpx_lt_i16_e32 1, v4
	s_xor_b32 s3, exec_lo, s3
	s_cbranch_execz .LBB8_43
; %bb.34:
	s_mov_b32 s4, exec_lo
                                        ; implicit-def: $vgpr2_vgpr3
	v_cmpx_lt_i16_e32 2, v4
	s_xor_b32 s4, exec_lo, s4
	;; [unrolled: 6-line block ×3, first 2 shown]
	s_cbranch_execz .LBB8_37
; %bb.36:
	flat_load_b64 v[0:1], v[0:1]
	s_waitcnt vmcnt(0) lgkmcnt(0)
	v_cvt_f64_i32_e32 v[1:2], v1
	v_cvt_f64_u32_e32 v[3:4], v0
	s_delay_alu instid0(VALU_DEP_2) | instskip(NEXT) | instid1(VALU_DEP_1)
	v_ldexp_f64 v[1:2], v[1:2], 32
	v_add_f64 v[2:3], v[1:2], v[3:4]
                                        ; implicit-def: $vgpr0_vgpr1
.LBB8_37:
	s_and_not1_saveexec_b32 s5, s5
	s_cbranch_execz .LBB8_39
; %bb.38:
	flat_load_b32 v0, v[0:1]
	s_waitcnt vmcnt(0) lgkmcnt(0)
	v_cvt_f64_i32_e32 v[2:3], v0
.LBB8_39:
	s_or_b32 exec_lo, exec_lo, s5
                                        ; implicit-def: $vgpr0_vgpr1
.LBB8_40:
	s_and_not1_saveexec_b32 s4, s4
	s_cbranch_execz .LBB8_42
; %bb.41:
	flat_load_i16 v0, v[0:1]
	s_waitcnt vmcnt(0) lgkmcnt(0)
	v_cvt_f64_i32_e32 v[2:3], v0
.LBB8_42:
	s_or_b32 exec_lo, exec_lo, s4
                                        ; implicit-def: $vgpr0_vgpr1
                                        ; implicit-def: $vgpr4
.LBB8_43:
	s_and_not1_saveexec_b32 s3, s3
	s_cbranch_execz .LBB8_49
; %bb.44:
	s_mov_b32 s4, exec_lo
                                        ; implicit-def: $vgpr2_vgpr3
	v_cmpx_lt_i16_e32 0, v4
	s_xor_b32 s4, exec_lo, s4
	s_cbranch_execz .LBB8_46
; %bb.45:
	flat_load_i8 v0, v[0:1]
	s_waitcnt vmcnt(0) lgkmcnt(0)
	v_cvt_f64_i32_e32 v[2:3], v0
                                        ; implicit-def: $vgpr0_vgpr1
.LBB8_46:
	s_and_not1_saveexec_b32 s4, s4
	s_cbranch_execz .LBB8_48
; %bb.47:
	flat_load_u8 v0, v[0:1]
	s_waitcnt vmcnt(0) lgkmcnt(0)
	v_cvt_f64_u32_e32 v[2:3], v0
.LBB8_48:
	s_or_b32 exec_lo, exec_lo, s4
.LBB8_49:
	s_delay_alu instid0(SALU_CYCLE_1)
	s_or_b32 exec_lo, exec_lo, s3
.LBB8_50:
	s_delay_alu instid0(SALU_CYCLE_1) | instskip(NEXT) | instid1(SALU_CYCLE_1)
	s_or_b32 exec_lo, exec_lo, s2
	s_or_b32 s0, s0, exec_lo
	s_or_b32 exec_lo, exec_lo, s1
                                        ; implicit-def: $vgpr0_vgpr1
	s_and_saveexec_b32 s2, s0
	s_cbranch_execz .LBB8_9
.LBB8_51:
	v_mov_b32_e32 v0, 0
	v_mov_b32_e32 v1, 0x7ff00000
	s_mov_b32 s3, exec_lo
	s_waitcnt vmcnt(0) lgkmcnt(0)
	s_delay_alu instid0(VALU_DEP_3)
	v_cmpx_neq_f64_e32 0, v[2:3]
	s_cbranch_execz .LBB8_63
; %bb.52:
	v_mov_b32_e32 v0, 0
	v_mov_b32_e32 v1, 0x7ff80000
	s_mov_b32 s4, exec_lo
	v_cmpx_ngt_f64_e32 0, v[2:3]
	s_cbranch_execz .LBB8_62
; %bb.53:
                                        ; implicit-def: $vgpr0_vgpr1
	s_mov_b32 s0, exec_lo
	v_cmpx_ge_f64_e32 2.0, v[2:3]
	s_xor_b32 s5, exec_lo, s0
	s_cbranch_execz .LBB8_59
; %bb.54:
	v_mul_f64 v[0:1], v[2:3], 0.5
	s_mov_b32 s0, exec_lo
                                        ; implicit-def: $vgpr6_vgpr7
                                        ; implicit-def: $vgpr4_vgpr5
	v_cmpx_ge_f64_e32 0x40200000, v[2:3]
	s_xor_b32 s0, exec_lo, s0
	s_cbranch_execz .LBB8_56
; %bb.55:
	s_delay_alu instid0(VALU_DEP_2)
	v_add_f64 v[4:5], v[0:1], -2.0
	s_mov_b32 s6, 0xc38a0576
	s_mov_b32 s7, 0xbc7857d0
	s_mov_b32 s9, 0x3c499f2a
	s_mov_b32 s8, 0xc3c4014
	v_cmp_nlt_f64_e32 vcc_lo, 0x40900000, v[2:3]
	s_delay_alu instid0(VALU_DEP_2) | instskip(SKIP_3) | instid1(VALU_DEP_1)
	v_fma_f64 v[6:7], v[4:5], s[8:9], s[6:7]
	s_mov_b32 s9, 0xbc499f2a
	s_mov_b32 s6, 0xe593bfac
	s_mov_b32 s7, 0x3ca663e3
	v_fma_f64 v[8:9], v[4:5], v[6:7], s[8:9]
	s_mov_b32 s8, 0x6a5dcb37
	s_mov_b32 s9, 0x3e5ade15
	s_delay_alu instid0(VALU_DEP_1) | instskip(SKIP_2) | instid1(VALU_DEP_1)
	v_add_f64 v[8:9], v[8:9], s[6:7]
	s_mov_b32 s6, 0x7e0d1573
	s_mov_b32 s7, 0xbcd3eaaa
	v_fma_f64 v[6:7], v[4:5], v[8:9], -v[6:7]
	s_delay_alu instid0(VALU_DEP_1) | instskip(SKIP_2) | instid1(VALU_DEP_1)
	v_add_f64 v[6:7], v[6:7], s[6:7]
	s_mov_b32 s6, 0x615290c
	s_mov_b32 s7, 0x3d011d7f
	v_fma_f64 v[8:9], v[4:5], v[6:7], -v[8:9]
	;; [unrolled: 5-line block ×19, first 2 shown]
	s_delay_alu instid0(VALU_DEP_1) | instskip(SKIP_2) | instid1(SALU_CYCLE_1)
	v_add_f64 v[6:7], v[6:7], s[6:7]
	s_mov_b32 s6, 0x652b82fe
	s_mov_b32 s7, 0x3ff71547
	v_mul_f64 v[10:11], v[2:3], s[6:7]
	s_mov_b32 s6, 0x49d3a1b4
	s_mov_b32 s7, 0x3f710653
	s_delay_alu instid0(VALU_DEP_2) | instskip(NEXT) | instid1(VALU_DEP_2)
	v_fma_f64 v[8:9], v[4:5], v[6:7], -v[8:9]
	v_rndne_f64_e32 v[10:11], v[10:11]
	s_delay_alu instid0(VALU_DEP_2)
	v_add_f64 v[8:9], v[8:9], s[6:7]
	s_mov_b32 s6, 0xfefa39ef
	s_mov_b32 s7, 0xbfe62e42
	s_delay_alu instid0(VALU_DEP_2) | instid1(SALU_CYCLE_1)
	v_fma_f64 v[12:13], v[10:11], s[6:7], v[2:3]
	s_mov_b32 s6, 0x7913a26a
	s_mov_b32 s7, 0xbf85a29f
	s_delay_alu instid0(VALU_DEP_2) | instskip(NEXT) | instid1(VALU_DEP_1)
	v_fma_f64 v[6:7], v[4:5], v[8:9], -v[6:7]
	v_add_f64 v[6:7], v[6:7], s[6:7]
	s_mov_b32 s6, 0x3b39803f
	s_mov_b32 s7, 0xbc7abc9e
	s_delay_alu instid0(VALU_DEP_3) | instid1(SALU_CYCLE_1)
	v_fma_f64 v[12:13], v[10:11], s[6:7], v[12:13]
	s_mov_b32 s6, 0xfca7ab0c
	s_mov_b32 s7, 0x3e928af3
	s_delay_alu instid0(VALU_DEP_2) | instskip(NEXT) | instid1(VALU_DEP_2)
	v_fma_f64 v[8:9], v[4:5], v[6:7], -v[8:9]
	v_fma_f64 v[14:15], v[12:13], s[8:9], s[6:7]
	s_mov_b32 s6, 0xe7bb2349
	s_mov_b32 s7, 0x3f9951e3
	s_delay_alu instid0(VALU_DEP_2) | instid1(SALU_CYCLE_1)
	v_add_f64 v[8:9], v[8:9], s[6:7]
	s_mov_b32 s6, 0x623fde64
	s_mov_b32 s7, 0x3ec71dee
	s_delay_alu instid0(VALU_DEP_2) | instid1(SALU_CYCLE_1)
	v_fma_f64 v[14:15], v[12:13], v[14:15], s[6:7]
	s_mov_b32 s6, 0x7c89e6b0
	s_mov_b32 s7, 0x3efa0199
	s_delay_alu instid0(VALU_DEP_2) | instskip(NEXT) | instid1(VALU_DEP_2)
	v_fma_f64 v[6:7], v[4:5], v[8:9], -v[6:7]
	v_fma_f64 v[14:15], v[12:13], v[14:15], s[6:7]
	s_mov_b32 s6, 0x537c9ebc
	s_mov_b32 s7, 0xbfab1bbc
	s_delay_alu instid0(VALU_DEP_2) | instid1(SALU_CYCLE_1)
	v_add_f64 v[6:7], v[6:7], s[6:7]
	s_mov_b32 s6, 0x14761f6e
	s_mov_b32 s7, 0x3f2a01a0
	s_delay_alu instid0(VALU_DEP_2) | instid1(SALU_CYCLE_1)
	;; [unrolled: 13-line block ×4, first 2 shown]
	v_fma_f64 v[14:15], v[12:13], v[14:15], s[6:7]
	s_mov_b32 s6, 11
	s_mov_b32 s7, 0x3fe00000
	s_delay_alu instid0(VALU_DEP_2) | instskip(NEXT) | instid1(VALU_DEP_2)
	v_fma_f64 v[4:5], v[4:5], v[6:7], -v[8:9]
	v_fma_f64 v[6:7], v[12:13], v[14:15], s[6:7]
	s_mov_b32 s6, 0x724a7ffa
	s_mov_b32 s7, 0x3fd02a63
	s_delay_alu instid0(VALU_DEP_2) | instid1(SALU_CYCLE_1)
	v_add_f64 v[4:5], v[4:5], s[6:7]
	s_delay_alu instid0(VALU_DEP_2) | instskip(NEXT) | instid1(VALU_DEP_2)
	v_fma_f64 v[6:7], v[12:13], v[6:7], 1.0
	v_add_f64 v[4:5], v[4:5], -v[8:9]
	v_cvt_i32_f64_e32 v8, v[10:11]
	s_delay_alu instid0(VALU_DEP_3) | instskip(NEXT) | instid1(VALU_DEP_3)
	v_fma_f64 v[6:7], v[12:13], v[6:7], 1.0
	v_mul_f64 v[4:5], v[4:5], 0.5
	s_delay_alu instid0(VALU_DEP_2) | instskip(NEXT) | instid1(VALU_DEP_2)
	v_ldexp_f64 v[6:7], v[6:7], v8
	v_mul_f64 v[8:9], v[2:3], v[4:5]
	s_delay_alu instid0(VALU_DEP_2) | instskip(NEXT) | instid1(VALU_DEP_3)
	v_cndmask_b32_e32 v5, 0x7ff00000, v7, vcc_lo
	v_cndmask_b32_e32 v4, 0, v6, vcc_lo
	s_delay_alu instid0(VALU_DEP_1)
	v_mul_f64 v[6:7], v[4:5], v[8:9]
.LBB8_56:
	s_and_not1_saveexec_b32 s1, s0
	s_cbranch_execz .LBB8_58
; %bb.57:
	v_div_scale_f64 v[4:5], null, v[2:3], v[2:3], 0x40400000
	v_div_scale_f64 v[10:11], vcc_lo, 0x40400000, v[2:3], 0x40400000
	s_mov_b32 s6, 0xea87b950
	s_mov_b32 s7, 0x3c545b8a
	s_mov_b32 s9, 0x3c61556d
	s_mov_b32 s8, 0xb352e8e6
	v_cmp_nlt_f64_e64 s0, 0x40900000, v[2:3]
	s_delay_alu instid0(VALU_DEP_3) | instskip(SKIP_2) | instid1(VALU_DEP_1)
	v_rcp_f64_e32 v[6:7], v[4:5]
	s_waitcnt_depctr 0xfff
	v_fma_f64 v[8:9], -v[4:5], v[6:7], 1.0
	v_fma_f64 v[6:7], v[6:7], v[8:9], v[6:7]
	s_delay_alu instid0(VALU_DEP_1) | instskip(NEXT) | instid1(VALU_DEP_1)
	v_fma_f64 v[8:9], -v[4:5], v[6:7], 1.0
	v_fma_f64 v[6:7], v[6:7], v[8:9], v[6:7]
	s_delay_alu instid0(VALU_DEP_1) | instskip(NEXT) | instid1(VALU_DEP_1)
	v_mul_f64 v[8:9], v[10:11], v[6:7]
	v_fma_f64 v[4:5], -v[4:5], v[8:9], v[10:11]
	s_delay_alu instid0(VALU_DEP_1) | instskip(SKIP_1) | instid1(VALU_DEP_2)
	v_div_fmas_f64 v[4:5], v[4:5], v[6:7], v[8:9]
	v_cmp_gt_f64_e32 vcc_lo, 0x10000000, v[2:3]
	v_div_fixup_f64 v[4:5], v[4:5], v[2:3], 0x40400000
	v_cndmask_b32_e64 v16, 0, 1, vcc_lo
	s_delay_alu instid0(VALU_DEP_1) | instskip(NEXT) | instid1(VALU_DEP_1)
	v_lshlrev_b32_e32 v16, 8, v16
	v_ldexp_f64 v[16:17], v[2:3], v16
	s_delay_alu instid0(VALU_DEP_4) | instskip(NEXT) | instid1(VALU_DEP_2)
	v_add_f64 v[4:5], v[4:5], -2.0
	v_rsq_f64_e32 v[18:19], v[16:17]
	s_delay_alu instid0(VALU_DEP_1)
	v_fma_f64 v[6:7], v[4:5], s[8:9], s[6:7]
	s_mov_b32 s9, 0xbc61556d
	s_mov_b32 s6, 0xb2532277
	;; [unrolled: 1-line block ×3, first 2 shown]
	s_waitcnt_depctr 0xfff
	v_mul_f64 v[20:21], v[16:17], v[18:19]
	v_mul_f64 v[18:19], v[18:19], 0.5
	v_fma_f64 v[8:9], v[4:5], v[6:7], s[8:9]
	s_mov_b32 s8, 0x6a5dcb37
	s_mov_b32 s9, 0x3e5ade15
	s_delay_alu instid0(VALU_DEP_2) | instskip(NEXT) | instid1(VALU_DEP_2)
	v_fma_f64 v[22:23], -v[18:19], v[20:21], 0.5
	v_add_f64 v[8:9], v[8:9], s[6:7]
	s_mov_b32 s6, 0x9c773320
	s_mov_b32 s7, 0xbc82806c
	s_delay_alu instid0(VALU_DEP_2) | instskip(SKIP_1) | instid1(VALU_DEP_3)
	v_fma_f64 v[20:21], v[20:21], v[22:23], v[20:21]
	v_fma_f64 v[18:19], v[18:19], v[22:23], v[18:19]
	v_fma_f64 v[6:7], v[4:5], v[8:9], -v[6:7]
	s_delay_alu instid0(VALU_DEP_3) | instskip(NEXT) | instid1(VALU_DEP_2)
	v_fma_f64 v[22:23], -v[20:21], v[20:21], v[16:17]
	v_add_f64 v[6:7], v[6:7], s[6:7]
	s_mov_b32 s6, 0xfceb588a
	s_mov_b32 s7, 0x3cb55915
	s_delay_alu instid0(VALU_DEP_1) | instskip(NEXT) | instid1(VALU_DEP_1)
	v_fma_f64 v[8:9], v[4:5], v[6:7], -v[8:9]
	v_add_f64 v[8:9], v[8:9], s[6:7]
	s_mov_b32 s6, 0x5f04a2d1
	s_mov_b32 s7, 0x3cb7d68e
	s_delay_alu instid0(VALU_DEP_1) | instskip(NEXT) | instid1(VALU_DEP_1)
	v_fma_f64 v[6:7], v[4:5], v[8:9], -v[6:7]
	;; [unrolled: 5-line block ×14, first 2 shown]
	v_add_f64 v[6:7], v[6:7], s[6:7]
	s_mov_b32 s6, 0x652b82fe
	s_mov_b32 s7, 0x3ff71547
	s_delay_alu instid0(SALU_CYCLE_1) | instskip(SKIP_2) | instid1(VALU_DEP_2)
	v_mul_f64 v[10:11], v[2:3], s[6:7]
	s_mov_b32 s6, 0x9ad53528
	s_mov_b32 s7, 0xbe30790b
	v_fma_f64 v[8:9], v[4:5], v[6:7], -v[8:9]
	s_delay_alu instid0(VALU_DEP_2) | instskip(NEXT) | instid1(VALU_DEP_2)
	v_rndne_f64_e32 v[10:11], v[10:11]
	v_add_f64 v[8:9], v[8:9], s[6:7]
	s_mov_b32 s6, 0xfefa39ef
	s_mov_b32 s7, 0xbfe62e42
	s_delay_alu instid0(VALU_DEP_2) | instid1(SALU_CYCLE_1)
	v_fma_f64 v[12:13], v[10:11], s[6:7], v[2:3]
	s_mov_b32 s6, 0x3b39803f
	s_mov_b32 s7, 0xbc7abc9e
	s_delay_alu instid0(VALU_DEP_2) | instskip(NEXT) | instid1(VALU_DEP_2)
	v_fma_f64 v[6:7], v[4:5], v[8:9], -v[6:7]
	v_fma_f64 v[12:13], v[10:11], s[6:7], v[12:13]
	s_mov_b32 s6, 0x94bb46c1
	s_mov_b32 s7, 0xbe5c4153
	s_delay_alu instid0(VALU_DEP_2) | instid1(SALU_CYCLE_1)
	v_add_f64 v[6:7], v[6:7], s[6:7]
	s_mov_b32 s6, 0xfca7ab0c
	s_mov_b32 s7, 0x3e928af3
	s_delay_alu instid0(VALU_DEP_2) | instid1(SALU_CYCLE_1)
	v_fma_f64 v[14:15], v[12:13], s[8:9], s[6:7]
	s_mov_b32 s6, 0x623fde64
	s_mov_b32 s7, 0x3ec71dee
	s_delay_alu instid0(VALU_DEP_2) | instskip(NEXT) | instid1(VALU_DEP_2)
	v_fma_f64 v[8:9], v[4:5], v[6:7], -v[8:9]
	v_fma_f64 v[14:15], v[12:13], v[14:15], s[6:7]
	s_mov_b32 s6, 0x2e9e5443
	s_mov_b32 s7, 0xbe90dbfd
	s_delay_alu instid0(VALU_DEP_2) | instid1(SALU_CYCLE_1)
	v_add_f64 v[8:9], v[8:9], s[6:7]
	s_mov_b32 s6, 0x7c89e6b0
	s_mov_b32 s7, 0x3efa0199
	s_delay_alu instid0(VALU_DEP_2) | instid1(SALU_CYCLE_1)
	v_fma_f64 v[14:15], v[12:13], v[14:15], s[6:7]
	s_mov_b32 s6, 0x14761f6e
	s_mov_b32 s7, 0x3f2a01a0
	s_delay_alu instid0(VALU_DEP_2) | instskip(NEXT) | instid1(VALU_DEP_2)
	v_fma_f64 v[6:7], v[4:5], v[8:9], -v[6:7]
	v_fma_f64 v[14:15], v[12:13], v[14:15], s[6:7]
	s_mov_b32 s6, 0x49ca0373
	s_mov_b32 s7, 0xbed048df
	s_delay_alu instid0(VALU_DEP_2) | instid1(SALU_CYCLE_1)
	v_add_f64 v[6:7], v[6:7], s[6:7]
	s_mov_b32 s6, 0x1852b7b0
	s_mov_b32 s7, 0x3f56c16c
	s_delay_alu instid0(VALU_DEP_2) | instid1(SALU_CYCLE_1)
	v_fma_f64 v[14:15], v[12:13], v[14:15], s[6:7]
	s_mov_b32 s6, 0x11122322
	s_mov_b32 s7, 0x3f811111
	s_delay_alu instid0(VALU_DEP_2) | instskip(NEXT) | instid1(VALU_DEP_2)
	v_fma_f64 v[8:9], v[4:5], v[6:7], -v[8:9]
	v_fma_f64 v[14:15], v[12:13], v[14:15], s[6:7]
	s_mov_b32 s6, 0x804aa9a6
	s_mov_b32 s7, 0xbf1cfd7f
	s_delay_alu instid0(VALU_DEP_2) | instid1(SALU_CYCLE_1)
	v_add_f64 v[8:9], v[8:9], s[6:7]
	s_mov_b32 s6, 0x555502a1
	s_mov_b32 s7, 0x3fa55555
	s_delay_alu instid0(VALU_DEP_2) | instid1(SALU_CYCLE_1)
	v_fma_f64 v[14:15], v[12:13], v[14:15], s[6:7]
	s_mov_b32 s6, 0x55555511
	s_mov_b32 s7, 0x3fc55555
	s_delay_alu instid0(VALU_DEP_2) | instskip(NEXT) | instid1(VALU_DEP_2)
	v_fma_f64 v[6:7], v[4:5], v[8:9], -v[6:7]
	v_fma_f64 v[14:15], v[12:13], v[14:15], s[6:7]
	s_mov_b32 s6, 0x53fcdb4c
	s_mov_b32 s7, 0xbf83fda0
	s_delay_alu instid0(VALU_DEP_2) | instid1(SALU_CYCLE_1)
	v_add_f64 v[6:7], v[6:7], s[6:7]
	s_mov_b32 s6, 11
	s_mov_b32 s7, 0x3fe00000
	s_delay_alu instid0(VALU_DEP_2) | instid1(SALU_CYCLE_1)
	v_fma_f64 v[14:15], v[12:13], v[14:15], s[6:7]
	s_mov_b32 s6, 0xb55b1514
	s_mov_b32 s7, 0x3fe8ea18
	s_delay_alu instid0(VALU_DEP_2) | instskip(SKIP_2) | instid1(VALU_DEP_4)
	v_fma_f64 v[4:5], v[4:5], v[6:7], -v[8:9]
	v_fma_f64 v[6:7], v[22:23], v[18:19], v[20:21]
	v_cvt_i32_f64_e32 v20, v[10:11]
	v_fma_f64 v[14:15], v[12:13], v[14:15], 1.0
	s_delay_alu instid0(VALU_DEP_4) | instskip(NEXT) | instid1(VALU_DEP_4)
	v_add_f64 v[4:5], v[4:5], s[6:7]
	v_fma_f64 v[10:11], -v[6:7], v[6:7], v[16:17]
	s_delay_alu instid0(VALU_DEP_3) | instskip(NEXT) | instid1(VALU_DEP_3)
	v_fma_f64 v[12:13], v[12:13], v[14:15], 1.0
	v_add_f64 v[4:5], v[4:5], -v[8:9]
	s_delay_alu instid0(VALU_DEP_3) | instskip(NEXT) | instid1(VALU_DEP_3)
	v_fma_f64 v[6:7], v[10:11], v[18:19], v[6:7]
	v_ldexp_f64 v[8:9], v[12:13], v20
	s_delay_alu instid0(VALU_DEP_3) | instskip(SKIP_2) | instid1(VALU_DEP_4)
	v_mul_f64 v[10:11], v[4:5], 0.5
	v_cndmask_b32_e64 v4, 0, 0xffffff80, vcc_lo
	v_cmp_class_f64_e64 vcc_lo, v[16:17], 0x260
	v_cndmask_b32_e64 v5, 0x7ff00000, v9, s0
	s_delay_alu instid0(VALU_DEP_3) | instskip(SKIP_1) | instid1(VALU_DEP_1)
	v_ldexp_f64 v[6:7], v[6:7], v4
	v_cndmask_b32_e64 v4, 0, v8, s0
	v_mul_f64 v[8:9], v[4:5], v[10:11]
	s_delay_alu instid0(VALU_DEP_3) | instskip(NEXT) | instid1(VALU_DEP_1)
	v_dual_cndmask_b32 v7, v7, v17 :: v_dual_cndmask_b32 v6, v6, v16
	v_div_scale_f64 v[10:11], null, v[6:7], v[6:7], v[8:9]
	s_delay_alu instid0(VALU_DEP_1) | instskip(SKIP_2) | instid1(VALU_DEP_1)
	v_rcp_f64_e32 v[12:13], v[10:11]
	s_waitcnt_depctr 0xfff
	v_fma_f64 v[14:15], -v[10:11], v[12:13], 1.0
	v_fma_f64 v[12:13], v[12:13], v[14:15], v[12:13]
	s_delay_alu instid0(VALU_DEP_1) | instskip(NEXT) | instid1(VALU_DEP_1)
	v_fma_f64 v[14:15], -v[10:11], v[12:13], 1.0
	v_fma_f64 v[12:13], v[12:13], v[14:15], v[12:13]
	v_div_scale_f64 v[14:15], vcc_lo, v[8:9], v[6:7], v[8:9]
	s_delay_alu instid0(VALU_DEP_1) | instskip(NEXT) | instid1(VALU_DEP_1)
	v_mul_f64 v[16:17], v[14:15], v[12:13]
	v_fma_f64 v[10:11], -v[10:11], v[16:17], v[14:15]
	s_delay_alu instid0(VALU_DEP_1) | instskip(NEXT) | instid1(VALU_DEP_1)
	v_div_fmas_f64 v[10:11], v[10:11], v[12:13], v[16:17]
	v_div_fixup_f64 v[6:7], v[10:11], v[6:7], v[8:9]
.LBB8_58:
	s_or_b32 exec_lo, exec_lo, s1
	s_delay_alu instid0(VALU_DEP_2)
	v_frexp_mant_f64_e32 v[8:9], v[0:1]
	s_mov_b32 s1, 0x3fe55555
	s_mov_b32 s0, 0x55555555
	v_mov_b32_e32 v10, 0
	v_fma_f64 v[22:23], v[2:3], v[2:3], -2.0
	s_mov_b32 s6, 0x7a0399e0
	s_mov_b32 s7, 0xbce5dd51
	;; [unrolled: 1-line block ×4, first 2 shown]
	v_frexp_exp_i32_f64_e32 v26, v[0:1]
	s_delay_alu instid0(VALU_DEP_4) | instskip(SKIP_1) | instid1(VALU_DEP_3)
	v_cmp_gt_f64_e32 vcc_lo, s[0:1], v[8:9]
	s_mov_b32 s0, 0x55555780
	v_fma_f64 v[24:25], v[22:23], s[8:9], s[6:7]
	s_mov_b32 s9, 0x3c603228
	s_mov_b32 s6, 0xddd0e045
	;; [unrolled: 1-line block ×3, first 2 shown]
	v_cndmask_b32_e64 v11, 0x3ff00000, 2.0, vcc_lo
	s_delay_alu instid0(VALU_DEP_1) | instskip(NEXT) | instid1(VALU_DEP_1)
	v_mul_f64 v[8:9], v[8:9], v[10:11]
	v_add_f64 v[10:11], v[8:9], 1.0
	v_add_f64 v[16:17], v[8:9], -1.0
	s_delay_alu instid0(VALU_DEP_2) | instskip(SKIP_1) | instid1(VALU_DEP_1)
	v_rcp_f64_e32 v[12:13], v[10:11]
	v_add_f64 v[18:19], v[10:11], -1.0
	v_add_f64 v[8:9], v[8:9], -v[18:19]
	s_waitcnt_depctr 0xfff
	v_fma_f64 v[14:15], -v[10:11], v[12:13], 1.0
	s_delay_alu instid0(VALU_DEP_1) | instskip(NEXT) | instid1(VALU_DEP_1)
	v_fma_f64 v[12:13], v[14:15], v[12:13], v[12:13]
	v_fma_f64 v[14:15], -v[10:11], v[12:13], 1.0
	s_delay_alu instid0(VALU_DEP_1) | instskip(NEXT) | instid1(VALU_DEP_1)
	v_fma_f64 v[12:13], v[14:15], v[12:13], v[12:13]
	v_mul_f64 v[14:15], v[16:17], v[12:13]
	s_delay_alu instid0(VALU_DEP_1) | instskip(NEXT) | instid1(VALU_DEP_1)
	v_mul_f64 v[20:21], v[10:11], v[14:15]
	v_fma_f64 v[10:11], v[14:15], v[10:11], -v[20:21]
	s_delay_alu instid0(VALU_DEP_1) | instskip(NEXT) | instid1(VALU_DEP_1)
	v_fma_f64 v[8:9], v[14:15], v[8:9], v[10:11]
	v_add_f64 v[10:11], v[20:21], v[8:9]
	s_delay_alu instid0(VALU_DEP_1) | instskip(SKIP_1) | instid1(VALU_DEP_2)
	v_add_f64 v[18:19], v[16:17], -v[10:11]
	v_add_f64 v[20:21], v[10:11], -v[20:21]
	;; [unrolled: 1-line block ×3, first 2 shown]
	s_delay_alu instid0(VALU_DEP_2) | instskip(NEXT) | instid1(VALU_DEP_2)
	v_add_f64 v[8:9], v[20:21], -v[8:9]
	v_add_f64 v[10:11], v[16:17], -v[10:11]
	v_fma_f64 v[16:17], v[22:23], v[24:25], s[8:9]
	s_mov_b32 s8, 0xbf559e2b
	s_mov_b32 s9, 0x3fc3ab76
	s_delay_alu instid0(VALU_DEP_2) | instskip(NEXT) | instid1(VALU_DEP_2)
	v_add_f64 v[8:9], v[8:9], v[10:11]
	v_add_f64 v[10:11], v[16:17], s[6:7]
	s_mov_b32 s6, 0xb84626ca
	s_mov_b32 s7, 0xbde3663b
	s_delay_alu instid0(VALU_DEP_2) | instskip(NEXT) | instid1(VALU_DEP_2)
	v_add_f64 v[8:9], v[18:19], v[8:9]
	v_fma_f64 v[16:17], v[22:23], v[10:11], -v[24:25]
	s_delay_alu instid0(VALU_DEP_2) | instskip(NEXT) | instid1(VALU_DEP_2)
	v_mul_f64 v[8:9], v[12:13], v[8:9]
	v_add_f64 v[12:13], v[16:17], s[6:7]
	s_mov_b32 s6, 0x145c31d0
	s_mov_b32 s7, 0xbe57c41d
	s_delay_alu instid0(VALU_DEP_2) | instskip(NEXT) | instid1(VALU_DEP_2)
	v_add_f64 v[16:17], v[14:15], v[8:9]
	v_fma_f64 v[10:11], v[22:23], v[12:13], -v[10:11]
	s_delay_alu instid0(VALU_DEP_2) | instskip(NEXT) | instid1(VALU_DEP_2)
	v_mul_f64 v[18:19], v[16:17], v[16:17]
	v_add_f64 v[10:11], v[10:11], s[6:7]
	s_mov_b32 s6, 0x6b47b09a
	s_mov_b32 s7, 0x3fc38538
	v_add_f64 v[14:15], v[16:17], -v[14:15]
	s_delay_alu instid0(VALU_DEP_3) | instskip(NEXT) | instid1(VALU_DEP_3)
	v_fma_f64 v[20:21], v[18:19], s[8:9], s[6:7]
	v_fma_f64 v[12:13], v[22:23], v[10:11], -v[12:13]
	s_mov_b32 s6, 0xd7f4df2e
	s_mov_b32 s7, 0x3fc7474d
	v_mul_f64 v[24:25], v[16:17], v[18:19]
	s_delay_alu instid0(VALU_DEP_4) | instskip(NEXT) | instid1(VALU_DEP_4)
	v_add_f64 v[8:9], v[8:9], -v[14:15]
	v_fma_f64 v[20:21], v[18:19], v[20:21], s[6:7]
	s_mov_b32 s6, 0x2c832e3a
	s_mov_b32 s7, 0xbec469b3
	s_delay_alu instid0(VALU_DEP_4) | instid1(SALU_CYCLE_1)
	v_add_f64 v[12:13], v[12:13], s[6:7]
	s_mov_b32 s6, 0x16291751
	s_mov_b32 s7, 0x3fcc71c0
	s_delay_alu instid0(VALU_DEP_3) | instskip(NEXT) | instid1(VALU_DEP_3)
	v_ldexp_f64 v[8:9], v[8:9], 1
	v_fma_f64 v[20:21], v[18:19], v[20:21], s[6:7]
	s_mov_b32 s6, 0x9b27acf1
	s_mov_b32 s7, 0x3fd24924
	s_delay_alu instid0(VALU_DEP_3) | instskip(NEXT) | instid1(VALU_DEP_2)
	v_fma_f64 v[10:11], v[22:23], v[12:13], -v[10:11]
	v_fma_f64 v[20:21], v[18:19], v[20:21], s[6:7]
	s_mov_b32 s6, 0xe5a3bd02
	s_mov_b32 s7, 0xbf26ade2
	s_delay_alu instid0(VALU_DEP_2) | instid1(SALU_CYCLE_1)
	v_add_f64 v[10:11], v[10:11], s[6:7]
	s_mov_b32 s6, 0x998ef7b6
	s_mov_b32 s7, 0x3fd99999
	s_delay_alu instid0(VALU_DEP_2) | instid1(SALU_CYCLE_1)
	v_fma_f64 v[20:21], v[18:19], v[20:21], s[6:7]
	s_delay_alu instid0(VALU_DEP_2) | instskip(NEXT) | instid1(VALU_DEP_2)
	v_fma_f64 v[12:13], v[22:23], v[10:11], -v[12:13]
	v_fma_f64 v[18:19], v[18:19], v[20:21], s[0:1]
	s_mov_b32 s0, 0x9d7d4192
	s_mov_b32 s1, 0xbf7c9293
	v_ldexp_f64 v[20:21], v[16:17], 1
	s_delay_alu instid0(VALU_DEP_3) | instskip(SKIP_2) | instid1(VALU_DEP_3)
	v_add_f64 v[12:13], v[12:13], s[0:1]
	s_mov_b32 s0, 0x43c1db74
	s_mov_b32 s1, 0xbfbf6372
	v_mul_f64 v[18:19], v[24:25], v[18:19]
	v_subrev_co_ci_u32_e32 v24, vcc_lo, 0, v26, vcc_lo
	s_delay_alu instid0(VALU_DEP_3) | instskip(NEXT) | instid1(VALU_DEP_2)
	v_fma_f64 v[10:11], v[22:23], v[12:13], -v[10:11]
	v_cvt_f64_i32_e32 v[24:25], v24
	s_delay_alu instid0(VALU_DEP_4) | instskip(NEXT) | instid1(VALU_DEP_3)
	v_add_f64 v[16:17], v[20:21], v[18:19]
	v_add_f64 v[10:11], v[10:11], s[0:1]
	s_mov_b32 s0, 0xfefa39ef
	s_mov_b32 s1, 0x3fe62e42
	s_delay_alu instid0(VALU_DEP_3) | instid1(SALU_CYCLE_1)
	v_mul_f64 v[26:27], v[24:25], s[0:1]
	s_delay_alu instid0(VALU_DEP_3) | instskip(NEXT) | instid1(VALU_DEP_3)
	v_add_f64 v[14:15], v[16:17], -v[20:21]
	v_fma_f64 v[12:13], v[22:23], v[10:11], -v[12:13]
	s_delay_alu instid0(VALU_DEP_3) | instskip(SKIP_2) | instid1(VALU_DEP_3)
	v_fma_f64 v[20:21], v[24:25], s[0:1], -v[26:27]
	s_mov_b32 s0, 0x757b0dd4
	s_mov_b32 s1, 0xbfd69a1b
	v_add_f64 v[14:15], v[18:19], -v[14:15]
	s_delay_alu instid0(VALU_DEP_3)
	v_add_f64 v[12:13], v[12:13], s[0:1]
	s_mov_b32 s0, 0x3b39803f
	s_mov_b32 s1, 0x3c7abc9e
	s_delay_alu instid0(VALU_DEP_3) | instid1(SALU_CYCLE_1)
	v_fma_f64 v[18:19], v[24:25], s[0:1], v[20:21]
	s_mov_b32 s0, 0x361008ca
	s_mov_b32 s1, 0x3ff867a1
	s_delay_alu instid0(VALU_DEP_3) | instskip(NEXT) | instid1(VALU_DEP_3)
	v_add_f64 v[8:9], v[8:9], v[14:15]
	v_fma_f64 v[12:13], v[22:23], v[12:13], -v[10:11]
	s_delay_alu instid0(VALU_DEP_3) | instskip(NEXT) | instid1(VALU_DEP_3)
	v_add_f64 v[14:15], v[26:27], v[18:19]
	v_add_f64 v[20:21], v[16:17], v[8:9]
	s_delay_alu instid0(VALU_DEP_3) | instskip(SKIP_1) | instid1(VALU_DEP_4)
	v_add_f64 v[12:13], v[12:13], s[0:1]
	v_cmp_eq_f64_e64 s0, 0x7ff00000, v[0:1]
	v_add_f64 v[24:25], v[14:15], -v[26:27]
	s_delay_alu instid0(VALU_DEP_4) | instskip(SKIP_2) | instid1(VALU_DEP_4)
	v_add_f64 v[22:23], v[14:15], v[20:21]
	v_add_f64 v[16:17], v[20:21], -v[16:17]
	v_add_f64 v[10:11], v[12:13], -v[10:11]
	;; [unrolled: 1-line block ×3, first 2 shown]
	s_delay_alu instid0(VALU_DEP_4) | instskip(NEXT) | instid1(VALU_DEP_4)
	v_add_f64 v[12:13], v[22:23], -v[14:15]
	v_add_f64 v[8:9], v[8:9], -v[16:17]
	s_delay_alu instid0(VALU_DEP_4) | instskip(NEXT) | instid1(VALU_DEP_3)
	v_mul_f64 v[10:11], v[10:11], 0.5
	v_add_f64 v[26:27], v[22:23], -v[12:13]
	v_add_f64 v[12:13], v[20:21], -v[12:13]
	s_delay_alu instid0(VALU_DEP_4) | instskip(NEXT) | instid1(VALU_DEP_4)
	v_add_f64 v[20:21], v[18:19], v[8:9]
	v_div_scale_f64 v[28:29], null, v[2:3], v[2:3], v[10:11]
	s_delay_alu instid0(VALU_DEP_4) | instskip(NEXT) | instid1(VALU_DEP_3)
	v_add_f64 v[14:15], v[14:15], -v[26:27]
	v_add_f64 v[24:25], v[20:21], -v[18:19]
	s_delay_alu instid0(VALU_DEP_3) | instskip(NEXT) | instid1(VALU_DEP_2)
	v_rcp_f64_e32 v[16:17], v[28:29]
	v_add_f64 v[12:13], v[12:13], v[14:15]
	s_delay_alu instid0(VALU_DEP_2) | instskip(SKIP_3) | instid1(VALU_DEP_2)
	v_add_f64 v[8:9], v[8:9], -v[24:25]
	s_waitcnt_depctr 0xfff
	v_fma_f64 v[14:15], -v[28:29], v[16:17], 1.0
	v_add_f64 v[12:13], v[20:21], v[12:13]
	v_fma_f64 v[14:15], v[16:17], v[14:15], v[16:17]
	v_add_f64 v[16:17], v[20:21], -v[24:25]
	s_delay_alu instid0(VALU_DEP_3) | instskip(NEXT) | instid1(VALU_DEP_3)
	v_add_f64 v[20:21], v[22:23], v[12:13]
	v_fma_f64 v[26:27], -v[28:29], v[14:15], 1.0
	s_delay_alu instid0(VALU_DEP_3) | instskip(NEXT) | instid1(VALU_DEP_3)
	v_add_f64 v[16:17], v[18:19], -v[16:17]
	v_add_f64 v[18:19], v[20:21], -v[22:23]
	v_div_scale_f64 v[22:23], vcc_lo, v[10:11], v[2:3], v[10:11]
	s_delay_alu instid0(VALU_DEP_4) | instskip(NEXT) | instid1(VALU_DEP_4)
	v_fma_f64 v[14:15], v[14:15], v[26:27], v[14:15]
	v_add_f64 v[8:9], v[8:9], v[16:17]
	s_delay_alu instid0(VALU_DEP_4) | instskip(NEXT) | instid1(VALU_DEP_3)
	v_add_f64 v[12:13], v[12:13], -v[18:19]
	v_mul_f64 v[16:17], v[22:23], v[14:15]
	s_delay_alu instid0(VALU_DEP_2) | instskip(NEXT) | instid1(VALU_DEP_2)
	v_add_f64 v[8:9], v[8:9], v[12:13]
	v_fma_f64 v[12:13], -v[28:29], v[16:17], v[22:23]
	s_delay_alu instid0(VALU_DEP_2) | instskip(NEXT) | instid1(VALU_DEP_2)
	v_add_f64 v[8:9], v[20:21], v[8:9]
	v_div_fmas_f64 v[12:13], v[12:13], v[14:15], v[16:17]
	v_cmp_neq_f64_e32 vcc_lo, 0, v[0:1]
	s_delay_alu instid0(VALU_DEP_3) | instskip(NEXT) | instid1(VALU_DEP_4)
	v_cndmask_b32_e64 v8, v8, v0, s0
	v_cndmask_b32_e64 v9, v9, v1, s0
	s_delay_alu instid0(VALU_DEP_4) | instskip(NEXT) | instid1(VALU_DEP_2)
	v_div_fixup_f64 v[0:1], v[12:13], v[2:3], v[10:11]
	v_cndmask_b32_e32 v3, 0xfff00000, v9, vcc_lo
	s_delay_alu instid0(VALU_DEP_4) | instskip(NEXT) | instid1(VALU_DEP_1)
	v_cndmask_b32_e32 v2, 0, v8, vcc_lo
	v_fma_f64 v[0:1], v[2:3], v[6:7], v[0:1]
                                        ; implicit-def: $vgpr2_vgpr3
	s_delay_alu instid0(VALU_DEP_1)
	v_mul_f64 v[0:1], v[4:5], v[0:1]
.LBB8_59:
	s_and_not1_saveexec_b32 s0, s5
	s_cbranch_execz .LBB8_61
; %bb.60:
	v_div_scale_f64 v[0:1], null, v[2:3], v[2:3], 0x40200000
	v_div_scale_f64 v[8:9], vcc_lo, 0x40200000, v[2:3], 0x40200000
	s_mov_b32 s6, 0x838f5ed3
	s_mov_b32 s7, 0x3c74af1a
	;; [unrolled: 1-line block ×4, first 2 shown]
	s_delay_alu instid0(VALU_DEP_2) | instskip(SKIP_2) | instid1(VALU_DEP_1)
	v_rcp_f64_e32 v[4:5], v[0:1]
	s_waitcnt_depctr 0xfff
	v_fma_f64 v[6:7], -v[0:1], v[4:5], 1.0
	v_fma_f64 v[4:5], v[4:5], v[6:7], v[4:5]
	s_delay_alu instid0(VALU_DEP_1) | instskip(NEXT) | instid1(VALU_DEP_1)
	v_fma_f64 v[6:7], -v[0:1], v[4:5], 1.0
	v_fma_f64 v[4:5], v[4:5], v[6:7], v[4:5]
	s_delay_alu instid0(VALU_DEP_1) | instskip(NEXT) | instid1(VALU_DEP_1)
	v_mul_f64 v[6:7], v[8:9], v[4:5]
	v_fma_f64 v[0:1], -v[0:1], v[6:7], v[8:9]
	s_delay_alu instid0(VALU_DEP_1) | instskip(SKIP_1) | instid1(VALU_DEP_2)
	v_div_fmas_f64 v[0:1], v[0:1], v[4:5], v[6:7]
	v_cmp_gt_f64_e32 vcc_lo, 0x10000000, v[2:3]
	v_div_fixup_f64 v[0:1], v[0:1], v[2:3], 0x40200000
	v_cndmask_b32_e64 v8, 0, 1, vcc_lo
	s_delay_alu instid0(VALU_DEP_1) | instskip(NEXT) | instid1(VALU_DEP_1)
	v_lshlrev_b32_e32 v8, 8, v8
	v_ldexp_f64 v[2:3], v[2:3], v8
	s_delay_alu instid0(VALU_DEP_4) | instskip(NEXT) | instid1(VALU_DEP_2)
	v_add_f64 v[0:1], v[0:1], -2.0
	v_rsq_f64_e32 v[8:9], v[2:3]
	s_delay_alu instid0(VALU_DEP_1)
	v_fma_f64 v[4:5], v[0:1], s[8:9], s[6:7]
	s_mov_b32 s9, 0x3c5a8c5d
	s_mov_b32 s6, 0x17771d52
	;; [unrolled: 1-line block ×3, first 2 shown]
	s_waitcnt_depctr 0xfff
	v_mul_f64 v[10:11], v[2:3], v[8:9]
	v_mul_f64 v[8:9], v[8:9], 0.5
	v_fma_f64 v[6:7], v[0:1], v[4:5], s[8:9]
	s_delay_alu instid0(VALU_DEP_2) | instskip(NEXT) | instid1(VALU_DEP_2)
	v_fma_f64 v[12:13], -v[8:9], v[10:11], 0.5
	v_add_f64 v[6:7], v[6:7], s[6:7]
	s_mov_b32 s6, 0x44ee2c0b
	s_mov_b32 s7, 0x3caa7d5e
	s_delay_alu instid0(VALU_DEP_2) | instskip(SKIP_1) | instid1(VALU_DEP_3)
	v_fma_f64 v[10:11], v[10:11], v[12:13], v[10:11]
	v_fma_f64 v[8:9], v[8:9], v[12:13], v[8:9]
	v_fma_f64 v[4:5], v[0:1], v[6:7], -v[4:5]
	s_delay_alu instid0(VALU_DEP_3) | instskip(NEXT) | instid1(VALU_DEP_2)
	v_fma_f64 v[12:13], -v[10:11], v[10:11], v[2:3]
	v_add_f64 v[4:5], v[4:5], s[6:7]
	s_mov_b32 s6, 0xd8758ef2
	s_mov_b32 s7, 0xbcc5d2a3
	s_delay_alu instid0(VALU_DEP_2) | instskip(NEXT) | instid1(VALU_DEP_2)
	v_fma_f64 v[10:11], v[12:13], v[8:9], v[10:11]
	v_fma_f64 v[6:7], v[0:1], v[4:5], -v[6:7]
	s_delay_alu instid0(VALU_DEP_1) | instskip(SKIP_2) | instid1(VALU_DEP_1)
	v_add_f64 v[6:7], v[6:7], s[6:7]
	s_mov_b32 s6, 0xefee81bd
	s_mov_b32 s7, 0x3ce25ced
	v_fma_f64 v[4:5], v[0:1], v[6:7], -v[4:5]
	s_delay_alu instid0(VALU_DEP_1) | instskip(SKIP_2) | instid1(VALU_DEP_1)
	v_add_f64 v[4:5], v[4:5], s[6:7]
	s_mov_b32 s6, 0x364185ab
	s_mov_b32 s7, 0xbcff9d52
	;; [unrolled: 5-line block ×20, first 2 shown]
	v_fma_f64 v[0:1], v[0:1], v[4:5], -v[6:7]
	v_fma_f64 v[4:5], -v[10:11], v[10:11], v[2:3]
	s_delay_alu instid0(VALU_DEP_2) | instskip(NEXT) | instid1(VALU_DEP_2)
	v_add_f64 v[0:1], v[0:1], s[6:7]
	v_fma_f64 v[4:5], v[4:5], v[8:9], v[10:11]
	s_delay_alu instid0(VALU_DEP_2) | instskip(SKIP_2) | instid1(VALU_DEP_2)
	v_add_f64 v[0:1], v[0:1], -v[6:7]
	v_cndmask_b32_e64 v6, 0, 0xffffff80, vcc_lo
	v_cmp_class_f64_e64 vcc_lo, v[2:3], 0x260
	v_ldexp_f64 v[4:5], v[4:5], v6
	s_delay_alu instid0(VALU_DEP_4) | instskip(NEXT) | instid1(VALU_DEP_2)
	v_mul_f64 v[0:1], v[0:1], 0.5
	v_dual_cndmask_b32 v3, v5, v3 :: v_dual_cndmask_b32 v2, v4, v2
	s_delay_alu instid0(VALU_DEP_1) | instskip(NEXT) | instid1(VALU_DEP_1)
	v_div_scale_f64 v[4:5], null, v[2:3], v[2:3], v[0:1]
	v_rcp_f64_e32 v[6:7], v[4:5]
	s_waitcnt_depctr 0xfff
	v_fma_f64 v[8:9], -v[4:5], v[6:7], 1.0
	s_delay_alu instid0(VALU_DEP_1) | instskip(NEXT) | instid1(VALU_DEP_1)
	v_fma_f64 v[6:7], v[6:7], v[8:9], v[6:7]
	v_fma_f64 v[8:9], -v[4:5], v[6:7], 1.0
	s_delay_alu instid0(VALU_DEP_1) | instskip(SKIP_1) | instid1(VALU_DEP_1)
	v_fma_f64 v[6:7], v[6:7], v[8:9], v[6:7]
	v_div_scale_f64 v[8:9], vcc_lo, v[0:1], v[2:3], v[0:1]
	v_mul_f64 v[10:11], v[8:9], v[6:7]
	s_delay_alu instid0(VALU_DEP_1) | instskip(NEXT) | instid1(VALU_DEP_1)
	v_fma_f64 v[4:5], -v[4:5], v[10:11], v[8:9]
	v_div_fmas_f64 v[4:5], v[4:5], v[6:7], v[10:11]
	s_delay_alu instid0(VALU_DEP_1)
	v_div_fixup_f64 v[0:1], v[4:5], v[2:3], v[0:1]
.LBB8_61:
	s_or_b32 exec_lo, exec_lo, s0
.LBB8_62:
	s_delay_alu instid0(SALU_CYCLE_1)
	s_or_b32 exec_lo, exec_lo, s4
.LBB8_63:
	s_delay_alu instid0(SALU_CYCLE_1) | instskip(NEXT) | instid1(SALU_CYCLE_1)
	s_or_b32 exec_lo, exec_lo, s3
	s_or_b32 exec_lo, exec_lo, s2
	s_setpc_b64 s[30:31]
.LBB8_64:
	s_mov_b32 s0, exec_lo
                                        ; implicit-def: $vgpr2_vgpr3
	v_cmpx_lt_i16_e32 28, v4
	s_xor_b32 s0, exec_lo, s0
	s_cbranch_execz .LBB8_80
; %bb.65:
	s_mov_b32 s7, 0
	s_mov_b32 s1, exec_lo
                                        ; implicit-def: $vgpr2_vgpr3
	v_cmpx_lt_i16_e32 43, v4
	s_xor_b32 s1, exec_lo, s1
	s_cbranch_execz .LBB8_75
; %bb.66:
	s_mov_b32 s7, exec_lo
                                        ; implicit-def: $vgpr2_vgpr3
	v_cmpx_lt_i16_e32 45, v4
	s_xor_b32 s7, exec_lo, s7
	s_cbranch_execz .LBB8_70
; %bb.67:
	s_mov_b32 s8, -1
	s_mov_b32 s6, exec_lo
                                        ; implicit-def: $vgpr2_vgpr3
	v_cmpx_eq_u16_e32 46, v4
	s_cbranch_execz .LBB8_69
; %bb.68:
	flat_load_b32 v2, v[0:1]
	s_mov_b32 s4, exec_lo
	s_xor_b32 s8, exec_lo, -1
	s_waitcnt vmcnt(0) lgkmcnt(0)
	v_lshlrev_b32_e32 v2, 16, v2
	s_delay_alu instid0(VALU_DEP_1)
	v_cvt_f64_f32_e32 v[2:3], v2
.LBB8_69:
	s_or_b32 exec_lo, exec_lo, s6
	s_delay_alu instid0(SALU_CYCLE_1)
	s_and_b32 s6, s4, exec_lo
	s_and_b32 s4, s8, exec_lo
                                        ; implicit-def: $vgpr4
.LBB8_70:
	s_and_not1_saveexec_b32 s7, s7
	s_cbranch_execz .LBB8_74
; %bb.71:
	s_mov_b32 s9, -1
	s_mov_b32 s10, s6
	s_mov_b32 s8, exec_lo
                                        ; implicit-def: $vgpr2_vgpr3
	v_cmpx_eq_u16_e32 44, v4
	s_cbranch_execz .LBB8_73
; %bb.72:
	flat_load_u8 v4, v[0:1]
	s_or_b32 s10, s6, exec_lo
	s_xor_b32 s9, exec_lo, -1
	s_waitcnt vmcnt(0) lgkmcnt(0)
	v_cmp_ne_u32_e32 vcc_lo, 0xff, v4
	v_lshlrev_b32_e32 v2, 23, v4
	s_delay_alu instid0(VALU_DEP_1) | instskip(NEXT) | instid1(VALU_DEP_1)
	v_cvt_f64_f32_e32 v[2:3], v2
	v_cndmask_b32_e32 v3, 0x7ff80000, v3, vcc_lo
	s_delay_alu instid0(VALU_DEP_2) | instskip(SKIP_1) | instid1(VALU_DEP_3)
	v_cndmask_b32_e32 v2, 0x20000000, v2, vcc_lo
	v_cmp_ne_u32_e32 vcc_lo, 0, v4
	v_cndmask_b32_e32 v3, 0x38000000, v3, vcc_lo
	s_delay_alu instid0(VALU_DEP_3)
	v_cndmask_b32_e32 v2, 0, v2, vcc_lo
.LBB8_73:
	s_or_b32 exec_lo, exec_lo, s8
	s_delay_alu instid0(SALU_CYCLE_1)
	s_and_not1_b32 s6, s6, exec_lo
	s_and_b32 s8, s10, exec_lo
	s_and_not1_b32 s4, s4, exec_lo
	s_and_b32 s9, s9, exec_lo
	s_or_b32 s6, s6, s8
	s_or_b32 s4, s4, s9
.LBB8_74:
	s_or_b32 exec_lo, exec_lo, s7
	s_delay_alu instid0(SALU_CYCLE_1)
	s_and_b32 s7, s6, exec_lo
	s_and_b32 s6, s4, exec_lo
                                        ; implicit-def: $vgpr4
.LBB8_75:
	s_and_not1_saveexec_b32 s1, s1
	s_cbranch_execz .LBB8_79
; %bb.76:
	s_mov_b32 s4, -1
	s_mov_b32 s8, s7
	s_mov_b32 s9, exec_lo
                                        ; implicit-def: $vgpr2_vgpr3
	v_cmpx_eq_u16_e32 29, v4
	s_cbranch_execz .LBB8_78
; %bb.77:
	flat_load_b64 v[2:3], v[0:1]
	s_or_b32 s8, s7, exec_lo
	s_xor_b32 s4, exec_lo, -1
	s_waitcnt vmcnt(0) lgkmcnt(0)
	v_cvt_f64_u32_e32 v[3:4], v3
	v_cvt_f64_u32_e32 v[5:6], v2
	s_delay_alu instid0(VALU_DEP_2) | instskip(NEXT) | instid1(VALU_DEP_1)
	v_ldexp_f64 v[3:4], v[3:4], 32
	v_add_f64 v[2:3], v[3:4], v[5:6]
.LBB8_78:
	s_or_b32 exec_lo, exec_lo, s9
	s_delay_alu instid0(SALU_CYCLE_1)
	s_and_not1_b32 s7, s7, exec_lo
	s_and_b32 s8, s8, exec_lo
	s_and_not1_b32 s6, s6, exec_lo
	s_and_b32 s4, s4, exec_lo
	s_or_b32 s7, s7, s8
	s_or_b32 s6, s6, s4
.LBB8_79:
	s_or_b32 exec_lo, exec_lo, s1
	s_delay_alu instid0(SALU_CYCLE_1)
	s_and_b32 s4, s7, exec_lo
	s_and_b32 s6, s6, exec_lo
                                        ; implicit-def: $vgpr4
.LBB8_80:
	s_and_not1_saveexec_b32 s7, s0
	s_cbranch_execz .LBB8_98
; %bb.81:
	s_mov_b32 s0, exec_lo
                                        ; implicit-def: $vgpr2_vgpr3
	v_cmpx_lt_i16_e32 26, v4
	s_xor_b32 s0, exec_lo, s0
	s_cbranch_execz .LBB8_87
; %bb.82:
	s_mov_b32 s1, exec_lo
                                        ; implicit-def: $vgpr2_vgpr3
	v_cmpx_lt_i16_e32 27, v4
	s_xor_b32 s1, exec_lo, s1
	s_cbranch_execz .LBB8_84
; %bb.83:
	flat_load_b32 v2, v[0:1]
	s_waitcnt vmcnt(0) lgkmcnt(0)
	v_cvt_f64_u32_e32 v[2:3], v2
.LBB8_84:
	s_and_not1_saveexec_b32 s1, s1
	s_cbranch_execz .LBB8_86
; %bb.85:
	flat_load_u16 v2, v[0:1]
	s_waitcnt vmcnt(0) lgkmcnt(0)
	v_cvt_f64_u32_e32 v[2:3], v2
.LBB8_86:
	s_or_b32 exec_lo, exec_lo, s1
.LBB8_87:
	s_and_not1_saveexec_b32 s8, s0
	s_cbranch_execz .LBB8_97
; %bb.88:
	flat_load_u8 v4, v[0:1]
	s_mov_b32 s9, 0
	s_mov_b32 s10, exec_lo
                                        ; implicit-def: $sgpr0_sgpr1
	s_waitcnt vmcnt(0) lgkmcnt(0)
	v_cmpx_lt_i16_e32 0x7f, v4
	s_xor_b32 s10, exec_lo, s10
	s_cbranch_execz .LBB8_92
; %bb.89:
	s_mov_b32 s11, -1
	s_mov_b32 s9, exec_lo
                                        ; implicit-def: $sgpr0_sgpr1
	v_cmpx_eq_u16_e32 0x80, v4
; %bb.90:
	s_mov_b32 s1, 0x7ff80000
	s_brev_b32 s0, 4
	s_xor_b32 s11, exec_lo, -1
; %bb.91:
	s_or_b32 exec_lo, exec_lo, s9
	s_delay_alu instid0(SALU_CYCLE_1)
	s_and_b32 s9, s11, exec_lo
.LBB8_92:
	s_or_saveexec_b32 s10, s10
	v_dual_mov_b32 v3, s1 :: v_dual_mov_b32 v2, s0
	s_xor_b32 exec_lo, exec_lo, s10
; %bb.93:
	v_cmp_ne_u16_e32 vcc_lo, 0, v4
	v_mov_b32_e32 v2, 0
	v_mov_b32_e32 v3, 0
	s_and_not1_b32 s0, s9, exec_lo
	s_and_b32 s1, vcc_lo, exec_lo
	s_delay_alu instid0(SALU_CYCLE_1)
	s_or_b32 s9, s0, s1
; %bb.94:
	s_or_b32 exec_lo, exec_lo, s10
	s_and_saveexec_b32 s0, s9
	s_cbranch_execz .LBB8_96
; %bb.95:
	v_and_b32_e32 v2, 0xffff, v4
	v_lshlrev_b32_e32 v4, 24, v4
	s_delay_alu instid0(VALU_DEP_2) | instskip(NEXT) | instid1(VALU_DEP_2)
	v_and_b32_e32 v3, 7, v2
	v_and_b32_e32 v4, 0x80000000, v4
	s_delay_alu instid0(VALU_DEP_2) | instskip(NEXT) | instid1(VALU_DEP_1)
	v_clz_i32_u32_e32 v5, v3
	v_min_u32_e32 v5, 32, v5
	s_delay_alu instid0(VALU_DEP_1) | instskip(SKIP_1) | instid1(VALU_DEP_2)
	v_subrev_nc_u32_e32 v6, 28, v5
	v_sub_nc_u32_e32 v5, 29, v5
	v_lshlrev_b32_e32 v6, v6, v2
	v_bfe_u32 v2, v2, 3, 4
	s_delay_alu instid0(VALU_DEP_2) | instskip(NEXT) | instid1(VALU_DEP_2)
	v_and_b32_e32 v6, 7, v6
	v_cmp_eq_u32_e32 vcc_lo, 0, v2
	s_delay_alu instid0(VALU_DEP_2) | instskip(NEXT) | instid1(VALU_DEP_1)
	v_dual_cndmask_b32 v2, v2, v5 :: v_dual_cndmask_b32 v3, v3, v6
	v_lshl_add_u32 v2, v2, 23, 0x3b800000
	s_delay_alu instid0(VALU_DEP_2) | instskip(NEXT) | instid1(VALU_DEP_1)
	v_lshlrev_b32_e32 v3, 20, v3
	v_or3_b32 v2, v4, v2, v3
	s_delay_alu instid0(VALU_DEP_1)
	v_cvt_f64_f32_e32 v[2:3], v2
.LBB8_96:
	s_or_b32 exec_lo, exec_lo, s0
.LBB8_97:
	s_delay_alu instid0(SALU_CYCLE_1) | instskip(NEXT) | instid1(SALU_CYCLE_1)
	s_or_b32 exec_lo, exec_lo, s8
	s_or_b32 s4, s4, exec_lo
.LBB8_98:
	s_or_b32 exec_lo, exec_lo, s7
	s_delay_alu instid0(SALU_CYCLE_1)
	s_and_b32 s4, s4, exec_lo
	s_and_b32 s6, s6, exec_lo
                                        ; implicit-def: $vgpr4
	s_and_not1_saveexec_b32 s5, s5
	s_cbranch_execz .LBB8_3
.LBB8_99:
	s_mov_b32 s0, s4
                                        ; implicit-def: $vgpr2_vgpr3
	s_mov_b32 s1, exec_lo
	v_cmpx_lt_i16_e32 22, v4
	s_xor_b32 s3, exec_lo, s1
	s_cbranch_execz .LBB8_117
; %bb.100:
                                        ; implicit-def: $vgpr2_vgpr3
	s_mov_b32 s0, exec_lo
	v_cmpx_lt_i16_e32 23, v4
	s_xor_b32 s7, exec_lo, s0
	s_cbranch_execz .LBB8_114
; %bb.101:
	;; [unrolled: 6-line block ×3, first 2 shown]
	flat_load_u8 v4, v[0:1]
	s_mov_b32 s9, 0
	s_mov_b32 s10, exec_lo
                                        ; implicit-def: $sgpr0_sgpr1
	s_waitcnt vmcnt(0) lgkmcnt(0)
	v_cmpx_lt_i16_e32 0x7f, v4
	s_xor_b32 s10, exec_lo, s10
	s_cbranch_execz .LBB8_106
; %bb.103:
	s_mov_b32 s11, -1
	s_mov_b32 s9, exec_lo
                                        ; implicit-def: $sgpr0_sgpr1
	v_cmpx_eq_u16_e32 0x80, v4
; %bb.104:
	s_mov_b32 s1, 0x7ff80000
	s_brev_b32 s0, 4
	s_xor_b32 s11, exec_lo, -1
; %bb.105:
	s_or_b32 exec_lo, exec_lo, s9
	s_delay_alu instid0(SALU_CYCLE_1)
	s_and_b32 s9, s11, exec_lo
.LBB8_106:
	s_or_saveexec_b32 s10, s10
	v_dual_mov_b32 v3, s1 :: v_dual_mov_b32 v2, s0
	s_xor_b32 exec_lo, exec_lo, s10
; %bb.107:
	v_cmp_ne_u16_e32 vcc_lo, 0, v4
	v_mov_b32_e32 v2, 0
	v_mov_b32_e32 v3, 0
	s_and_not1_b32 s0, s9, exec_lo
	s_and_b32 s1, vcc_lo, exec_lo
	s_delay_alu instid0(SALU_CYCLE_1)
	s_or_b32 s9, s0, s1
; %bb.108:
	s_or_b32 exec_lo, exec_lo, s10
	s_and_saveexec_b32 s0, s9
	s_cbranch_execz .LBB8_110
; %bb.109:
	v_and_b32_e32 v2, 0xffff, v4
	v_lshlrev_b32_e32 v4, 24, v4
	s_delay_alu instid0(VALU_DEP_2) | instskip(NEXT) | instid1(VALU_DEP_2)
	v_and_b32_e32 v3, 3, v2
	v_and_b32_e32 v4, 0x80000000, v4
	s_delay_alu instid0(VALU_DEP_2) | instskip(NEXT) | instid1(VALU_DEP_1)
	v_clz_i32_u32_e32 v5, v3
	v_min_u32_e32 v5, 32, v5
	s_delay_alu instid0(VALU_DEP_1) | instskip(SKIP_1) | instid1(VALU_DEP_2)
	v_subrev_nc_u32_e32 v6, 29, v5
	v_sub_nc_u32_e32 v5, 30, v5
	v_lshlrev_b32_e32 v6, v6, v2
	v_bfe_u32 v2, v2, 2, 5
	s_delay_alu instid0(VALU_DEP_2) | instskip(NEXT) | instid1(VALU_DEP_2)
	v_and_b32_e32 v6, 3, v6
	v_cmp_eq_u32_e32 vcc_lo, 0, v2
	s_delay_alu instid0(VALU_DEP_2) | instskip(NEXT) | instid1(VALU_DEP_1)
	v_dual_cndmask_b32 v2, v2, v5 :: v_dual_cndmask_b32 v3, v3, v6
	v_lshl_add_u32 v2, v2, 23, 0x37800000
	s_delay_alu instid0(VALU_DEP_2) | instskip(NEXT) | instid1(VALU_DEP_1)
	v_lshlrev_b32_e32 v3, 21, v3
	v_or3_b32 v2, v4, v2, v3
	s_delay_alu instid0(VALU_DEP_1)
	v_cvt_f64_f32_e32 v[2:3], v2
.LBB8_110:
	s_or_b32 exec_lo, exec_lo, s0
.LBB8_111:
	s_and_not1_saveexec_b32 s0, s8
	s_cbranch_execz .LBB8_113
; %bb.112:
	flat_load_u8 v2, v[0:1]
	s_waitcnt vmcnt(0) lgkmcnt(0)
	v_lshlrev_b32_e32 v2, 24, v2
	s_delay_alu instid0(VALU_DEP_1) | instskip(NEXT) | instid1(VALU_DEP_1)
	v_and_b32_e32 v3, 0x7f000000, v2
	v_clz_i32_u32_e32 v4, v3
	v_add_nc_u32_e32 v6, 0x1000000, v3
	v_cmp_ne_u32_e32 vcc_lo, 0, v3
	s_delay_alu instid0(VALU_DEP_3) | instskip(NEXT) | instid1(VALU_DEP_1)
	v_min_u32_e32 v4, 32, v4
	v_sub_nc_u32_e64 v4, v4, 4 clamp
	s_delay_alu instid0(VALU_DEP_1) | instskip(SKIP_1) | instid1(VALU_DEP_2)
	v_lshlrev_b32_e32 v5, v4, v3
	v_lshlrev_b32_e32 v4, 23, v4
	v_lshrrev_b32_e32 v5, 4, v5
	s_delay_alu instid0(VALU_DEP_1) | instskip(SKIP_1) | instid1(VALU_DEP_2)
	v_sub_nc_u32_e32 v4, v5, v4
	v_ashrrev_i32_e32 v5, 8, v6
	v_add_nc_u32_e32 v4, 0x3c000000, v4
	s_delay_alu instid0(VALU_DEP_1) | instskip(NEXT) | instid1(VALU_DEP_1)
	v_and_or_b32 v4, 0x7f800000, v5, v4
	v_cndmask_b32_e32 v3, 0, v4, vcc_lo
	s_delay_alu instid0(VALU_DEP_1) | instskip(NEXT) | instid1(VALU_DEP_1)
	v_and_or_b32 v2, 0x80000000, v2, v3
	v_cvt_f64_f32_e32 v[2:3], v2
.LBB8_113:
	s_or_b32 exec_lo, exec_lo, s0
.LBB8_114:
	s_and_not1_saveexec_b32 s0, s7
	s_cbranch_execz .LBB8_116
; %bb.115:
	flat_load_u8 v2, v[0:1]
	s_waitcnt vmcnt(0) lgkmcnt(0)
	v_lshlrev_b32_e32 v3, 25, v2
	v_lshlrev_b16 v2, 8, v2
	s_delay_alu instid0(VALU_DEP_2) | instskip(NEXT) | instid1(VALU_DEP_2)
	v_lshrrev_b32_e32 v4, 4, v3
	v_and_or_b32 v5, 0x7f00, v2, 0.5
	v_bfe_i32 v2, v2, 0, 16
	s_delay_alu instid0(VALU_DEP_3) | instskip(NEXT) | instid1(VALU_DEP_1)
	v_or_b32_e32 v4, 0x70000000, v4
	v_dual_add_f32 v5, -0.5, v5 :: v_dual_mul_f32 v4, 0x7800000, v4
	v_cmp_gt_u32_e32 vcc_lo, 0x8000000, v3
	s_delay_alu instid0(VALU_DEP_2) | instskip(NEXT) | instid1(VALU_DEP_1)
	v_cndmask_b32_e32 v3, v4, v5, vcc_lo
	v_and_or_b32 v2, 0x80000000, v2, v3
	s_delay_alu instid0(VALU_DEP_1)
	v_cvt_f64_f32_e32 v[2:3], v2
.LBB8_116:
	s_or_b32 exec_lo, exec_lo, s0
	s_delay_alu instid0(SALU_CYCLE_1)
	s_or_b32 s0, s4, exec_lo
                                        ; implicit-def: $vgpr4
.LBB8_117:
	s_or_saveexec_b32 s1, s3
	s_mov_b32 s3, 0
	s_mov_b32 s7, s6
	s_xor_b32 exec_lo, exec_lo, s1
	s_cbranch_execz .LBB8_125
; %bb.118:
	s_mov_b32 s3, s6
	s_mov_b32 s7, s0
	s_mov_b32 s8, exec_lo
                                        ; implicit-def: $vgpr2_vgpr3
	v_cmpx_lt_i16_e32 14, v4
	s_xor_b32 s8, exec_lo, s8
	s_cbranch_execz .LBB8_122
; %bb.119:
	s_mov_b32 s3, -1
	s_mov_b32 s7, s0
	s_mov_b32 s9, exec_lo
                                        ; implicit-def: $vgpr2_vgpr3
	v_cmpx_eq_u16_e32 15, v4
	s_cbranch_execz .LBB8_121
; %bb.120:
	flat_load_u16 v2, v[0:1]
	s_or_b32 s7, s0, exec_lo
	s_xor_b32 s3, exec_lo, -1
	s_waitcnt vmcnt(0) lgkmcnt(0)
	v_lshlrev_b32_e32 v2, 16, v2
	s_delay_alu instid0(VALU_DEP_1)
	v_cvt_f64_f32_e32 v[2:3], v2
.LBB8_121:
	s_or_b32 exec_lo, exec_lo, s9
	s_delay_alu instid0(SALU_CYCLE_1)
	s_and_not1_b32 s9, s0, exec_lo
	s_and_b32 s7, s7, exec_lo
	s_and_not1_b32 s10, s6, exec_lo
	s_and_b32 s3, s3, exec_lo
	s_or_b32 s7, s9, s7
	s_or_b32 s3, s10, s3
                                        ; implicit-def: $vgpr4
.LBB8_122:
	s_or_saveexec_b32 s8, s8
	s_mov_b32 s9, 0
	s_xor_b32 exec_lo, exec_lo, s8
; %bb.123:
	v_cmp_ne_u16_e32 vcc_lo, 11, v4
	s_and_not1_b32 s3, s3, exec_lo
	s_mov_b32 s9, exec_lo
                                        ; implicit-def: $vgpr2_vgpr3
	s_and_b32 s10, vcc_lo, exec_lo
	s_delay_alu instid0(SALU_CYCLE_1)
	s_or_b32 s3, s3, s10
; %bb.124:
	s_or_b32 exec_lo, exec_lo, s8
	s_delay_alu instid0(SALU_CYCLE_1)
	s_and_not1_b32 s0, s0, exec_lo
	s_and_b32 s7, s7, exec_lo
	s_and_b32 s8, s3, exec_lo
	s_or_b32 s0, s0, s7
	s_and_not1_b32 s7, s6, exec_lo
	s_and_b32 s3, s9, exec_lo
	s_or_b32 s7, s7, s8
.LBB8_125:
	s_or_b32 exec_lo, exec_lo, s1
	s_delay_alu instid0(SALU_CYCLE_1)
	s_and_not1_b32 s1, s4, exec_lo
	s_and_b32 s0, s0, exec_lo
	s_and_b32 s3, s3, exec_lo
	s_or_b32 s4, s1, s0
	s_and_not1_b32 s0, s6, exec_lo
	s_and_b32 s1, s7, exec_lo
	s_delay_alu instid0(SALU_CYCLE_1)
	s_or_b32 s6, s0, s1
	s_or_b32 exec_lo, exec_lo, s5
	s_and_saveexec_b32 s0, s6
	s_cbranch_execz .LBB8_4
.LBB8_126:
	s_cbranch_execnz .LBB8_128
; %bb.127:
	; divergent unreachable
	s_and_not1_b32 s3, s3, exec_lo
                                        ; implicit-def: $vgpr2_vgpr3
	s_or_b32 exec_lo, exec_lo, s0
	s_and_saveexec_b32 s0, s3
	s_delay_alu instid0(SALU_CYCLE_1)
	s_xor_b32 s0, exec_lo, s0
	s_cbranch_execnz .LBB8_5
	s_branch .LBB8_6
.LBB8_128:
	s_trap 2
	s_sendmsg_rtn_b32 s0, sendmsg(MSG_RTN_GET_DOORBELL)
	s_mov_b32 ttmp2, m0
	s_waitcnt lgkmcnt(0)
	s_and_b32 s0, s0, 0x3ff
	s_delay_alu instid0(SALU_CYCLE_1) | instskip(NEXT) | instid1(SALU_CYCLE_1)
	s_bitset1_b32 s0, 10
	s_mov_b32 m0, s0
	s_sendmsg sendmsg(MSG_INTERRUPT)
	s_mov_b32 m0, ttmp2
.LBB8_129:                              ; =>This Inner Loop Header: Depth=1
	s_sethalt 5
	s_branch .LBB8_129
.Lfunc_end8:
	.size	_ZN2at6native6invokeIZZZNS0_12_GLOBAL__N_137scaled_modified_bessel_k1_kernel_cudaERNS_18TensorIteratorBaseEENKUlvE_clEvENKUlvE_clEvEUldE_i15function_traitsIS7_EEENT1_11result_typeERKT_PrKPcPKT0_PKN3c1010ScalarTypeEi, .Lfunc_end8-_ZN2at6native6invokeIZZZNS0_12_GLOBAL__N_137scaled_modified_bessel_k1_kernel_cudaERNS_18TensorIteratorBaseEENKUlvE_clEvENKUlvE_clEvEUldE_i15function_traitsIS7_EEENT1_11result_typeERKT_PrKPcPKT0_PKN3c1010ScalarTypeEi
                                        ; -- End function
	.section	.AMDGPU.csdata,"",@progbits
; Function info:
; codeLenInByte = 8548
; NumSgprs: 34
; NumVgprs: 30
; ScratchSize: 0
; MemoryBound: 1
	.section	.text._ZN2at6native32elementwise_kernel_manual_unrollILi128ELi4EZNS0_15gpu_kernel_implIZZZNS0_12_GLOBAL__N_137scaled_modified_bessel_k1_kernel_cudaERNS_18TensorIteratorBaseEENKUlvE_clEvENKUlvE_clEvEUldE_EEvS5_RKT_EUlibE_EEviT1_,"axG",@progbits,_ZN2at6native32elementwise_kernel_manual_unrollILi128ELi4EZNS0_15gpu_kernel_implIZZZNS0_12_GLOBAL__N_137scaled_modified_bessel_k1_kernel_cudaERNS_18TensorIteratorBaseEENKUlvE_clEvENKUlvE_clEvEUldE_EEvS5_RKT_EUlibE_EEviT1_,comdat
	.globl	_ZN2at6native32elementwise_kernel_manual_unrollILi128ELi4EZNS0_15gpu_kernel_implIZZZNS0_12_GLOBAL__N_137scaled_modified_bessel_k1_kernel_cudaERNS_18TensorIteratorBaseEENKUlvE_clEvENKUlvE_clEvEUldE_EEvS5_RKT_EUlibE_EEviT1_ ; -- Begin function _ZN2at6native32elementwise_kernel_manual_unrollILi128ELi4EZNS0_15gpu_kernel_implIZZZNS0_12_GLOBAL__N_137scaled_modified_bessel_k1_kernel_cudaERNS_18TensorIteratorBaseEENKUlvE_clEvENKUlvE_clEvEUldE_EEvS5_RKT_EUlibE_EEviT1_
	.p2align	8
	.type	_ZN2at6native32elementwise_kernel_manual_unrollILi128ELi4EZNS0_15gpu_kernel_implIZZZNS0_12_GLOBAL__N_137scaled_modified_bessel_k1_kernel_cudaERNS_18TensorIteratorBaseEENKUlvE_clEvENKUlvE_clEvEUldE_EEvS5_RKT_EUlibE_EEviT1_,@function
_ZN2at6native32elementwise_kernel_manual_unrollILi128ELi4EZNS0_15gpu_kernel_implIZZZNS0_12_GLOBAL__N_137scaled_modified_bessel_k1_kernel_cudaERNS_18TensorIteratorBaseEENKUlvE_clEvENKUlvE_clEvEUldE_EEvS5_RKT_EUlibE_EEviT1_: ; @_ZN2at6native32elementwise_kernel_manual_unrollILi128ELi4EZNS0_15gpu_kernel_implIZZZNS0_12_GLOBAL__N_137scaled_modified_bessel_k1_kernel_cudaERNS_18TensorIteratorBaseEENKUlvE_clEvENKUlvE_clEvEUldE_EEvS5_RKT_EUlibE_EEviT1_
; %bb.0:
	v_mov_b32_e32 v1, 0
	s_clause 0x2
	s_load_b32 s21, s[0:1], 0x0
	s_load_b64 s[12:13], s[0:1], 0x18
	s_load_b128 s[16:19], s[0:1], 0x8
	v_lshl_or_b32 v36, s15, 9, v0
	s_mov_b32 s14, 0
	s_mov_b32 s20, 0
	global_load_u16 v39, v1, s[0:1] offset:33
	s_mov_b32 s32, 0
	v_or_b32_e32 v38, 0x180, v36
	s_mov_b32 s0, exec_lo
	s_waitcnt vmcnt(0)
	v_lshrrev_b16 v37, 8, v39
	s_waitcnt lgkmcnt(0)
	v_cmpx_le_i32_e64 s21, v38
	s_xor_b32 s15, exec_lo, s0
	s_cbranch_execz .LBB9_175
; %bb.1:
	s_mov_b32 s0, -1
	s_mov_b32 s23, 0
	s_mov_b32 s22, exec_lo
	v_cmpx_gt_i32_e64 s21, v36
                                        ; implicit-def: $vgpr2_vgpr3
	s_cbranch_execz .LBB9_124
; %bb.2:
	v_dual_mov_b32 v0, s18 :: v_dual_mov_b32 v1, s19
	v_dual_mov_b32 v2, s13 :: v_dual_mov_b32 v3, v37
	v_mov_b32_e32 v4, v36
	s_getpc_b64 s[0:1]
	s_add_u32 s0, s0, _ZN2at6native6invokeIZZZNS0_12_GLOBAL__N_137scaled_modified_bessel_k1_kernel_cudaERNS_18TensorIteratorBaseEENKUlvE_clEvENKUlvE_clEvEUldE_i15function_traitsIS7_EEENT1_11result_typeERKT_PrKPcPKT0_PKN3c1010ScalarTypeEi@rel32@lo+4
	s_addc_u32 s1, s1, _ZN2at6native6invokeIZZZNS0_12_GLOBAL__N_137scaled_modified_bessel_k1_kernel_cudaERNS_18TensorIteratorBaseEENKUlvE_clEvENKUlvE_clEvEUldE_i15function_traitsIS7_EEENT1_11result_typeERKT_PrKPcPKT0_PKN3c1010ScalarTypeEi@rel32@hi+12
	s_delay_alu instid0(SALU_CYCLE_1) | instskip(SKIP_2) | instid1(VALU_DEP_1)
	s_swappc_b64 s[30:31], s[0:1]
	v_mul_lo_u32 v2, v36, s12
	v_and_b32_e32 v6, 0xff, v39
	v_cmp_gt_i16_e32 vcc_lo, 11, v6
	s_delay_alu instid0(VALU_DEP_3) | instskip(SKIP_1) | instid1(VALU_DEP_1)
	v_ashrrev_i32_e32 v3, 31, v2
	v_add_co_u32 v4, s0, s16, v2
	v_add_co_ci_u32_e64 v5, s0, s17, v3, s0
	s_cbranch_vccnz .LBB9_9
; %bb.3:
	v_cmp_lt_i16_e32 vcc_lo, 25, v6
	s_cbranch_vccz .LBB9_12
; %bb.4:
	v_cmp_lt_i16_e32 vcc_lo, 28, v6
	s_cbranch_vccz .LBB9_13
	;; [unrolled: 3-line block ×4, first 2 shown]
; %bb.7:
	v_cmp_eq_u16_e32 vcc_lo, 46, v6
	s_mov_b32 s2, 0
	s_mov_b32 s0, -1
	s_mov_b32 s1, 0
	s_cbranch_vccz .LBB9_16
; %bb.8:
	v_cvt_f32_f64_e32 v2, v[0:1]
	s_mov_b32 s1, -1
	s_mov_b32 s0, 0
	s_delay_alu instid0(VALU_DEP_1) | instskip(SKIP_1) | instid1(VALU_DEP_2)
	v_bfe_u32 v3, v2, 16, 1
	v_cmp_o_f32_e32 vcc_lo, v2, v2
	v_add3_u32 v3, v2, v3, 0x7fff
	s_delay_alu instid0(VALU_DEP_1) | instskip(NEXT) | instid1(VALU_DEP_1)
	v_lshrrev_b32_e32 v3, 16, v3
	v_cndmask_b32_e32 v2, 0x7fc0, v3, vcc_lo
	global_store_b32 v[4:5], v2, off
	s_branch .LBB9_16
.LBB9_9:
	s_mov_b32 s0, 0
	s_mov_b32 s1, 0
	s_cbranch_execnz .LBB9_84
.LBB9_10:
	s_and_not1_b32 vcc_lo, exec_lo, s1
	s_cbranch_vccnz .LBB9_122
.LBB9_11:
	v_add_nc_u32_e32 v36, 0x80, v36
	s_mov_b32 s1, -1
	s_branch .LBB9_123
.LBB9_12:
	s_mov_b32 s0, 0
	s_mov_b32 s1, 0
	s_cbranch_execnz .LBB9_43
	s_branch .LBB9_83
.LBB9_13:
	s_mov_b32 s2, -1
	s_mov_b32 s0, 0
	s_mov_b32 s1, 0
	s_branch .LBB9_26
.LBB9_14:
	s_mov_b32 s2, -1
	s_mov_b32 s0, 0
	s_mov_b32 s1, 0
	s_branch .LBB9_22
.LBB9_15:
	s_mov_b32 s2, -1
	s_mov_b32 s0, 0
	s_mov_b32 s1, 0
.LBB9_16:
	s_and_b32 vcc_lo, exec_lo, s2
	s_cbranch_vccz .LBB9_21
; %bb.17:
	v_cmp_eq_u16_e32 vcc_lo, 44, v6
	s_mov_b32 s0, -1
	s_cbranch_vccz .LBB9_21
; %bb.18:
	v_cvt_f32_f64_e32 v2, v[0:1]
	v_mov_b32_e32 v3, 0xff
	s_mov_b32 s1, exec_lo
	s_delay_alu instid0(VALU_DEP_2) | instskip(NEXT) | instid1(VALU_DEP_1)
	v_bfe_u32 v7, v2, 23, 8
	v_cmpx_ne_u32_e32 0xff, v7
; %bb.19:
	v_and_b32_e32 v3, 0x400000, v2
	v_and_or_b32 v7, 0x3fffff, v2, v7
	v_lshrrev_b32_e32 v2, 23, v2
	s_delay_alu instid0(VALU_DEP_3) | instskip(NEXT) | instid1(VALU_DEP_3)
	v_cmp_ne_u32_e32 vcc_lo, 0, v3
	v_cmp_ne_u32_e64 s0, 0, v7
	s_delay_alu instid0(VALU_DEP_1) | instskip(NEXT) | instid1(SALU_CYCLE_1)
	s_and_b32 s0, vcc_lo, s0
	v_cndmask_b32_e64 v3, 0, 1, s0
	s_delay_alu instid0(VALU_DEP_1)
	v_add_nc_u32_e32 v3, v2, v3
; %bb.20:
	s_or_b32 exec_lo, exec_lo, s1
	s_mov_b32 s1, -1
	s_mov_b32 s0, 0
	global_store_b8 v[4:5], v3, off
.LBB9_21:
	s_mov_b32 s2, 0
.LBB9_22:
	s_delay_alu instid0(SALU_CYCLE_1)
	s_and_b32 vcc_lo, exec_lo, s2
	s_cbranch_vccz .LBB9_25
; %bb.23:
	v_cmp_eq_u16_e32 vcc_lo, 29, v6
	s_mov_b32 s0, -1
	s_cbranch_vccz .LBB9_25
; %bb.24:
	v_trunc_f64_e32 v[2:3], v[0:1]
	s_mov_b32 s1, -1
	s_mov_b32 s0, 0
	s_mov_b32 s2, 0
	s_delay_alu instid0(VALU_DEP_1) | instskip(NEXT) | instid1(VALU_DEP_1)
	v_ldexp_f64 v[7:8], v[2:3], 0xffffffe0
	v_floor_f64_e32 v[7:8], v[7:8]
	s_delay_alu instid0(VALU_DEP_1) | instskip(SKIP_1) | instid1(VALU_DEP_2)
	v_fma_f64 v[2:3], 0xc1f00000, v[7:8], v[2:3]
	v_cvt_u32_f64_e32 v8, v[7:8]
	v_cvt_u32_f64_e32 v7, v[2:3]
	global_store_b64 v[4:5], v[7:8], off
	s_branch .LBB9_26
.LBB9_25:
	s_mov_b32 s2, 0
.LBB9_26:
	s_delay_alu instid0(SALU_CYCLE_1)
	s_and_b32 vcc_lo, exec_lo, s2
	s_cbranch_vccz .LBB9_42
; %bb.27:
	v_cmp_gt_i16_e32 vcc_lo, 27, v6
	s_mov_b32 s1, -1
	s_cbranch_vccnz .LBB9_33
; %bb.28:
	v_cvt_u32_f64_e32 v2, v[0:1]
	v_cmp_lt_i16_e32 vcc_lo, 27, v6
	s_cbranch_vccz .LBB9_30
; %bb.29:
	s_mov_b32 s1, 0
	global_store_b32 v[4:5], v2, off
.LBB9_30:
	s_and_not1_b32 vcc_lo, exec_lo, s1
	s_cbranch_vccnz .LBB9_32
; %bb.31:
	global_store_b16 v[4:5], v2, off
.LBB9_32:
	s_mov_b32 s1, 0
.LBB9_33:
	s_delay_alu instid0(SALU_CYCLE_1)
	s_and_not1_b32 vcc_lo, exec_lo, s1
	s_cbranch_vccnz .LBB9_41
; %bb.34:
	v_cvt_f32_f64_e32 v2, v[0:1]
	v_mov_b32_e32 v7, 0x80
	s_mov_b32 s1, exec_lo
	s_delay_alu instid0(VALU_DEP_2) | instskip(NEXT) | instid1(VALU_DEP_1)
	v_and_b32_e32 v3, 0x7fffffff, v2
	v_cmpx_gt_u32_e32 0x43800000, v3
	s_cbranch_execz .LBB9_40
; %bb.35:
	v_cmp_lt_u32_e32 vcc_lo, 0x3bffffff, v3
	s_mov_b32 s2, 0
                                        ; implicit-def: $vgpr3
	s_and_saveexec_b32 s3, vcc_lo
	s_delay_alu instid0(SALU_CYCLE_1)
	s_xor_b32 s3, exec_lo, s3
	s_cbranch_execz .LBB9_661
; %bb.36:
	v_bfe_u32 v3, v2, 20, 1
	s_mov_b32 s2, exec_lo
	s_delay_alu instid0(VALU_DEP_1) | instskip(NEXT) | instid1(VALU_DEP_1)
	v_add3_u32 v3, v2, v3, 0x487ffff
	v_lshrrev_b32_e32 v3, 20, v3
	s_or_saveexec_b32 s3, s3
                                        ; implicit-def: $sgpr4
	s_delay_alu instid0(SALU_CYCLE_1)
	s_xor_b32 exec_lo, exec_lo, s3
	s_cbranch_execnz .LBB9_662
.LBB9_37:
	s_or_b32 exec_lo, exec_lo, s3
	v_mov_b32_e32 v7, s4
	s_and_saveexec_b32 s3, s2
.LBB9_38:
	v_lshrrev_b32_e32 v2, 24, v2
	s_delay_alu instid0(VALU_DEP_1)
	v_and_or_b32 v7, 0x80, v2, v3
.LBB9_39:
	s_or_b32 exec_lo, exec_lo, s3
.LBB9_40:
	s_delay_alu instid0(SALU_CYCLE_1)
	s_or_b32 exec_lo, exec_lo, s1
	global_store_b8 v[4:5], v7, off
.LBB9_41:
	s_mov_b32 s1, -1
.LBB9_42:
	s_branch .LBB9_83
.LBB9_43:
	v_cmp_lt_i16_e32 vcc_lo, 22, v6
	s_mov_b32 s2, -1
	s_cbranch_vccz .LBB9_75
; %bb.44:
	v_cmp_gt_i16_e32 vcc_lo, 24, v6
	s_mov_b32 s1, -1
	s_cbranch_vccnz .LBB9_64
; %bb.45:
	v_cmp_lt_i16_e32 vcc_lo, 24, v6
	s_cbranch_vccz .LBB9_53
; %bb.46:
	v_cvt_f32_f64_e32 v2, v[0:1]
	v_mov_b32_e32 v7, 0x80
	s_mov_b32 s1, exec_lo
	s_delay_alu instid0(VALU_DEP_2) | instskip(NEXT) | instid1(VALU_DEP_1)
	v_and_b32_e32 v3, 0x7fffffff, v2
	v_cmpx_gt_u32_e32 0x47800000, v3
	s_cbranch_execz .LBB9_52
; %bb.47:
	v_cmp_lt_u32_e32 vcc_lo, 0x37ffffff, v3
	s_mov_b32 s2, 0
                                        ; implicit-def: $vgpr3
	s_and_saveexec_b32 s3, vcc_lo
	s_delay_alu instid0(SALU_CYCLE_1)
	s_xor_b32 s3, exec_lo, s3
	s_cbranch_execz .LBB9_672
; %bb.48:
	v_bfe_u32 v3, v2, 21, 1
	s_mov_b32 s2, exec_lo
	s_delay_alu instid0(VALU_DEP_1) | instskip(NEXT) | instid1(VALU_DEP_1)
	v_add3_u32 v3, v2, v3, 0x88fffff
	v_lshrrev_b32_e32 v3, 21, v3
	s_or_saveexec_b32 s3, s3
                                        ; implicit-def: $sgpr4
	s_delay_alu instid0(SALU_CYCLE_1)
	s_xor_b32 exec_lo, exec_lo, s3
	s_cbranch_execnz .LBB9_673
.LBB9_49:
	s_or_b32 exec_lo, exec_lo, s3
	v_mov_b32_e32 v7, s4
	s_and_saveexec_b32 s3, s2
.LBB9_50:
	v_lshrrev_b32_e32 v2, 24, v2
	s_delay_alu instid0(VALU_DEP_1)
	v_and_or_b32 v7, 0x80, v2, v3
.LBB9_51:
	s_or_b32 exec_lo, exec_lo, s3
.LBB9_52:
	s_delay_alu instid0(SALU_CYCLE_1)
	s_or_b32 exec_lo, exec_lo, s1
	s_mov_b32 s1, 0
	global_store_b8 v[4:5], v7, off
.LBB9_53:
	s_and_b32 vcc_lo, exec_lo, s1
	s_cbranch_vccz .LBB9_63
; %bb.54:
	v_cvt_f32_f64_e32 v2, v[0:1]
	s_mov_b32 s1, exec_lo
                                        ; implicit-def: $vgpr3
	s_delay_alu instid0(VALU_DEP_1) | instskip(NEXT) | instid1(VALU_DEP_1)
	v_and_b32_e32 v7, 0x7fffffff, v2
	v_cmpx_gt_u32_e32 0x43f00000, v7
	s_xor_b32 s1, exec_lo, s1
	s_cbranch_execz .LBB9_60
; %bb.55:
	s_mov_b32 s2, exec_lo
                                        ; implicit-def: $vgpr3
	v_cmpx_lt_u32_e32 0x3c7fffff, v7
	s_xor_b32 s2, exec_lo, s2
; %bb.56:
	v_bfe_u32 v3, v2, 20, 1
	s_delay_alu instid0(VALU_DEP_1) | instskip(NEXT) | instid1(VALU_DEP_1)
	v_add3_u32 v3, v2, v3, 0x407ffff
	v_and_b32_e32 v7, 0xff00000, v3
	v_lshrrev_b32_e32 v3, 20, v3
	s_delay_alu instid0(VALU_DEP_2) | instskip(NEXT) | instid1(VALU_DEP_2)
	v_cmp_ne_u32_e32 vcc_lo, 0x7f00000, v7
	v_cndmask_b32_e32 v3, 0x7e, v3, vcc_lo
; %bb.57:
	s_and_not1_saveexec_b32 s2, s2
; %bb.58:
	v_add_f32_e64 v3, 0x46800000, |v2|
; %bb.59:
	s_or_b32 exec_lo, exec_lo, s2
                                        ; implicit-def: $vgpr7
.LBB9_60:
	s_and_not1_saveexec_b32 s1, s1
; %bb.61:
	v_mov_b32_e32 v3, 0x7f
	v_cmp_lt_u32_e32 vcc_lo, 0x7f800000, v7
	s_delay_alu instid0(VALU_DEP_2)
	v_cndmask_b32_e32 v3, 0x7e, v3, vcc_lo
; %bb.62:
	s_or_b32 exec_lo, exec_lo, s1
	v_lshrrev_b32_e32 v2, 24, v2
	s_delay_alu instid0(VALU_DEP_1)
	v_and_or_b32 v2, 0x80, v2, v3
	global_store_b8 v[4:5], v2, off
.LBB9_63:
	s_mov_b32 s1, 0
.LBB9_64:
	s_delay_alu instid0(SALU_CYCLE_1)
	s_and_not1_b32 vcc_lo, exec_lo, s1
	s_cbranch_vccnz .LBB9_74
; %bb.65:
	v_cvt_f32_f64_e32 v2, v[0:1]
	s_mov_b32 s1, exec_lo
                                        ; implicit-def: $vgpr3
	s_delay_alu instid0(VALU_DEP_1) | instskip(NEXT) | instid1(VALU_DEP_1)
	v_and_b32_e32 v7, 0x7fffffff, v2
	v_cmpx_gt_u32_e32 0x47800000, v7
	s_xor_b32 s1, exec_lo, s1
	s_cbranch_execz .LBB9_71
; %bb.66:
	s_mov_b32 s2, exec_lo
                                        ; implicit-def: $vgpr3
	v_cmpx_lt_u32_e32 0x387fffff, v7
	s_xor_b32 s2, exec_lo, s2
; %bb.67:
	v_bfe_u32 v3, v2, 21, 1
	s_delay_alu instid0(VALU_DEP_1) | instskip(NEXT) | instid1(VALU_DEP_1)
	v_add3_u32 v3, v2, v3, 0x80fffff
	v_lshrrev_b32_e32 v3, 21, v3
; %bb.68:
	s_and_not1_saveexec_b32 s2, s2
; %bb.69:
	v_add_f32_e64 v3, 0x43000000, |v2|
; %bb.70:
	s_or_b32 exec_lo, exec_lo, s2
                                        ; implicit-def: $vgpr7
.LBB9_71:
	s_and_not1_saveexec_b32 s1, s1
; %bb.72:
	v_mov_b32_e32 v3, 0x7f
	v_cmp_lt_u32_e32 vcc_lo, 0x7f800000, v7
	s_delay_alu instid0(VALU_DEP_2)
	v_cndmask_b32_e32 v3, 0x7c, v3, vcc_lo
; %bb.73:
	s_or_b32 exec_lo, exec_lo, s1
	v_lshrrev_b32_e32 v2, 24, v2
	s_delay_alu instid0(VALU_DEP_1)
	v_and_or_b32 v2, 0x80, v2, v3
	global_store_b8 v[4:5], v2, off
.LBB9_74:
	s_mov_b32 s2, 0
	s_mov_b32 s1, -1
.LBB9_75:
	s_and_not1_b32 vcc_lo, exec_lo, s2
	s_cbranch_vccnz .LBB9_83
; %bb.76:
	v_cmp_lt_i16_e32 vcc_lo, 14, v6
	s_mov_b32 s2, -1
	s_cbranch_vccz .LBB9_80
; %bb.77:
	v_cmp_eq_u16_e32 vcc_lo, 15, v6
	s_mov_b32 s0, -1
	s_cbranch_vccz .LBB9_79
; %bb.78:
	v_cvt_f32_f64_e32 v2, v[0:1]
	s_mov_b32 s1, -1
	s_mov_b32 s0, 0
	s_delay_alu instid0(VALU_DEP_1) | instskip(SKIP_1) | instid1(VALU_DEP_2)
	v_bfe_u32 v3, v2, 16, 1
	v_cmp_o_f32_e32 vcc_lo, v2, v2
	v_add3_u32 v3, v2, v3, 0x7fff
	s_delay_alu instid0(VALU_DEP_1) | instskip(NEXT) | instid1(VALU_DEP_1)
	v_lshrrev_b32_e32 v3, 16, v3
	v_cndmask_b32_e32 v2, 0x7fc0, v3, vcc_lo
	global_store_b16 v[4:5], v2, off
.LBB9_79:
	s_mov_b32 s2, 0
.LBB9_80:
	s_delay_alu instid0(SALU_CYCLE_1)
	s_and_b32 vcc_lo, exec_lo, s2
	s_cbranch_vccz .LBB9_83
; %bb.81:
	v_cmp_eq_u16_e32 vcc_lo, 11, v6
	s_mov_b32 s0, -1
	s_cbranch_vccz .LBB9_83
; %bb.82:
	v_cmp_neq_f64_e32 vcc_lo, 0, v[0:1]
	s_mov_b32 s1, -1
	s_mov_b32 s0, 0
	v_cndmask_b32_e64 v2, 0, 1, vcc_lo
	global_store_b8 v[4:5], v2, off
.LBB9_83:
	s_branch .LBB9_10
.LBB9_84:
	v_cmp_gt_i16_e32 vcc_lo, 5, v6
	s_mov_b32 s1, -1
	s_cbranch_vccnz .LBB9_105
; %bb.85:
	v_cmp_gt_i16_e32 vcc_lo, 8, v6
	s_cbranch_vccnz .LBB9_95
; %bb.86:
	v_cmp_gt_i16_e32 vcc_lo, 9, v6
	s_cbranch_vccnz .LBB9_92
; %bb.87:
	v_cmp_lt_i16_e32 vcc_lo, 9, v6
	s_cbranch_vccz .LBB9_89
; %bb.88:
	v_mov_b32_e32 v2, 0
	s_mov_b32 s1, 0
	s_delay_alu instid0(VALU_DEP_1)
	v_mov_b32_e32 v3, v2
	global_store_b128 v[4:5], v[0:3], off
.LBB9_89:
	s_and_not1_b32 vcc_lo, exec_lo, s1
	s_cbranch_vccnz .LBB9_91
; %bb.90:
	v_cvt_f32_f64_e32 v2, v[0:1]
	v_mov_b32_e32 v3, 0
	global_store_b64 v[4:5], v[2:3], off
.LBB9_91:
	s_mov_b32 s1, 0
.LBB9_92:
	s_delay_alu instid0(SALU_CYCLE_1)
	s_and_not1_b32 vcc_lo, exec_lo, s1
	s_cbranch_vccnz .LBB9_94
; %bb.93:
	v_cvt_f32_f64_e32 v2, v[0:1]
	s_delay_alu instid0(VALU_DEP_1) | instskip(NEXT) | instid1(VALU_DEP_1)
	v_cvt_f16_f32_e32 v2, v2
	v_and_b32_e32 v2, 0xffff, v2
	global_store_b32 v[4:5], v2, off
.LBB9_94:
	s_mov_b32 s1, 0
.LBB9_95:
	s_delay_alu instid0(SALU_CYCLE_1)
	s_and_not1_b32 vcc_lo, exec_lo, s1
	s_cbranch_vccnz .LBB9_104
; %bb.96:
	v_cmp_gt_i16_e32 vcc_lo, 6, v6
	s_mov_b32 s1, -1
	s_cbranch_vccnz .LBB9_102
; %bb.97:
	v_cmp_lt_i16_e32 vcc_lo, 6, v6
	s_cbranch_vccz .LBB9_99
; %bb.98:
	s_mov_b32 s1, 0
	global_store_b64 v[4:5], v[0:1], off
.LBB9_99:
	s_and_not1_b32 vcc_lo, exec_lo, s1
	s_cbranch_vccnz .LBB9_101
; %bb.100:
	v_cvt_f32_f64_e32 v2, v[0:1]
	global_store_b32 v[4:5], v2, off
.LBB9_101:
	s_mov_b32 s1, 0
.LBB9_102:
	s_delay_alu instid0(SALU_CYCLE_1)
	s_and_not1_b32 vcc_lo, exec_lo, s1
	s_cbranch_vccnz .LBB9_104
; %bb.103:
	v_cvt_f32_f64_e32 v2, v[0:1]
	s_delay_alu instid0(VALU_DEP_1)
	v_cvt_f16_f32_e32 v2, v2
	global_store_b16 v[4:5], v2, off
.LBB9_104:
	s_mov_b32 s1, 0
.LBB9_105:
	s_delay_alu instid0(SALU_CYCLE_1)
	s_and_not1_b32 vcc_lo, exec_lo, s1
	s_cbranch_vccnz .LBB9_121
; %bb.106:
	v_cmp_gt_i16_e32 vcc_lo, 2, v6
	s_mov_b32 s1, -1
	s_cbranch_vccnz .LBB9_116
; %bb.107:
	v_cmp_gt_i16_e32 vcc_lo, 3, v6
	s_cbranch_vccnz .LBB9_113
; %bb.108:
	v_cmp_lt_i16_e32 vcc_lo, 3, v6
	s_cbranch_vccz .LBB9_110
; %bb.109:
	v_trunc_f64_e32 v[2:3], v[0:1]
	s_mov_b32 s1, 0
	s_delay_alu instid0(VALU_DEP_1) | instskip(NEXT) | instid1(VALU_DEP_1)
	v_ldexp_f64 v[7:8], v[2:3], 0xffffffe0
	v_floor_f64_e32 v[7:8], v[7:8]
	s_delay_alu instid0(VALU_DEP_1) | instskip(SKIP_1) | instid1(VALU_DEP_2)
	v_fma_f64 v[2:3], 0xc1f00000, v[7:8], v[2:3]
	v_cvt_i32_f64_e32 v8, v[7:8]
	v_cvt_u32_f64_e32 v7, v[2:3]
	global_store_b64 v[4:5], v[7:8], off
.LBB9_110:
	s_and_not1_b32 vcc_lo, exec_lo, s1
	s_cbranch_vccnz .LBB9_112
; %bb.111:
	v_cvt_i32_f64_e32 v2, v[0:1]
	global_store_b32 v[4:5], v2, off
.LBB9_112:
	s_mov_b32 s1, 0
.LBB9_113:
	s_delay_alu instid0(SALU_CYCLE_1)
	s_and_not1_b32 vcc_lo, exec_lo, s1
	s_cbranch_vccnz .LBB9_115
; %bb.114:
	v_cvt_i32_f64_e32 v2, v[0:1]
	global_store_b16 v[4:5], v2, off
.LBB9_115:
	s_mov_b32 s1, 0
.LBB9_116:
	s_delay_alu instid0(SALU_CYCLE_1)
	s_and_not1_b32 vcc_lo, exec_lo, s1
	s_cbranch_vccnz .LBB9_121
; %bb.117:
	v_cmp_lt_i16_e32 vcc_lo, 0, v6
	s_mov_b32 s1, -1
	s_cbranch_vccz .LBB9_119
; %bb.118:
	v_cvt_i32_f64_e32 v2, v[0:1]
	s_mov_b32 s1, 0
	global_store_b8 v[4:5], v2, off
.LBB9_119:
	s_and_not1_b32 vcc_lo, exec_lo, s1
	s_cbranch_vccnz .LBB9_121
; %bb.120:
	v_trunc_f64_e32 v[0:1], v[0:1]
	s_delay_alu instid0(VALU_DEP_1) | instskip(NEXT) | instid1(VALU_DEP_1)
	v_ldexp_f64 v[2:3], v[0:1], 0xffffffe0
	v_floor_f64_e32 v[2:3], v[2:3]
	s_delay_alu instid0(VALU_DEP_1) | instskip(NEXT) | instid1(VALU_DEP_1)
	v_fma_f64 v[0:1], 0xc1f00000, v[2:3], v[0:1]
	v_cvt_u32_f64_e32 v0, v[0:1]
	global_store_b8 v[4:5], v0, off
.LBB9_121:
	s_branch .LBB9_11
.LBB9_122:
	s_mov_b32 s1, 0
                                        ; implicit-def: $vgpr36
.LBB9_123:
	s_and_b32 s20, s0, exec_lo
	s_or_not1_b32 s0, s1, exec_lo
.LBB9_124:
	s_or_b32 exec_lo, exec_lo, s22
	s_mov_b32 s1, 0
                                        ; implicit-def: $vgpr6
                                        ; implicit-def: $vgpr4_vgpr5
                                        ; implicit-def: $vgpr0_vgpr1
	s_and_saveexec_b32 s22, s0
	s_cbranch_execz .LBB9_133
; %bb.125:
	s_mov_b32 s2, -1
	s_mov_b32 s23, s20
	s_mov_b32 s24, exec_lo
	v_cmpx_gt_i32_e64 s21, v36
	s_cbranch_execz .LBB9_784
; %bb.126:
	v_dual_mov_b32 v0, s18 :: v_dual_mov_b32 v1, s19
	v_dual_mov_b32 v2, s13 :: v_dual_mov_b32 v3, v37
	v_mov_b32_e32 v4, v36
	s_getpc_b64 s[0:1]
	s_add_u32 s0, s0, _ZN2at6native6invokeIZZZNS0_12_GLOBAL__N_137scaled_modified_bessel_k1_kernel_cudaERNS_18TensorIteratorBaseEENKUlvE_clEvENKUlvE_clEvEUldE_i15function_traitsIS7_EEENT1_11result_typeERKT_PrKPcPKT0_PKN3c1010ScalarTypeEi@rel32@lo+4
	s_addc_u32 s1, s1, _ZN2at6native6invokeIZZZNS0_12_GLOBAL__N_137scaled_modified_bessel_k1_kernel_cudaERNS_18TensorIteratorBaseEENKUlvE_clEvENKUlvE_clEvEUldE_i15function_traitsIS7_EEENT1_11result_typeERKT_PrKPcPKT0_PKN3c1010ScalarTypeEi@rel32@hi+12
	s_delay_alu instid0(SALU_CYCLE_1) | instskip(SKIP_2) | instid1(VALU_DEP_1)
	s_swappc_b64 s[30:31], s[0:1]
	v_mul_lo_u32 v2, v36, s12
	v_and_b32_e32 v6, 0xff, v39
	v_cmp_gt_i16_e32 vcc_lo, 11, v6
	s_delay_alu instid0(VALU_DEP_3) | instskip(SKIP_1) | instid1(VALU_DEP_1)
	v_ashrrev_i32_e32 v3, 31, v2
	v_add_co_u32 v4, s0, s16, v2
	v_add_co_ci_u32_e64 v5, s0, s17, v3, s0
	s_cbranch_vccnz .LBB9_567
; %bb.127:
	v_cmp_lt_i16_e32 vcc_lo, 25, v6
	s_cbranch_vccz .LBB9_654
; %bb.128:
	v_cmp_lt_i16_e32 vcc_lo, 28, v6
	s_cbranch_vccz .LBB9_656
	;; [unrolled: 3-line block ×4, first 2 shown]
; %bb.131:
	v_cmp_eq_u16_e32 vcc_lo, 46, v6
	s_mov_b32 s2, 0
	s_mov_b32 s0, -1
	s_mov_b32 s1, 0
	s_cbranch_vccz .LBB9_675
; %bb.132:
	v_cvt_f32_f64_e32 v2, v[0:1]
	s_mov_b32 s1, -1
	s_mov_b32 s0, 0
	s_delay_alu instid0(VALU_DEP_1) | instskip(SKIP_1) | instid1(VALU_DEP_2)
	v_bfe_u32 v3, v2, 16, 1
	v_cmp_o_f32_e32 vcc_lo, v2, v2
	v_add3_u32 v3, v2, v3, 0x7fff
	s_delay_alu instid0(VALU_DEP_1) | instskip(NEXT) | instid1(VALU_DEP_1)
	v_lshrrev_b32_e32 v3, 16, v3
	v_cndmask_b32_e32 v2, 0x7fc0, v3, vcc_lo
	global_store_b32 v[4:5], v2, off
	s_branch .LBB9_675
.LBB9_133:
	s_or_b32 exec_lo, exec_lo, s22
	s_mov_b32 s0, 0
	s_and_saveexec_b32 s2, s20
	s_cbranch_execnz .LBB9_1020
.LBB9_134:
	s_or_b32 exec_lo, exec_lo, s2
	s_and_saveexec_b32 s2, s23
	s_delay_alu instid0(SALU_CYCLE_1)
	s_xor_b32 s2, exec_lo, s2
	s_cbranch_execz .LBB9_136
.LBB9_135:
	v_cmp_neq_f64_e32 vcc_lo, 0, v[0:1]
	v_cndmask_b32_e64 v2, 0, 1, vcc_lo
	global_store_b8 v[4:5], v2, off
.LBB9_136:
	s_or_b32 exec_lo, exec_lo, s2
	s_and_saveexec_b32 s2, s1
	s_delay_alu instid0(SALU_CYCLE_1)
	s_xor_b32 s1, exec_lo, s2
	s_cbranch_execz .LBB9_174
; %bb.137:
	v_cmp_gt_i16_e32 vcc_lo, 5, v6
	s_mov_b32 s2, -1
	s_cbranch_vccnz .LBB9_158
; %bb.138:
	v_cmp_gt_i16_e32 vcc_lo, 8, v6
	s_cbranch_vccnz .LBB9_148
; %bb.139:
	v_cmp_gt_i16_e32 vcc_lo, 9, v6
	s_cbranch_vccnz .LBB9_145
; %bb.140:
	v_cmp_lt_i16_e32 vcc_lo, 9, v6
	s_cbranch_vccz .LBB9_142
; %bb.141:
	v_mov_b32_e32 v2, 0
	s_mov_b32 s2, 0
	s_delay_alu instid0(VALU_DEP_1)
	v_mov_b32_e32 v3, v2
	global_store_b128 v[4:5], v[0:3], off
.LBB9_142:
	s_and_not1_b32 vcc_lo, exec_lo, s2
	s_cbranch_vccnz .LBB9_144
; %bb.143:
	v_cvt_f32_f64_e32 v2, v[0:1]
	v_mov_b32_e32 v3, 0
	global_store_b64 v[4:5], v[2:3], off
.LBB9_144:
	s_mov_b32 s2, 0
.LBB9_145:
	s_delay_alu instid0(SALU_CYCLE_1)
	s_and_not1_b32 vcc_lo, exec_lo, s2
	s_cbranch_vccnz .LBB9_147
; %bb.146:
	v_cvt_f32_f64_e32 v2, v[0:1]
	s_delay_alu instid0(VALU_DEP_1) | instskip(NEXT) | instid1(VALU_DEP_1)
	v_cvt_f16_f32_e32 v2, v2
	v_and_b32_e32 v2, 0xffff, v2
	global_store_b32 v[4:5], v2, off
.LBB9_147:
	s_mov_b32 s2, 0
.LBB9_148:
	s_delay_alu instid0(SALU_CYCLE_1)
	s_and_not1_b32 vcc_lo, exec_lo, s2
	s_cbranch_vccnz .LBB9_157
; %bb.149:
	v_cmp_gt_i16_e32 vcc_lo, 6, v6
	s_mov_b32 s2, -1
	s_cbranch_vccnz .LBB9_155
; %bb.150:
	v_cmp_lt_i16_e32 vcc_lo, 6, v6
	s_cbranch_vccz .LBB9_152
; %bb.151:
	s_mov_b32 s2, 0
	global_store_b64 v[4:5], v[0:1], off
.LBB9_152:
	s_and_not1_b32 vcc_lo, exec_lo, s2
	s_cbranch_vccnz .LBB9_154
; %bb.153:
	v_cvt_f32_f64_e32 v2, v[0:1]
	global_store_b32 v[4:5], v2, off
.LBB9_154:
	s_mov_b32 s2, 0
.LBB9_155:
	s_delay_alu instid0(SALU_CYCLE_1)
	s_and_not1_b32 vcc_lo, exec_lo, s2
	s_cbranch_vccnz .LBB9_157
; %bb.156:
	v_cvt_f32_f64_e32 v2, v[0:1]
	s_delay_alu instid0(VALU_DEP_1)
	v_cvt_f16_f32_e32 v2, v2
	global_store_b16 v[4:5], v2, off
.LBB9_157:
	s_mov_b32 s2, 0
.LBB9_158:
	s_delay_alu instid0(SALU_CYCLE_1)
	s_and_not1_b32 vcc_lo, exec_lo, s2
	s_cbranch_vccnz .LBB9_174
; %bb.159:
	v_cmp_gt_i16_e32 vcc_lo, 2, v6
	s_mov_b32 s2, -1
	s_cbranch_vccnz .LBB9_169
; %bb.160:
	v_cmp_gt_i16_e32 vcc_lo, 3, v6
	s_cbranch_vccnz .LBB9_166
; %bb.161:
	v_cmp_lt_i16_e32 vcc_lo, 3, v6
	s_cbranch_vccz .LBB9_163
; %bb.162:
	v_trunc_f64_e32 v[2:3], v[0:1]
	s_mov_b32 s2, 0
	s_delay_alu instid0(VALU_DEP_1) | instskip(NEXT) | instid1(VALU_DEP_1)
	v_ldexp_f64 v[7:8], v[2:3], 0xffffffe0
	v_floor_f64_e32 v[7:8], v[7:8]
	s_delay_alu instid0(VALU_DEP_1) | instskip(SKIP_1) | instid1(VALU_DEP_2)
	v_fma_f64 v[2:3], 0xc1f00000, v[7:8], v[2:3]
	v_cvt_i32_f64_e32 v8, v[7:8]
	v_cvt_u32_f64_e32 v7, v[2:3]
	global_store_b64 v[4:5], v[7:8], off
.LBB9_163:
	s_and_not1_b32 vcc_lo, exec_lo, s2
	s_cbranch_vccnz .LBB9_165
; %bb.164:
	v_cvt_i32_f64_e32 v2, v[0:1]
	global_store_b32 v[4:5], v2, off
.LBB9_165:
	s_mov_b32 s2, 0
.LBB9_166:
	s_delay_alu instid0(SALU_CYCLE_1)
	s_and_not1_b32 vcc_lo, exec_lo, s2
	s_cbranch_vccnz .LBB9_168
; %bb.167:
	v_cvt_i32_f64_e32 v2, v[0:1]
	global_store_b16 v[4:5], v2, off
.LBB9_168:
	s_mov_b32 s2, 0
.LBB9_169:
	s_delay_alu instid0(SALU_CYCLE_1)
	s_and_not1_b32 vcc_lo, exec_lo, s2
	s_cbranch_vccnz .LBB9_174
; %bb.170:
	v_cmp_lt_i16_e32 vcc_lo, 0, v6
	s_mov_b32 s2, -1
	s_cbranch_vccz .LBB9_172
; %bb.171:
	v_cvt_i32_f64_e32 v2, v[0:1]
	s_mov_b32 s2, 0
	global_store_b8 v[4:5], v2, off
.LBB9_172:
	s_and_not1_b32 vcc_lo, exec_lo, s2
	s_cbranch_vccnz .LBB9_174
; %bb.173:
	v_trunc_f64_e32 v[0:1], v[0:1]
	s_delay_alu instid0(VALU_DEP_1) | instskip(NEXT) | instid1(VALU_DEP_1)
	v_ldexp_f64 v[2:3], v[0:1], 0xffffffe0
	v_floor_f64_e32 v[2:3], v[2:3]
	s_delay_alu instid0(VALU_DEP_1) | instskip(NEXT) | instid1(VALU_DEP_1)
	v_fma_f64 v[0:1], 0xc1f00000, v[2:3], v[0:1]
	v_cvt_u32_f64_e32 v0, v[0:1]
	global_store_b8 v[4:5], v0, off
.LBB9_174:
	s_or_b32 exec_lo, exec_lo, s1
	s_delay_alu instid0(SALU_CYCLE_1)
	s_and_b32 s20, s0, exec_lo
                                        ; implicit-def: $vgpr36
                                        ; implicit-def: $vgpr39
                                        ; implicit-def: $vgpr37
                                        ; implicit-def: $vgpr38
.LBB9_175:
	s_or_saveexec_b32 s15, s15
	s_mov_b32 s0, 0
                                        ; implicit-def: $vgpr6
                                        ; implicit-def: $vgpr4_vgpr5
                                        ; implicit-def: $vgpr0_vgpr1
	s_xor_b32 exec_lo, exec_lo, s15
	s_cbranch_execz .LBB9_611
; %bb.176:
	v_dual_mov_b32 v1, s19 :: v_dual_add_nc_u32 v30, 0x80, v36
	v_dual_mov_b32 v0, s18 :: v_dual_add_nc_u32 v31, 0x100, v36
	v_dual_mov_b32 v2, s13 :: v_dual_mov_b32 v3, v37
	v_mov_b32_e32 v4, v36
	s_getpc_b64 s[22:23]
	s_add_u32 s22, s22, _ZN2at6native6invokeIZZZNS0_12_GLOBAL__N_137scaled_modified_bessel_k1_kernel_cudaERNS_18TensorIteratorBaseEENKUlvE_clEvENKUlvE_clEvEUldE_i15function_traitsIS7_EEENT1_11result_typeERKT_PrKPcPKT0_PKN3c1010ScalarTypeEi@rel32@lo+4
	s_addc_u32 s23, s23, _ZN2at6native6invokeIZZZNS0_12_GLOBAL__N_137scaled_modified_bessel_k1_kernel_cudaERNS_18TensorIteratorBaseEENKUlvE_clEvENKUlvE_clEvEUldE_i15function_traitsIS7_EEENT1_11result_typeERKT_PrKPcPKT0_PKN3c1010ScalarTypeEi@rel32@hi+12
	s_delay_alu instid0(SALU_CYCLE_1)
	s_swappc_b64 s[30:31], s[22:23]
	v_dual_mov_b32 v34, v0 :: v_dual_mov_b32 v35, v1
	v_dual_mov_b32 v0, s18 :: v_dual_mov_b32 v1, s19
	;; [unrolled: 1-line block ×3, first 2 shown]
	v_mov_b32_e32 v4, v30
	s_swappc_b64 s[30:31], s[22:23]
	s_delay_alu instid0(VALU_DEP_3) | instskip(SKIP_4) | instid1(VALU_DEP_3)
	v_dual_mov_b32 v32, v0 :: v_dual_mov_b32 v33, v1
	v_dual_mov_b32 v0, s18 :: v_dual_mov_b32 v1, s19
	;; [unrolled: 1-line block ×3, first 2 shown]
	v_mov_b32_e32 v4, v31
	s_swappc_b64 s[30:31], s[22:23]
	v_dual_mov_b32 v30, v0 :: v_dual_mov_b32 v31, v1
	v_dual_mov_b32 v0, s18 :: v_dual_mov_b32 v1, s19
	;; [unrolled: 1-line block ×3, first 2 shown]
	v_mov_b32_e32 v4, v38
	s_swappc_b64 s[30:31], s[22:23]
	v_mul_lo_u32 v4, s12, v36
	v_and_b32_e32 v6, 0xff, v39
	s_delay_alu instid0(VALU_DEP_1) | instskip(NEXT) | instid1(VALU_DEP_3)
	v_cmp_gt_i16_e32 vcc_lo, 11, v6
	v_ashrrev_i32_e32 v3, 31, v4
	v_add_co_u32 v2, s0, s16, v4
	s_delay_alu instid0(VALU_DEP_1)
	v_add_co_ci_u32_e64 v3, s0, s17, v3, s0
	s_cbranch_vccnz .LBB9_255
; %bb.177:
	v_cmp_lt_i16_e32 vcc_lo, 25, v6
	s_mov_b32 s1, -1
	s_mov_b32 s2, 0
	s_mov_b32 s3, 0
	;; [unrolled: 1-line block ×3, first 2 shown]
	s_cbranch_vccz .LBB9_210
; %bb.178:
	v_cmp_lt_i16_e32 vcc_lo, 28, v6
	s_cbranch_vccz .LBB9_193
; %bb.179:
	v_cmp_lt_i16_e32 vcc_lo, 43, v6
	;; [unrolled: 3-line block ×3, first 2 shown]
	s_cbranch_vccz .LBB9_183
; %bb.181:
	v_cmp_eq_u16_e32 vcc_lo, 46, v6
	s_mov_b32 s0, -1
	s_mov_b32 s1, 0
	s_cbranch_vccz .LBB9_183
; %bb.182:
	v_cvt_f32_f64_e32 v5, v[34:35]
	s_mov_b32 s0, 0
	s_mov_b32 s3, -1
	s_delay_alu instid0(VALU_DEP_1) | instskip(SKIP_1) | instid1(VALU_DEP_2)
	v_bfe_u32 v7, v5, 16, 1
	v_cmp_o_f32_e32 vcc_lo, v5, v5
	v_add3_u32 v7, v5, v7, 0x7fff
	s_delay_alu instid0(VALU_DEP_1) | instskip(NEXT) | instid1(VALU_DEP_1)
	v_lshrrev_b32_e32 v7, 16, v7
	v_cndmask_b32_e32 v5, 0x7fc0, v7, vcc_lo
	global_store_b32 v[2:3], v5, off
.LBB9_183:
	s_and_b32 vcc_lo, exec_lo, s1
	s_cbranch_vccz .LBB9_188
; %bb.184:
	v_cmp_eq_u16_e32 vcc_lo, 44, v6
	s_mov_b32 s0, -1
	s_cbranch_vccz .LBB9_188
; %bb.185:
	v_cvt_f32_f64_e32 v5, v[34:35]
	v_mov_b32_e32 v7, 0xff
	s_mov_b32 s1, exec_lo
	s_delay_alu instid0(VALU_DEP_2) | instskip(NEXT) | instid1(VALU_DEP_1)
	v_bfe_u32 v8, v5, 23, 8
	v_cmpx_ne_u32_e32 0xff, v8
; %bb.186:
	v_and_b32_e32 v7, 0x400000, v5
	v_and_or_b32 v8, 0x3fffff, v5, v8
	v_lshrrev_b32_e32 v5, 23, v5
	s_delay_alu instid0(VALU_DEP_3) | instskip(NEXT) | instid1(VALU_DEP_3)
	v_cmp_ne_u32_e32 vcc_lo, 0, v7
	v_cmp_ne_u32_e64 s0, 0, v8
	s_delay_alu instid0(VALU_DEP_1) | instskip(NEXT) | instid1(SALU_CYCLE_1)
	s_and_b32 s0, vcc_lo, s0
	v_cndmask_b32_e64 v7, 0, 1, s0
	s_delay_alu instid0(VALU_DEP_1)
	v_add_nc_u32_e32 v7, v5, v7
; %bb.187:
	s_or_b32 exec_lo, exec_lo, s1
	s_mov_b32 s0, 0
	s_mov_b32 s3, -1
	global_store_b8 v[2:3], v7, off
.LBB9_188:
	s_mov_b32 s1, 0
.LBB9_189:
	s_delay_alu instid0(SALU_CYCLE_1)
	s_and_b32 vcc_lo, exec_lo, s1
	s_cbranch_vccz .LBB9_192
; %bb.190:
	v_cmp_eq_u16_e32 vcc_lo, 29, v6
	s_mov_b32 s0, -1
	s_cbranch_vccz .LBB9_192
; %bb.191:
	v_trunc_f64_e32 v[7:8], v[34:35]
	s_mov_b32 s0, 0
	s_mov_b32 s3, -1
	s_delay_alu instid0(VALU_DEP_1) | instskip(NEXT) | instid1(VALU_DEP_1)
	v_ldexp_f64 v[9:10], v[7:8], 0xffffffe0
	v_floor_f64_e32 v[9:10], v[9:10]
	s_delay_alu instid0(VALU_DEP_1) | instskip(SKIP_1) | instid1(VALU_DEP_2)
	v_fma_f64 v[7:8], 0xc1f00000, v[9:10], v[7:8]
	v_cvt_u32_f64_e32 v9, v[9:10]
	v_cvt_u32_f64_e32 v8, v[7:8]
	global_store_b64 v[2:3], v[8:9], off
.LBB9_192:
	s_mov_b32 s1, 0
.LBB9_193:
	s_delay_alu instid0(SALU_CYCLE_1)
	s_and_b32 vcc_lo, exec_lo, s1
	s_cbranch_vccz .LBB9_209
; %bb.194:
	v_cmp_gt_i16_e32 vcc_lo, 27, v6
	s_mov_b32 s1, -1
	s_cbranch_vccnz .LBB9_200
; %bb.195:
	v_cmp_lt_i16_e32 vcc_lo, 27, v6
	s_cbranch_vccz .LBB9_197
; %bb.196:
	v_cvt_u32_f64_e32 v5, v[34:35]
	s_mov_b32 s1, 0
	global_store_b32 v[2:3], v5, off
.LBB9_197:
	s_and_not1_b32 vcc_lo, exec_lo, s1
	s_cbranch_vccnz .LBB9_199
; %bb.198:
	v_cvt_u32_f64_e32 v5, v[34:35]
	global_store_b16 v[2:3], v5, off
.LBB9_199:
	s_mov_b32 s1, 0
.LBB9_200:
	s_delay_alu instid0(SALU_CYCLE_1)
	s_and_not1_b32 vcc_lo, exec_lo, s1
	s_cbranch_vccnz .LBB9_208
; %bb.201:
	v_cvt_f32_f64_e32 v5, v[34:35]
	v_mov_b32_e32 v8, 0x80
	s_mov_b32 s1, exec_lo
	s_delay_alu instid0(VALU_DEP_2) | instskip(NEXT) | instid1(VALU_DEP_1)
	v_and_b32_e32 v7, 0x7fffffff, v5
	v_cmpx_gt_u32_e32 0x43800000, v7
	s_cbranch_execz .LBB9_207
; %bb.202:
	v_cmp_lt_u32_e32 vcc_lo, 0x3bffffff, v7
	s_mov_b32 s3, 0
                                        ; implicit-def: $vgpr7
	s_and_saveexec_b32 s4, vcc_lo
	s_delay_alu instid0(SALU_CYCLE_1)
	s_xor_b32 s4, exec_lo, s4
	s_cbranch_execz .LBB9_657
; %bb.203:
	v_bfe_u32 v7, v5, 20, 1
	s_mov_b32 s3, exec_lo
	s_delay_alu instid0(VALU_DEP_1) | instskip(NEXT) | instid1(VALU_DEP_1)
	v_add3_u32 v7, v5, v7, 0x487ffff
	v_lshrrev_b32_e32 v7, 20, v7
	s_or_saveexec_b32 s4, s4
                                        ; implicit-def: $sgpr5
	s_delay_alu instid0(SALU_CYCLE_1)
	s_xor_b32 exec_lo, exec_lo, s4
	s_cbranch_execnz .LBB9_658
.LBB9_204:
	s_or_b32 exec_lo, exec_lo, s4
	v_mov_b32_e32 v8, s5
	s_and_saveexec_b32 s4, s3
.LBB9_205:
	v_lshrrev_b32_e32 v5, 24, v5
	s_delay_alu instid0(VALU_DEP_1)
	v_and_or_b32 v8, 0x80, v5, v7
.LBB9_206:
	s_or_b32 exec_lo, exec_lo, s4
.LBB9_207:
	s_delay_alu instid0(SALU_CYCLE_1)
	s_or_b32 exec_lo, exec_lo, s1
	global_store_b8 v[2:3], v8, off
.LBB9_208:
	s_mov_b32 s3, -1
.LBB9_209:
	s_mov_b32 s1, 0
.LBB9_210:
	s_delay_alu instid0(SALU_CYCLE_1)
	s_and_b32 vcc_lo, exec_lo, s1
	s_cbranch_vccz .LBB9_250
; %bb.211:
	v_cmp_lt_i16_e32 vcc_lo, 22, v6
	s_mov_b32 s1, -1
	s_cbranch_vccz .LBB9_243
; %bb.212:
	v_cmp_gt_i16_e32 vcc_lo, 24, v6
	s_cbranch_vccnz .LBB9_232
; %bb.213:
	v_cmp_lt_i16_e32 vcc_lo, 24, v6
	s_cbranch_vccz .LBB9_221
; %bb.214:
	v_cvt_f32_f64_e32 v5, v[34:35]
	v_mov_b32_e32 v8, 0x80
	s_mov_b32 s1, exec_lo
	s_delay_alu instid0(VALU_DEP_2) | instskip(NEXT) | instid1(VALU_DEP_1)
	v_and_b32_e32 v7, 0x7fffffff, v5
	v_cmpx_gt_u32_e32 0x47800000, v7
	s_cbranch_execz .LBB9_220
; %bb.215:
	v_cmp_lt_u32_e32 vcc_lo, 0x37ffffff, v7
                                        ; implicit-def: $vgpr7
	s_and_saveexec_b32 s3, vcc_lo
	s_delay_alu instid0(SALU_CYCLE_1)
	s_xor_b32 s3, exec_lo, s3
	s_cbranch_execz .LBB9_664
; %bb.216:
	v_bfe_u32 v7, v5, 21, 1
	s_mov_b32 s2, exec_lo
	s_delay_alu instid0(VALU_DEP_1) | instskip(NEXT) | instid1(VALU_DEP_1)
	v_add3_u32 v7, v5, v7, 0x88fffff
	v_lshrrev_b32_e32 v7, 21, v7
	s_or_saveexec_b32 s3, s3
                                        ; implicit-def: $sgpr4
	s_delay_alu instid0(SALU_CYCLE_1)
	s_xor_b32 exec_lo, exec_lo, s3
	s_cbranch_execnz .LBB9_665
.LBB9_217:
	s_or_b32 exec_lo, exec_lo, s3
	v_mov_b32_e32 v8, s4
	s_and_saveexec_b32 s3, s2
.LBB9_218:
	v_lshrrev_b32_e32 v5, 24, v5
	s_delay_alu instid0(VALU_DEP_1)
	v_and_or_b32 v8, 0x80, v5, v7
.LBB9_219:
	s_or_b32 exec_lo, exec_lo, s3
.LBB9_220:
	s_delay_alu instid0(SALU_CYCLE_1)
	s_or_b32 exec_lo, exec_lo, s1
	s_mov_b32 s1, 0
	global_store_b8 v[2:3], v8, off
.LBB9_221:
	s_and_b32 vcc_lo, exec_lo, s1
	s_cbranch_vccz .LBB9_231
; %bb.222:
	v_cvt_f32_f64_e32 v5, v[34:35]
	s_mov_b32 s1, exec_lo
                                        ; implicit-def: $vgpr7
	s_delay_alu instid0(VALU_DEP_1) | instskip(NEXT) | instid1(VALU_DEP_1)
	v_and_b32_e32 v8, 0x7fffffff, v5
	v_cmpx_gt_u32_e32 0x43f00000, v8
	s_xor_b32 s1, exec_lo, s1
	s_cbranch_execz .LBB9_228
; %bb.223:
	s_mov_b32 s2, exec_lo
                                        ; implicit-def: $vgpr7
	v_cmpx_lt_u32_e32 0x3c7fffff, v8
	s_xor_b32 s2, exec_lo, s2
; %bb.224:
	v_bfe_u32 v7, v5, 20, 1
	s_delay_alu instid0(VALU_DEP_1) | instskip(NEXT) | instid1(VALU_DEP_1)
	v_add3_u32 v7, v5, v7, 0x407ffff
	v_and_b32_e32 v8, 0xff00000, v7
	v_lshrrev_b32_e32 v7, 20, v7
	s_delay_alu instid0(VALU_DEP_2) | instskip(NEXT) | instid1(VALU_DEP_2)
	v_cmp_ne_u32_e32 vcc_lo, 0x7f00000, v8
	v_cndmask_b32_e32 v7, 0x7e, v7, vcc_lo
; %bb.225:
	s_and_not1_saveexec_b32 s2, s2
; %bb.226:
	v_add_f32_e64 v7, 0x46800000, |v5|
; %bb.227:
	s_or_b32 exec_lo, exec_lo, s2
                                        ; implicit-def: $vgpr8
.LBB9_228:
	s_and_not1_saveexec_b32 s1, s1
; %bb.229:
	v_mov_b32_e32 v7, 0x7f
	v_cmp_lt_u32_e32 vcc_lo, 0x7f800000, v8
	s_delay_alu instid0(VALU_DEP_2)
	v_cndmask_b32_e32 v7, 0x7e, v7, vcc_lo
; %bb.230:
	s_or_b32 exec_lo, exec_lo, s1
	v_lshrrev_b32_e32 v5, 24, v5
	s_delay_alu instid0(VALU_DEP_1)
	v_and_or_b32 v5, 0x80, v5, v7
	global_store_b8 v[2:3], v5, off
.LBB9_231:
	s_mov_b32 s1, 0
.LBB9_232:
	s_delay_alu instid0(SALU_CYCLE_1)
	s_and_not1_b32 vcc_lo, exec_lo, s1
	s_cbranch_vccnz .LBB9_242
; %bb.233:
	v_cvt_f32_f64_e32 v5, v[34:35]
	s_mov_b32 s1, exec_lo
                                        ; implicit-def: $vgpr7
	s_delay_alu instid0(VALU_DEP_1) | instskip(NEXT) | instid1(VALU_DEP_1)
	v_and_b32_e32 v8, 0x7fffffff, v5
	v_cmpx_gt_u32_e32 0x47800000, v8
	s_xor_b32 s1, exec_lo, s1
	s_cbranch_execz .LBB9_239
; %bb.234:
	s_mov_b32 s2, exec_lo
                                        ; implicit-def: $vgpr7
	v_cmpx_lt_u32_e32 0x387fffff, v8
	s_xor_b32 s2, exec_lo, s2
; %bb.235:
	v_bfe_u32 v7, v5, 21, 1
	s_delay_alu instid0(VALU_DEP_1) | instskip(NEXT) | instid1(VALU_DEP_1)
	v_add3_u32 v7, v5, v7, 0x80fffff
	v_lshrrev_b32_e32 v7, 21, v7
; %bb.236:
	s_and_not1_saveexec_b32 s2, s2
; %bb.237:
	v_add_f32_e64 v7, 0x43000000, |v5|
; %bb.238:
	s_or_b32 exec_lo, exec_lo, s2
                                        ; implicit-def: $vgpr8
.LBB9_239:
	s_and_not1_saveexec_b32 s1, s1
; %bb.240:
	v_mov_b32_e32 v7, 0x7f
	v_cmp_lt_u32_e32 vcc_lo, 0x7f800000, v8
	s_delay_alu instid0(VALU_DEP_2)
	v_cndmask_b32_e32 v7, 0x7c, v7, vcc_lo
; %bb.241:
	s_or_b32 exec_lo, exec_lo, s1
	v_lshrrev_b32_e32 v5, 24, v5
	s_delay_alu instid0(VALU_DEP_1)
	v_and_or_b32 v5, 0x80, v5, v7
	global_store_b8 v[2:3], v5, off
.LBB9_242:
	s_mov_b32 s1, 0
	s_mov_b32 s3, -1
.LBB9_243:
	s_and_not1_b32 vcc_lo, exec_lo, s1
	s_mov_b32 s2, 0
	s_cbranch_vccnz .LBB9_250
; %bb.244:
	v_cmp_lt_i16_e32 vcc_lo, 14, v6
	s_mov_b32 s1, -1
	s_cbranch_vccz .LBB9_248
; %bb.245:
	v_cmp_eq_u16_e32 vcc_lo, 15, v6
	s_mov_b32 s0, -1
	s_cbranch_vccz .LBB9_247
; %bb.246:
	v_cvt_f32_f64_e32 v5, v[34:35]
	s_mov_b32 s0, 0
	s_mov_b32 s3, -1
	s_delay_alu instid0(VALU_DEP_1) | instskip(SKIP_1) | instid1(VALU_DEP_2)
	v_bfe_u32 v7, v5, 16, 1
	v_cmp_o_f32_e32 vcc_lo, v5, v5
	v_add3_u32 v7, v5, v7, 0x7fff
	s_delay_alu instid0(VALU_DEP_1) | instskip(NEXT) | instid1(VALU_DEP_1)
	v_lshrrev_b32_e32 v7, 16, v7
	v_cndmask_b32_e32 v5, 0x7fc0, v7, vcc_lo
	global_store_b16 v[2:3], v5, off
.LBB9_247:
	s_mov_b32 s1, 0
.LBB9_248:
	s_delay_alu instid0(SALU_CYCLE_1)
	s_and_b32 vcc_lo, exec_lo, s1
	s_cbranch_vccz .LBB9_250
; %bb.249:
	v_cmp_ne_u16_e64 s0, 11, v6
	s_mov_b32 s2, -1
.LBB9_250:
	s_delay_alu instid0(VALU_DEP_1)
	s_and_b32 vcc_lo, exec_lo, s0
	s_mov_b32 s1, s20
	s_cbranch_vccnz .LBB9_659
; %bb.251:
	s_and_not1_b32 vcc_lo, exec_lo, s2
	s_cbranch_vccnz .LBB9_253
.LBB9_252:
	v_cmp_neq_f64_e32 vcc_lo, 0, v[34:35]
	s_mov_b32 s3, -1
	v_cndmask_b32_e64 v5, 0, 1, vcc_lo
	global_store_b8 v[2:3], v5, off
.LBB9_253:
.LBB9_254:
	s_and_not1_b32 vcc_lo, exec_lo, s3
	s_cbranch_vccz .LBB9_294
	s_branch .LBB9_609
.LBB9_255:
	s_mov_b32 s3, 0
	s_mov_b32 s1, s20
	s_cbranch_execz .LBB9_254
; %bb.256:
	v_cmp_gt_i16_e32 vcc_lo, 5, v6
	s_mov_b32 s0, -1
	s_cbranch_vccnz .LBB9_277
; %bb.257:
	v_cmp_gt_i16_e32 vcc_lo, 8, v6
	s_cbranch_vccnz .LBB9_267
; %bb.258:
	v_cmp_gt_i16_e32 vcc_lo, 9, v6
	s_cbranch_vccnz .LBB9_264
; %bb.259:
	v_cmp_lt_i16_e32 vcc_lo, 9, v6
	s_cbranch_vccz .LBB9_261
; %bb.260:
	v_mov_b32_e32 v36, 0
	s_mov_b32 s0, 0
	s_delay_alu instid0(VALU_DEP_1)
	v_mov_b32_e32 v37, v36
	global_store_b128 v[2:3], v[34:37], off
.LBB9_261:
	s_and_not1_b32 vcc_lo, exec_lo, s0
	s_cbranch_vccnz .LBB9_263
; %bb.262:
	v_cvt_f32_f64_e32 v7, v[34:35]
	v_mov_b32_e32 v8, 0
	global_store_b64 v[2:3], v[7:8], off
.LBB9_263:
	s_mov_b32 s0, 0
.LBB9_264:
	s_delay_alu instid0(SALU_CYCLE_1)
	s_and_not1_b32 vcc_lo, exec_lo, s0
	s_cbranch_vccnz .LBB9_266
; %bb.265:
	v_cvt_f32_f64_e32 v5, v[34:35]
	s_delay_alu instid0(VALU_DEP_1) | instskip(NEXT) | instid1(VALU_DEP_1)
	v_cvt_f16_f32_e32 v5, v5
	v_and_b32_e32 v5, 0xffff, v5
	global_store_b32 v[2:3], v5, off
.LBB9_266:
	s_mov_b32 s0, 0
.LBB9_267:
	s_delay_alu instid0(SALU_CYCLE_1)
	s_and_not1_b32 vcc_lo, exec_lo, s0
	s_cbranch_vccnz .LBB9_276
; %bb.268:
	v_cmp_gt_i16_e32 vcc_lo, 6, v6
	s_mov_b32 s0, -1
	s_cbranch_vccnz .LBB9_274
; %bb.269:
	v_cmp_lt_i16_e32 vcc_lo, 6, v6
	s_cbranch_vccz .LBB9_271
; %bb.270:
	s_mov_b32 s0, 0
	global_store_b64 v[2:3], v[34:35], off
.LBB9_271:
	s_and_not1_b32 vcc_lo, exec_lo, s0
	s_cbranch_vccnz .LBB9_273
; %bb.272:
	v_cvt_f32_f64_e32 v5, v[34:35]
	global_store_b32 v[2:3], v5, off
.LBB9_273:
	s_mov_b32 s0, 0
.LBB9_274:
	s_delay_alu instid0(SALU_CYCLE_1)
	s_and_not1_b32 vcc_lo, exec_lo, s0
	s_cbranch_vccnz .LBB9_276
; %bb.275:
	v_cvt_f32_f64_e32 v5, v[34:35]
	s_delay_alu instid0(VALU_DEP_1)
	v_cvt_f16_f32_e32 v5, v5
	global_store_b16 v[2:3], v5, off
.LBB9_276:
	s_mov_b32 s0, 0
.LBB9_277:
	s_delay_alu instid0(SALU_CYCLE_1)
	s_and_not1_b32 vcc_lo, exec_lo, s0
	s_cbranch_vccnz .LBB9_293
; %bb.278:
	v_cmp_gt_i16_e32 vcc_lo, 2, v6
	s_mov_b32 s0, -1
	s_cbranch_vccnz .LBB9_288
; %bb.279:
	v_cmp_gt_i16_e32 vcc_lo, 3, v6
	s_cbranch_vccnz .LBB9_285
; %bb.280:
	v_cmp_lt_i16_e32 vcc_lo, 3, v6
	s_cbranch_vccz .LBB9_282
; %bb.281:
	v_trunc_f64_e32 v[7:8], v[34:35]
	s_mov_b32 s0, 0
	s_delay_alu instid0(VALU_DEP_1) | instskip(NEXT) | instid1(VALU_DEP_1)
	v_ldexp_f64 v[9:10], v[7:8], 0xffffffe0
	v_floor_f64_e32 v[9:10], v[9:10]
	s_delay_alu instid0(VALU_DEP_1) | instskip(SKIP_1) | instid1(VALU_DEP_2)
	v_fma_f64 v[7:8], 0xc1f00000, v[9:10], v[7:8]
	v_cvt_i32_f64_e32 v9, v[9:10]
	v_cvt_u32_f64_e32 v8, v[7:8]
	global_store_b64 v[2:3], v[8:9], off
.LBB9_282:
	s_and_not1_b32 vcc_lo, exec_lo, s0
	s_cbranch_vccnz .LBB9_284
; %bb.283:
	v_cvt_i32_f64_e32 v5, v[34:35]
	global_store_b32 v[2:3], v5, off
.LBB9_284:
	s_mov_b32 s0, 0
.LBB9_285:
	s_delay_alu instid0(SALU_CYCLE_1)
	s_and_not1_b32 vcc_lo, exec_lo, s0
	s_cbranch_vccnz .LBB9_287
; %bb.286:
	v_cvt_i32_f64_e32 v5, v[34:35]
	global_store_b16 v[2:3], v5, off
.LBB9_287:
	s_mov_b32 s0, 0
.LBB9_288:
	s_delay_alu instid0(SALU_CYCLE_1)
	s_and_not1_b32 vcc_lo, exec_lo, s0
	s_cbranch_vccnz .LBB9_293
; %bb.289:
	v_cmp_lt_i16_e32 vcc_lo, 0, v6
	s_mov_b32 s0, -1
	s_cbranch_vccz .LBB9_291
; %bb.290:
	v_cvt_i32_f64_e32 v5, v[34:35]
	s_mov_b32 s0, 0
	global_store_b8 v[2:3], v5, off
.LBB9_291:
	s_and_not1_b32 vcc_lo, exec_lo, s0
	s_cbranch_vccnz .LBB9_293
; %bb.292:
	v_trunc_f64_e32 v[7:8], v[34:35]
	s_delay_alu instid0(VALU_DEP_1) | instskip(NEXT) | instid1(VALU_DEP_1)
	v_ldexp_f64 v[9:10], v[7:8], 0xffffffe0
	v_floor_f64_e32 v[9:10], v[9:10]
	s_delay_alu instid0(VALU_DEP_1) | instskip(NEXT) | instid1(VALU_DEP_1)
	v_fma_f64 v[7:8], 0xc1f00000, v[9:10], v[7:8]
	v_cvt_u32_f64_e32 v5, v[7:8]
	global_store_b8 v[2:3], v5, off
.LBB9_293:
.LBB9_294:
	s_lshl_b32 s2, s12, 7
	v_cmp_gt_i16_e32 vcc_lo, 11, v6
	v_add_nc_u32_e32 v4, s2, v4
	s_delay_alu instid0(VALU_DEP_1) | instskip(SKIP_1) | instid1(VALU_DEP_1)
	v_ashrrev_i32_e32 v3, 31, v4
	v_add_co_u32 v2, s0, s16, v4
	v_add_co_ci_u32_e64 v3, s0, s17, v3, s0
	s_cbranch_vccnz .LBB9_373
; %bb.295:
	v_cmp_lt_i16_e32 vcc_lo, 25, v6
	s_mov_b32 s5, -1
	s_mov_b32 s3, 0
	s_mov_b32 s4, 0
	s_mov_b32 s0, 0
	s_cbranch_vccz .LBB9_328
; %bb.296:
	v_cmp_lt_i16_e32 vcc_lo, 28, v6
	s_cbranch_vccz .LBB9_311
; %bb.297:
	v_cmp_lt_i16_e32 vcc_lo, 43, v6
	;; [unrolled: 3-line block ×3, first 2 shown]
	s_cbranch_vccz .LBB9_301
; %bb.299:
	v_cmp_eq_u16_e32 vcc_lo, 46, v6
	s_mov_b32 s0, -1
	s_mov_b32 s5, 0
	s_cbranch_vccz .LBB9_301
; %bb.300:
	v_cvt_f32_f64_e32 v5, v[32:33]
	s_mov_b32 s0, 0
	s_mov_b32 s4, -1
	s_delay_alu instid0(VALU_DEP_1) | instskip(SKIP_1) | instid1(VALU_DEP_2)
	v_bfe_u32 v7, v5, 16, 1
	v_cmp_o_f32_e32 vcc_lo, v5, v5
	v_add3_u32 v7, v5, v7, 0x7fff
	s_delay_alu instid0(VALU_DEP_1) | instskip(NEXT) | instid1(VALU_DEP_1)
	v_lshrrev_b32_e32 v7, 16, v7
	v_cndmask_b32_e32 v5, 0x7fc0, v7, vcc_lo
	global_store_b32 v[2:3], v5, off
.LBB9_301:
	s_and_b32 vcc_lo, exec_lo, s5
	s_cbranch_vccz .LBB9_306
; %bb.302:
	v_cmp_eq_u16_e32 vcc_lo, 44, v6
	s_mov_b32 s0, -1
	s_cbranch_vccz .LBB9_306
; %bb.303:
	v_cvt_f32_f64_e32 v5, v[32:33]
	v_mov_b32_e32 v7, 0xff
	s_mov_b32 s4, exec_lo
	s_delay_alu instid0(VALU_DEP_2) | instskip(NEXT) | instid1(VALU_DEP_1)
	v_bfe_u32 v8, v5, 23, 8
	v_cmpx_ne_u32_e32 0xff, v8
; %bb.304:
	v_and_b32_e32 v7, 0x400000, v5
	v_and_or_b32 v8, 0x3fffff, v5, v8
	v_lshrrev_b32_e32 v5, 23, v5
	s_delay_alu instid0(VALU_DEP_3) | instskip(NEXT) | instid1(VALU_DEP_3)
	v_cmp_ne_u32_e32 vcc_lo, 0, v7
	v_cmp_ne_u32_e64 s0, 0, v8
	s_delay_alu instid0(VALU_DEP_1) | instskip(NEXT) | instid1(SALU_CYCLE_1)
	s_and_b32 s0, vcc_lo, s0
	v_cndmask_b32_e64 v7, 0, 1, s0
	s_delay_alu instid0(VALU_DEP_1)
	v_add_nc_u32_e32 v7, v5, v7
; %bb.305:
	s_or_b32 exec_lo, exec_lo, s4
	s_mov_b32 s0, 0
	s_mov_b32 s4, -1
	global_store_b8 v[2:3], v7, off
.LBB9_306:
	s_mov_b32 s5, 0
.LBB9_307:
	s_delay_alu instid0(SALU_CYCLE_1)
	s_and_b32 vcc_lo, exec_lo, s5
	s_cbranch_vccz .LBB9_310
; %bb.308:
	v_cmp_eq_u16_e32 vcc_lo, 29, v6
	s_mov_b32 s0, -1
	s_cbranch_vccz .LBB9_310
; %bb.309:
	v_trunc_f64_e32 v[7:8], v[32:33]
	s_mov_b32 s0, 0
	s_mov_b32 s4, -1
	s_delay_alu instid0(VALU_DEP_1) | instskip(NEXT) | instid1(VALU_DEP_1)
	v_ldexp_f64 v[9:10], v[7:8], 0xffffffe0
	v_floor_f64_e32 v[9:10], v[9:10]
	s_delay_alu instid0(VALU_DEP_1) | instskip(SKIP_1) | instid1(VALU_DEP_2)
	v_fma_f64 v[7:8], 0xc1f00000, v[9:10], v[7:8]
	v_cvt_u32_f64_e32 v9, v[9:10]
	v_cvt_u32_f64_e32 v8, v[7:8]
	global_store_b64 v[2:3], v[8:9], off
.LBB9_310:
	s_mov_b32 s5, 0
.LBB9_311:
	s_delay_alu instid0(SALU_CYCLE_1)
	s_and_b32 vcc_lo, exec_lo, s5
	s_cbranch_vccz .LBB9_327
; %bb.312:
	v_cmp_gt_i16_e32 vcc_lo, 27, v6
	s_mov_b32 s4, -1
	s_cbranch_vccnz .LBB9_318
; %bb.313:
	v_cvt_u32_f64_e32 v5, v[32:33]
	v_cmp_lt_i16_e32 vcc_lo, 27, v6
	s_cbranch_vccz .LBB9_315
; %bb.314:
	s_mov_b32 s4, 0
	global_store_b32 v[2:3], v5, off
.LBB9_315:
	s_and_not1_b32 vcc_lo, exec_lo, s4
	s_cbranch_vccnz .LBB9_317
; %bb.316:
	global_store_b16 v[2:3], v5, off
.LBB9_317:
	s_mov_b32 s4, 0
.LBB9_318:
	s_delay_alu instid0(SALU_CYCLE_1)
	s_and_not1_b32 vcc_lo, exec_lo, s4
	s_cbranch_vccnz .LBB9_326
; %bb.319:
	v_cvt_f32_f64_e32 v5, v[32:33]
	v_mov_b32_e32 v8, 0x80
	s_mov_b32 s4, exec_lo
	s_delay_alu instid0(VALU_DEP_2) | instskip(NEXT) | instid1(VALU_DEP_1)
	v_and_b32_e32 v7, 0x7fffffff, v5
	v_cmpx_gt_u32_e32 0x43800000, v7
	s_cbranch_execz .LBB9_325
; %bb.320:
	v_cmp_lt_u32_e32 vcc_lo, 0x3bffffff, v7
	s_mov_b32 s5, 0
                                        ; implicit-def: $vgpr7
	s_and_saveexec_b32 s6, vcc_lo
	s_delay_alu instid0(SALU_CYCLE_1)
	s_xor_b32 s6, exec_lo, s6
	s_cbranch_execz .LBB9_666
; %bb.321:
	v_bfe_u32 v7, v5, 20, 1
	s_mov_b32 s5, exec_lo
	s_delay_alu instid0(VALU_DEP_1) | instskip(NEXT) | instid1(VALU_DEP_1)
	v_add3_u32 v7, v5, v7, 0x487ffff
	v_lshrrev_b32_e32 v7, 20, v7
	s_or_saveexec_b32 s6, s6
                                        ; implicit-def: $sgpr7
	s_delay_alu instid0(SALU_CYCLE_1)
	s_xor_b32 exec_lo, exec_lo, s6
	s_cbranch_execnz .LBB9_667
.LBB9_322:
	s_or_b32 exec_lo, exec_lo, s6
	v_mov_b32_e32 v8, s7
	s_and_saveexec_b32 s6, s5
.LBB9_323:
	v_lshrrev_b32_e32 v5, 24, v5
	s_delay_alu instid0(VALU_DEP_1)
	v_and_or_b32 v8, 0x80, v5, v7
.LBB9_324:
	s_or_b32 exec_lo, exec_lo, s6
.LBB9_325:
	s_delay_alu instid0(SALU_CYCLE_1)
	s_or_b32 exec_lo, exec_lo, s4
	global_store_b8 v[2:3], v8, off
.LBB9_326:
	s_mov_b32 s4, -1
.LBB9_327:
	s_mov_b32 s5, 0
.LBB9_328:
	s_delay_alu instid0(SALU_CYCLE_1)
	s_and_b32 vcc_lo, exec_lo, s5
	s_cbranch_vccz .LBB9_368
; %bb.329:
	v_cmp_lt_i16_e32 vcc_lo, 22, v6
	s_mov_b32 s3, -1
	s_cbranch_vccz .LBB9_361
; %bb.330:
	v_cmp_gt_i16_e32 vcc_lo, 24, v6
	s_cbranch_vccnz .LBB9_350
; %bb.331:
	v_cmp_lt_i16_e32 vcc_lo, 24, v6
	s_cbranch_vccz .LBB9_339
; %bb.332:
	v_cvt_f32_f64_e32 v5, v[32:33]
	v_mov_b32_e32 v8, 0x80
	s_mov_b32 s3, exec_lo
	s_delay_alu instid0(VALU_DEP_2) | instskip(NEXT) | instid1(VALU_DEP_1)
	v_and_b32_e32 v7, 0x7fffffff, v5
	v_cmpx_gt_u32_e32 0x47800000, v7
	s_cbranch_execz .LBB9_338
; %bb.333:
	v_cmp_lt_u32_e32 vcc_lo, 0x37ffffff, v7
	s_mov_b32 s4, 0
                                        ; implicit-def: $vgpr7
	s_and_saveexec_b32 s5, vcc_lo
	s_delay_alu instid0(SALU_CYCLE_1)
	s_xor_b32 s5, exec_lo, s5
	s_cbranch_execz .LBB9_799
; %bb.334:
	v_bfe_u32 v7, v5, 21, 1
	s_mov_b32 s4, exec_lo
	s_delay_alu instid0(VALU_DEP_1) | instskip(NEXT) | instid1(VALU_DEP_1)
	v_add3_u32 v7, v5, v7, 0x88fffff
	v_lshrrev_b32_e32 v7, 21, v7
	s_or_saveexec_b32 s5, s5
                                        ; implicit-def: $sgpr6
	s_delay_alu instid0(SALU_CYCLE_1)
	s_xor_b32 exec_lo, exec_lo, s5
	s_cbranch_execnz .LBB9_800
.LBB9_335:
	s_or_b32 exec_lo, exec_lo, s5
	v_mov_b32_e32 v8, s6
	s_and_saveexec_b32 s5, s4
.LBB9_336:
	v_lshrrev_b32_e32 v5, 24, v5
	s_delay_alu instid0(VALU_DEP_1)
	v_and_or_b32 v8, 0x80, v5, v7
.LBB9_337:
	s_or_b32 exec_lo, exec_lo, s5
.LBB9_338:
	s_delay_alu instid0(SALU_CYCLE_1)
	s_or_b32 exec_lo, exec_lo, s3
	s_mov_b32 s3, 0
	global_store_b8 v[2:3], v8, off
.LBB9_339:
	s_and_b32 vcc_lo, exec_lo, s3
	s_cbranch_vccz .LBB9_349
; %bb.340:
	v_cvt_f32_f64_e32 v5, v[32:33]
	s_mov_b32 s3, exec_lo
                                        ; implicit-def: $vgpr7
	s_delay_alu instid0(VALU_DEP_1) | instskip(NEXT) | instid1(VALU_DEP_1)
	v_and_b32_e32 v8, 0x7fffffff, v5
	v_cmpx_gt_u32_e32 0x43f00000, v8
	s_xor_b32 s3, exec_lo, s3
	s_cbranch_execz .LBB9_346
; %bb.341:
	s_mov_b32 s4, exec_lo
                                        ; implicit-def: $vgpr7
	v_cmpx_lt_u32_e32 0x3c7fffff, v8
	s_xor_b32 s4, exec_lo, s4
; %bb.342:
	v_bfe_u32 v7, v5, 20, 1
	s_delay_alu instid0(VALU_DEP_1) | instskip(NEXT) | instid1(VALU_DEP_1)
	v_add3_u32 v7, v5, v7, 0x407ffff
	v_and_b32_e32 v8, 0xff00000, v7
	v_lshrrev_b32_e32 v7, 20, v7
	s_delay_alu instid0(VALU_DEP_2) | instskip(NEXT) | instid1(VALU_DEP_2)
	v_cmp_ne_u32_e32 vcc_lo, 0x7f00000, v8
	v_cndmask_b32_e32 v7, 0x7e, v7, vcc_lo
; %bb.343:
	s_and_not1_saveexec_b32 s4, s4
; %bb.344:
	v_add_f32_e64 v7, 0x46800000, |v5|
; %bb.345:
	s_or_b32 exec_lo, exec_lo, s4
                                        ; implicit-def: $vgpr8
.LBB9_346:
	s_and_not1_saveexec_b32 s3, s3
; %bb.347:
	v_mov_b32_e32 v7, 0x7f
	v_cmp_lt_u32_e32 vcc_lo, 0x7f800000, v8
	s_delay_alu instid0(VALU_DEP_2)
	v_cndmask_b32_e32 v7, 0x7e, v7, vcc_lo
; %bb.348:
	s_or_b32 exec_lo, exec_lo, s3
	v_lshrrev_b32_e32 v5, 24, v5
	s_delay_alu instid0(VALU_DEP_1)
	v_and_or_b32 v5, 0x80, v5, v7
	global_store_b8 v[2:3], v5, off
.LBB9_349:
	s_mov_b32 s3, 0
.LBB9_350:
	s_delay_alu instid0(SALU_CYCLE_1)
	s_and_not1_b32 vcc_lo, exec_lo, s3
	s_cbranch_vccnz .LBB9_360
; %bb.351:
	v_cvt_f32_f64_e32 v5, v[32:33]
	s_mov_b32 s3, exec_lo
                                        ; implicit-def: $vgpr7
	s_delay_alu instid0(VALU_DEP_1) | instskip(NEXT) | instid1(VALU_DEP_1)
	v_and_b32_e32 v8, 0x7fffffff, v5
	v_cmpx_gt_u32_e32 0x47800000, v8
	s_xor_b32 s3, exec_lo, s3
	s_cbranch_execz .LBB9_357
; %bb.352:
	s_mov_b32 s4, exec_lo
                                        ; implicit-def: $vgpr7
	v_cmpx_lt_u32_e32 0x387fffff, v8
	s_xor_b32 s4, exec_lo, s4
; %bb.353:
	v_bfe_u32 v7, v5, 21, 1
	s_delay_alu instid0(VALU_DEP_1) | instskip(NEXT) | instid1(VALU_DEP_1)
	v_add3_u32 v7, v5, v7, 0x80fffff
	v_lshrrev_b32_e32 v7, 21, v7
; %bb.354:
	s_and_not1_saveexec_b32 s4, s4
; %bb.355:
	v_add_f32_e64 v7, 0x43000000, |v5|
; %bb.356:
	s_or_b32 exec_lo, exec_lo, s4
                                        ; implicit-def: $vgpr8
.LBB9_357:
	s_and_not1_saveexec_b32 s3, s3
; %bb.358:
	v_mov_b32_e32 v7, 0x7f
	v_cmp_lt_u32_e32 vcc_lo, 0x7f800000, v8
	s_delay_alu instid0(VALU_DEP_2)
	v_cndmask_b32_e32 v7, 0x7c, v7, vcc_lo
; %bb.359:
	s_or_b32 exec_lo, exec_lo, s3
	v_lshrrev_b32_e32 v5, 24, v5
	s_delay_alu instid0(VALU_DEP_1)
	v_and_or_b32 v5, 0x80, v5, v7
	global_store_b8 v[2:3], v5, off
.LBB9_360:
	s_mov_b32 s3, 0
	s_mov_b32 s4, -1
.LBB9_361:
	s_and_not1_b32 vcc_lo, exec_lo, s3
	s_mov_b32 s3, 0
	s_cbranch_vccnz .LBB9_368
; %bb.362:
	v_cmp_lt_i16_e32 vcc_lo, 14, v6
	s_mov_b32 s3, -1
	s_cbranch_vccz .LBB9_366
; %bb.363:
	v_cmp_eq_u16_e32 vcc_lo, 15, v6
	s_mov_b32 s0, -1
	s_cbranch_vccz .LBB9_365
; %bb.364:
	v_cvt_f32_f64_e32 v5, v[32:33]
	s_mov_b32 s0, 0
	s_mov_b32 s4, -1
	s_delay_alu instid0(VALU_DEP_1) | instskip(SKIP_1) | instid1(VALU_DEP_2)
	v_bfe_u32 v7, v5, 16, 1
	v_cmp_o_f32_e32 vcc_lo, v5, v5
	v_add3_u32 v7, v5, v7, 0x7fff
	s_delay_alu instid0(VALU_DEP_1) | instskip(NEXT) | instid1(VALU_DEP_1)
	v_lshrrev_b32_e32 v7, 16, v7
	v_cndmask_b32_e32 v5, 0x7fc0, v7, vcc_lo
	global_store_b16 v[2:3], v5, off
.LBB9_365:
	s_mov_b32 s3, 0
.LBB9_366:
	s_delay_alu instid0(SALU_CYCLE_1)
	s_and_b32 vcc_lo, exec_lo, s3
	s_mov_b32 s3, 0
	s_cbranch_vccz .LBB9_368
; %bb.367:
	v_cmp_ne_u16_e64 s0, 11, v6
	s_mov_b32 s3, -1
.LBB9_368:
	s_delay_alu instid0(VALU_DEP_1)
	s_and_b32 vcc_lo, exec_lo, s0
	s_cbranch_vccnz .LBB9_670
; %bb.369:
	s_and_not1_b32 vcc_lo, exec_lo, s3
	s_cbranch_vccnz .LBB9_371
.LBB9_370:
	v_cmp_neq_f64_e32 vcc_lo, 0, v[32:33]
	s_mov_b32 s4, -1
	v_cndmask_b32_e64 v5, 0, 1, vcc_lo
	global_store_b8 v[2:3], v5, off
.LBB9_371:
.LBB9_372:
	s_and_not1_b32 vcc_lo, exec_lo, s4
	s_cbranch_vccz .LBB9_412
	s_branch .LBB9_609
.LBB9_373:
	s_mov_b32 s4, 0
	s_cbranch_execz .LBB9_372
; %bb.374:
	v_cmp_gt_i16_e32 vcc_lo, 5, v6
	s_mov_b32 s0, -1
	s_cbranch_vccnz .LBB9_395
; %bb.375:
	v_cmp_gt_i16_e32 vcc_lo, 8, v6
	s_cbranch_vccnz .LBB9_385
; %bb.376:
	v_cmp_gt_i16_e32 vcc_lo, 9, v6
	s_cbranch_vccnz .LBB9_382
; %bb.377:
	v_cmp_lt_i16_e32 vcc_lo, 9, v6
	s_cbranch_vccz .LBB9_379
; %bb.378:
	v_mov_b32_e32 v34, 0
	s_mov_b32 s0, 0
	s_delay_alu instid0(VALU_DEP_1)
	v_mov_b32_e32 v35, v34
	global_store_b128 v[2:3], v[32:35], off
.LBB9_379:
	s_and_not1_b32 vcc_lo, exec_lo, s0
	s_cbranch_vccnz .LBB9_381
; %bb.380:
	v_cvt_f32_f64_e32 v7, v[32:33]
	v_mov_b32_e32 v8, 0
	global_store_b64 v[2:3], v[7:8], off
.LBB9_381:
	s_mov_b32 s0, 0
.LBB9_382:
	s_delay_alu instid0(SALU_CYCLE_1)
	s_and_not1_b32 vcc_lo, exec_lo, s0
	s_cbranch_vccnz .LBB9_384
; %bb.383:
	v_cvt_f32_f64_e32 v5, v[32:33]
	s_delay_alu instid0(VALU_DEP_1) | instskip(NEXT) | instid1(VALU_DEP_1)
	v_cvt_f16_f32_e32 v5, v5
	v_and_b32_e32 v5, 0xffff, v5
	global_store_b32 v[2:3], v5, off
.LBB9_384:
	s_mov_b32 s0, 0
.LBB9_385:
	s_delay_alu instid0(SALU_CYCLE_1)
	s_and_not1_b32 vcc_lo, exec_lo, s0
	s_cbranch_vccnz .LBB9_394
; %bb.386:
	v_cmp_gt_i16_e32 vcc_lo, 6, v6
	s_mov_b32 s0, -1
	s_cbranch_vccnz .LBB9_392
; %bb.387:
	v_cmp_lt_i16_e32 vcc_lo, 6, v6
	s_cbranch_vccz .LBB9_389
; %bb.388:
	s_mov_b32 s0, 0
	global_store_b64 v[2:3], v[32:33], off
.LBB9_389:
	s_and_not1_b32 vcc_lo, exec_lo, s0
	s_cbranch_vccnz .LBB9_391
; %bb.390:
	v_cvt_f32_f64_e32 v5, v[32:33]
	global_store_b32 v[2:3], v5, off
.LBB9_391:
	s_mov_b32 s0, 0
.LBB9_392:
	s_delay_alu instid0(SALU_CYCLE_1)
	s_and_not1_b32 vcc_lo, exec_lo, s0
	s_cbranch_vccnz .LBB9_394
; %bb.393:
	v_cvt_f32_f64_e32 v5, v[32:33]
	s_delay_alu instid0(VALU_DEP_1)
	v_cvt_f16_f32_e32 v5, v5
	global_store_b16 v[2:3], v5, off
.LBB9_394:
	s_mov_b32 s0, 0
.LBB9_395:
	s_delay_alu instid0(SALU_CYCLE_1)
	s_and_not1_b32 vcc_lo, exec_lo, s0
	s_cbranch_vccnz .LBB9_411
; %bb.396:
	v_cmp_gt_i16_e32 vcc_lo, 2, v6
	s_mov_b32 s0, -1
	s_cbranch_vccnz .LBB9_406
; %bb.397:
	v_cmp_gt_i16_e32 vcc_lo, 3, v6
	s_cbranch_vccnz .LBB9_403
; %bb.398:
	v_cmp_lt_i16_e32 vcc_lo, 3, v6
	s_cbranch_vccz .LBB9_400
; %bb.399:
	v_trunc_f64_e32 v[7:8], v[32:33]
	s_mov_b32 s0, 0
	s_delay_alu instid0(VALU_DEP_1) | instskip(NEXT) | instid1(VALU_DEP_1)
	v_ldexp_f64 v[9:10], v[7:8], 0xffffffe0
	v_floor_f64_e32 v[9:10], v[9:10]
	s_delay_alu instid0(VALU_DEP_1) | instskip(SKIP_1) | instid1(VALU_DEP_2)
	v_fma_f64 v[7:8], 0xc1f00000, v[9:10], v[7:8]
	v_cvt_i32_f64_e32 v9, v[9:10]
	v_cvt_u32_f64_e32 v8, v[7:8]
	global_store_b64 v[2:3], v[8:9], off
.LBB9_400:
	s_and_not1_b32 vcc_lo, exec_lo, s0
	s_cbranch_vccnz .LBB9_402
; %bb.401:
	v_cvt_i32_f64_e32 v5, v[32:33]
	global_store_b32 v[2:3], v5, off
.LBB9_402:
	s_mov_b32 s0, 0
.LBB9_403:
	s_delay_alu instid0(SALU_CYCLE_1)
	s_and_not1_b32 vcc_lo, exec_lo, s0
	s_cbranch_vccnz .LBB9_405
; %bb.404:
	v_cvt_i32_f64_e32 v5, v[32:33]
	global_store_b16 v[2:3], v5, off
.LBB9_405:
	s_mov_b32 s0, 0
.LBB9_406:
	s_delay_alu instid0(SALU_CYCLE_1)
	s_and_not1_b32 vcc_lo, exec_lo, s0
	s_cbranch_vccnz .LBB9_411
; %bb.407:
	v_cmp_lt_i16_e32 vcc_lo, 0, v6
	s_mov_b32 s0, -1
	s_cbranch_vccz .LBB9_409
; %bb.408:
	v_cvt_i32_f64_e32 v5, v[32:33]
	s_mov_b32 s0, 0
	global_store_b8 v[2:3], v5, off
.LBB9_409:
	s_and_not1_b32 vcc_lo, exec_lo, s0
	s_cbranch_vccnz .LBB9_411
; %bb.410:
	v_trunc_f64_e32 v[7:8], v[32:33]
	s_delay_alu instid0(VALU_DEP_1) | instskip(NEXT) | instid1(VALU_DEP_1)
	v_ldexp_f64 v[9:10], v[7:8], 0xffffffe0
	v_floor_f64_e32 v[9:10], v[9:10]
	s_delay_alu instid0(VALU_DEP_1) | instskip(NEXT) | instid1(VALU_DEP_1)
	v_fma_f64 v[7:8], 0xc1f00000, v[9:10], v[7:8]
	v_cvt_u32_f64_e32 v5, v[7:8]
	global_store_b8 v[2:3], v5, off
.LBB9_411:
.LBB9_412:
	v_add_nc_u32_e32 v4, s2, v4
	v_cmp_gt_i16_e32 vcc_lo, 11, v6
	s_delay_alu instid0(VALU_DEP_2) | instskip(SKIP_1) | instid1(VALU_DEP_1)
	v_ashrrev_i32_e32 v3, 31, v4
	v_add_co_u32 v2, s0, s16, v4
	v_add_co_ci_u32_e64 v3, s0, s17, v3, s0
	s_cbranch_vccnz .LBB9_570
; %bb.413:
	v_cmp_lt_i16_e32 vcc_lo, 25, v6
	s_mov_b32 s5, -1
	s_mov_b32 s3, 0
	s_mov_b32 s4, 0
	;; [unrolled: 1-line block ×3, first 2 shown]
	s_cbranch_vccz .LBB9_446
; %bb.414:
	v_cmp_lt_i16_e32 vcc_lo, 28, v6
	s_cbranch_vccz .LBB9_429
; %bb.415:
	v_cmp_lt_i16_e32 vcc_lo, 43, v6
	s_cbranch_vccz .LBB9_425
; %bb.416:
	v_cmp_lt_i16_e32 vcc_lo, 45, v6
	s_cbranch_vccz .LBB9_419
; %bb.417:
	v_cmp_eq_u16_e32 vcc_lo, 46, v6
	s_mov_b32 s0, -1
	s_mov_b32 s5, 0
	s_cbranch_vccz .LBB9_419
; %bb.418:
	v_cvt_f32_f64_e32 v5, v[30:31]
	s_mov_b32 s0, 0
	s_mov_b32 s4, -1
	s_delay_alu instid0(VALU_DEP_1) | instskip(SKIP_1) | instid1(VALU_DEP_2)
	v_bfe_u32 v7, v5, 16, 1
	v_cmp_o_f32_e32 vcc_lo, v5, v5
	v_add3_u32 v7, v5, v7, 0x7fff
	s_delay_alu instid0(VALU_DEP_1) | instskip(NEXT) | instid1(VALU_DEP_1)
	v_lshrrev_b32_e32 v7, 16, v7
	v_cndmask_b32_e32 v5, 0x7fc0, v7, vcc_lo
	global_store_b32 v[2:3], v5, off
.LBB9_419:
	s_and_b32 vcc_lo, exec_lo, s5
	s_cbranch_vccz .LBB9_424
; %bb.420:
	v_cmp_eq_u16_e32 vcc_lo, 44, v6
	s_mov_b32 s0, -1
	s_cbranch_vccz .LBB9_424
; %bb.421:
	v_cvt_f32_f64_e32 v5, v[30:31]
	v_mov_b32_e32 v7, 0xff
	s_mov_b32 s4, exec_lo
	s_delay_alu instid0(VALU_DEP_2) | instskip(NEXT) | instid1(VALU_DEP_1)
	v_bfe_u32 v8, v5, 23, 8
	v_cmpx_ne_u32_e32 0xff, v8
; %bb.422:
	v_and_b32_e32 v7, 0x400000, v5
	v_and_or_b32 v8, 0x3fffff, v5, v8
	v_lshrrev_b32_e32 v5, 23, v5
	s_delay_alu instid0(VALU_DEP_3) | instskip(NEXT) | instid1(VALU_DEP_3)
	v_cmp_ne_u32_e32 vcc_lo, 0, v7
	v_cmp_ne_u32_e64 s0, 0, v8
	s_delay_alu instid0(VALU_DEP_1) | instskip(NEXT) | instid1(SALU_CYCLE_1)
	s_and_b32 s0, vcc_lo, s0
	v_cndmask_b32_e64 v7, 0, 1, s0
	s_delay_alu instid0(VALU_DEP_1)
	v_add_nc_u32_e32 v7, v5, v7
; %bb.423:
	s_or_b32 exec_lo, exec_lo, s4
	s_mov_b32 s0, 0
	s_mov_b32 s4, -1
	global_store_b8 v[2:3], v7, off
.LBB9_424:
	s_mov_b32 s5, 0
.LBB9_425:
	s_delay_alu instid0(SALU_CYCLE_1)
	s_and_b32 vcc_lo, exec_lo, s5
	s_cbranch_vccz .LBB9_428
; %bb.426:
	v_cmp_eq_u16_e32 vcc_lo, 29, v6
	s_mov_b32 s0, -1
	s_cbranch_vccz .LBB9_428
; %bb.427:
	v_trunc_f64_e32 v[7:8], v[30:31]
	s_mov_b32 s0, 0
	s_mov_b32 s4, -1
	s_delay_alu instid0(VALU_DEP_1) | instskip(NEXT) | instid1(VALU_DEP_1)
	v_ldexp_f64 v[9:10], v[7:8], 0xffffffe0
	v_floor_f64_e32 v[9:10], v[9:10]
	s_delay_alu instid0(VALU_DEP_1) | instskip(SKIP_1) | instid1(VALU_DEP_2)
	v_fma_f64 v[7:8], 0xc1f00000, v[9:10], v[7:8]
	v_cvt_u32_f64_e32 v9, v[9:10]
	v_cvt_u32_f64_e32 v8, v[7:8]
	global_store_b64 v[2:3], v[8:9], off
.LBB9_428:
	s_mov_b32 s5, 0
.LBB9_429:
	s_delay_alu instid0(SALU_CYCLE_1)
	s_and_b32 vcc_lo, exec_lo, s5
	s_cbranch_vccz .LBB9_445
; %bb.430:
	v_cmp_gt_i16_e32 vcc_lo, 27, v6
	s_mov_b32 s4, -1
	s_cbranch_vccnz .LBB9_436
; %bb.431:
	v_cvt_u32_f64_e32 v5, v[30:31]
	v_cmp_lt_i16_e32 vcc_lo, 27, v6
	s_cbranch_vccz .LBB9_433
; %bb.432:
	s_mov_b32 s4, 0
	global_store_b32 v[2:3], v5, off
.LBB9_433:
	s_and_not1_b32 vcc_lo, exec_lo, s4
	s_cbranch_vccnz .LBB9_435
; %bb.434:
	global_store_b16 v[2:3], v5, off
.LBB9_435:
	s_mov_b32 s4, 0
.LBB9_436:
	s_delay_alu instid0(SALU_CYCLE_1)
	s_and_not1_b32 vcc_lo, exec_lo, s4
	s_cbranch_vccnz .LBB9_444
; %bb.437:
	v_cvt_f32_f64_e32 v5, v[30:31]
	v_mov_b32_e32 v8, 0x80
	s_mov_b32 s4, exec_lo
	s_delay_alu instid0(VALU_DEP_2) | instskip(NEXT) | instid1(VALU_DEP_1)
	v_and_b32_e32 v7, 0x7fffffff, v5
	v_cmpx_gt_u32_e32 0x43800000, v7
	s_cbranch_execz .LBB9_443
; %bb.438:
	v_cmp_lt_u32_e32 vcc_lo, 0x3bffffff, v7
	s_mov_b32 s5, 0
                                        ; implicit-def: $vgpr7
	s_and_saveexec_b32 s6, vcc_lo
	s_delay_alu instid0(SALU_CYCLE_1)
	s_xor_b32 s6, exec_lo, s6
	s_cbranch_execz .LBB9_801
; %bb.439:
	v_bfe_u32 v7, v5, 20, 1
	s_mov_b32 s5, exec_lo
	s_delay_alu instid0(VALU_DEP_1) | instskip(NEXT) | instid1(VALU_DEP_1)
	v_add3_u32 v7, v5, v7, 0x487ffff
	v_lshrrev_b32_e32 v7, 20, v7
	s_or_saveexec_b32 s6, s6
                                        ; implicit-def: $sgpr7
	s_delay_alu instid0(SALU_CYCLE_1)
	s_xor_b32 exec_lo, exec_lo, s6
	s_cbranch_execnz .LBB9_802
.LBB9_440:
	s_or_b32 exec_lo, exec_lo, s6
	v_mov_b32_e32 v8, s7
	s_and_saveexec_b32 s6, s5
.LBB9_441:
	v_lshrrev_b32_e32 v5, 24, v5
	s_delay_alu instid0(VALU_DEP_1)
	v_and_or_b32 v8, 0x80, v5, v7
.LBB9_442:
	s_or_b32 exec_lo, exec_lo, s6
.LBB9_443:
	s_delay_alu instid0(SALU_CYCLE_1)
	s_or_b32 exec_lo, exec_lo, s4
	global_store_b8 v[2:3], v8, off
.LBB9_444:
	s_mov_b32 s4, -1
.LBB9_445:
	s_mov_b32 s5, 0
.LBB9_446:
	s_delay_alu instid0(SALU_CYCLE_1)
	s_and_b32 vcc_lo, exec_lo, s5
	s_cbranch_vccz .LBB9_486
; %bb.447:
	v_cmp_lt_i16_e32 vcc_lo, 22, v6
	s_mov_b32 s3, -1
	s_cbranch_vccz .LBB9_479
; %bb.448:
	v_cmp_gt_i16_e32 vcc_lo, 24, v6
	s_cbranch_vccnz .LBB9_468
; %bb.449:
	v_cmp_lt_i16_e32 vcc_lo, 24, v6
	s_cbranch_vccz .LBB9_457
; %bb.450:
	v_cvt_f32_f64_e32 v5, v[30:31]
	v_mov_b32_e32 v8, 0x80
	s_mov_b32 s3, exec_lo
	s_delay_alu instid0(VALU_DEP_2) | instskip(NEXT) | instid1(VALU_DEP_1)
	v_and_b32_e32 v7, 0x7fffffff, v5
	v_cmpx_gt_u32_e32 0x47800000, v7
	s_cbranch_execz .LBB9_456
; %bb.451:
	v_cmp_lt_u32_e32 vcc_lo, 0x37ffffff, v7
	s_mov_b32 s4, 0
                                        ; implicit-def: $vgpr7
	s_and_saveexec_b32 s5, vcc_lo
	s_delay_alu instid0(SALU_CYCLE_1)
	s_xor_b32 s5, exec_lo, s5
	s_cbranch_execz .LBB9_934
; %bb.452:
	v_bfe_u32 v7, v5, 21, 1
	s_mov_b32 s4, exec_lo
	s_delay_alu instid0(VALU_DEP_1) | instskip(NEXT) | instid1(VALU_DEP_1)
	v_add3_u32 v7, v5, v7, 0x88fffff
	v_lshrrev_b32_e32 v7, 21, v7
	s_or_saveexec_b32 s5, s5
                                        ; implicit-def: $sgpr6
	s_delay_alu instid0(SALU_CYCLE_1)
	s_xor_b32 exec_lo, exec_lo, s5
	s_cbranch_execnz .LBB9_935
.LBB9_453:
	s_or_b32 exec_lo, exec_lo, s5
	v_mov_b32_e32 v8, s6
	s_and_saveexec_b32 s5, s4
.LBB9_454:
	v_lshrrev_b32_e32 v5, 24, v5
	s_delay_alu instid0(VALU_DEP_1)
	v_and_or_b32 v8, 0x80, v5, v7
.LBB9_455:
	s_or_b32 exec_lo, exec_lo, s5
.LBB9_456:
	s_delay_alu instid0(SALU_CYCLE_1)
	s_or_b32 exec_lo, exec_lo, s3
	s_mov_b32 s3, 0
	global_store_b8 v[2:3], v8, off
.LBB9_457:
	s_and_b32 vcc_lo, exec_lo, s3
	s_cbranch_vccz .LBB9_467
; %bb.458:
	v_cvt_f32_f64_e32 v5, v[30:31]
	s_mov_b32 s3, exec_lo
                                        ; implicit-def: $vgpr7
	s_delay_alu instid0(VALU_DEP_1) | instskip(NEXT) | instid1(VALU_DEP_1)
	v_and_b32_e32 v8, 0x7fffffff, v5
	v_cmpx_gt_u32_e32 0x43f00000, v8
	s_xor_b32 s3, exec_lo, s3
	s_cbranch_execz .LBB9_464
; %bb.459:
	s_mov_b32 s4, exec_lo
                                        ; implicit-def: $vgpr7
	v_cmpx_lt_u32_e32 0x3c7fffff, v8
	s_xor_b32 s4, exec_lo, s4
; %bb.460:
	v_bfe_u32 v7, v5, 20, 1
	s_delay_alu instid0(VALU_DEP_1) | instskip(NEXT) | instid1(VALU_DEP_1)
	v_add3_u32 v7, v5, v7, 0x407ffff
	v_and_b32_e32 v8, 0xff00000, v7
	v_lshrrev_b32_e32 v7, 20, v7
	s_delay_alu instid0(VALU_DEP_2) | instskip(NEXT) | instid1(VALU_DEP_2)
	v_cmp_ne_u32_e32 vcc_lo, 0x7f00000, v8
	v_cndmask_b32_e32 v7, 0x7e, v7, vcc_lo
; %bb.461:
	s_and_not1_saveexec_b32 s4, s4
; %bb.462:
	v_add_f32_e64 v7, 0x46800000, |v5|
; %bb.463:
	s_or_b32 exec_lo, exec_lo, s4
                                        ; implicit-def: $vgpr8
.LBB9_464:
	s_and_not1_saveexec_b32 s3, s3
; %bb.465:
	v_mov_b32_e32 v7, 0x7f
	v_cmp_lt_u32_e32 vcc_lo, 0x7f800000, v8
	s_delay_alu instid0(VALU_DEP_2)
	v_cndmask_b32_e32 v7, 0x7e, v7, vcc_lo
; %bb.466:
	s_or_b32 exec_lo, exec_lo, s3
	v_lshrrev_b32_e32 v5, 24, v5
	s_delay_alu instid0(VALU_DEP_1)
	v_and_or_b32 v5, 0x80, v5, v7
	global_store_b8 v[2:3], v5, off
.LBB9_467:
	s_mov_b32 s3, 0
.LBB9_468:
	s_delay_alu instid0(SALU_CYCLE_1)
	s_and_not1_b32 vcc_lo, exec_lo, s3
	s_cbranch_vccnz .LBB9_478
; %bb.469:
	v_cvt_f32_f64_e32 v5, v[30:31]
	s_mov_b32 s3, exec_lo
                                        ; implicit-def: $vgpr7
	s_delay_alu instid0(VALU_DEP_1) | instskip(NEXT) | instid1(VALU_DEP_1)
	v_and_b32_e32 v8, 0x7fffffff, v5
	v_cmpx_gt_u32_e32 0x47800000, v8
	s_xor_b32 s3, exec_lo, s3
	s_cbranch_execz .LBB9_475
; %bb.470:
	s_mov_b32 s4, exec_lo
                                        ; implicit-def: $vgpr7
	v_cmpx_lt_u32_e32 0x387fffff, v8
	s_xor_b32 s4, exec_lo, s4
; %bb.471:
	v_bfe_u32 v7, v5, 21, 1
	s_delay_alu instid0(VALU_DEP_1) | instskip(NEXT) | instid1(VALU_DEP_1)
	v_add3_u32 v7, v5, v7, 0x80fffff
	v_lshrrev_b32_e32 v7, 21, v7
; %bb.472:
	s_and_not1_saveexec_b32 s4, s4
; %bb.473:
	v_add_f32_e64 v7, 0x43000000, |v5|
; %bb.474:
	s_or_b32 exec_lo, exec_lo, s4
                                        ; implicit-def: $vgpr8
.LBB9_475:
	s_and_not1_saveexec_b32 s3, s3
; %bb.476:
	v_mov_b32_e32 v7, 0x7f
	v_cmp_lt_u32_e32 vcc_lo, 0x7f800000, v8
	s_delay_alu instid0(VALU_DEP_2)
	v_cndmask_b32_e32 v7, 0x7c, v7, vcc_lo
; %bb.477:
	s_or_b32 exec_lo, exec_lo, s3
	v_lshrrev_b32_e32 v5, 24, v5
	s_delay_alu instid0(VALU_DEP_1)
	v_and_or_b32 v5, 0x80, v5, v7
	global_store_b8 v[2:3], v5, off
.LBB9_478:
	s_mov_b32 s3, 0
	s_mov_b32 s4, -1
.LBB9_479:
	s_and_not1_b32 vcc_lo, exec_lo, s3
	s_mov_b32 s3, 0
	s_cbranch_vccnz .LBB9_486
; %bb.480:
	v_cmp_lt_i16_e32 vcc_lo, 14, v6
	s_mov_b32 s3, -1
	s_cbranch_vccz .LBB9_484
; %bb.481:
	v_cmp_eq_u16_e32 vcc_lo, 15, v6
	s_mov_b32 s0, -1
	s_cbranch_vccz .LBB9_483
; %bb.482:
	v_cvt_f32_f64_e32 v5, v[30:31]
	s_mov_b32 s0, 0
	s_mov_b32 s4, -1
	s_delay_alu instid0(VALU_DEP_1) | instskip(SKIP_1) | instid1(VALU_DEP_2)
	v_bfe_u32 v7, v5, 16, 1
	v_cmp_o_f32_e32 vcc_lo, v5, v5
	v_add3_u32 v7, v5, v7, 0x7fff
	s_delay_alu instid0(VALU_DEP_1) | instskip(NEXT) | instid1(VALU_DEP_1)
	v_lshrrev_b32_e32 v7, 16, v7
	v_cndmask_b32_e32 v5, 0x7fc0, v7, vcc_lo
	global_store_b16 v[2:3], v5, off
.LBB9_483:
	s_mov_b32 s3, 0
.LBB9_484:
	s_delay_alu instid0(SALU_CYCLE_1)
	s_and_b32 vcc_lo, exec_lo, s3
	s_mov_b32 s3, 0
	s_cbranch_vccz .LBB9_486
; %bb.485:
	v_cmp_ne_u16_e64 s0, 11, v6
	s_mov_b32 s3, -1
.LBB9_486:
	s_delay_alu instid0(VALU_DEP_1)
	s_and_b32 vcc_lo, exec_lo, s0
	s_cbranch_vccnz .LBB9_805
; %bb.487:
	s_and_not1_b32 vcc_lo, exec_lo, s3
	s_cbranch_vccnz .LBB9_489
.LBB9_488:
	v_cmp_neq_f64_e32 vcc_lo, 0, v[30:31]
	s_mov_b32 s4, -1
	v_cndmask_b32_e64 v5, 0, 1, vcc_lo
	global_store_b8 v[2:3], v5, off
.LBB9_489:
.LBB9_490:
	s_and_not1_b32 vcc_lo, exec_lo, s4
	s_cbranch_vccnz .LBB9_609
.LBB9_491:
	v_add_nc_u32_e32 v2, s2, v4
	v_cmp_gt_i16_e32 vcc_lo, 11, v6
	s_delay_alu instid0(VALU_DEP_2) | instskip(SKIP_1) | instid1(VALU_DEP_1)
	v_ashrrev_i32_e32 v3, 31, v2
	v_add_co_u32 v4, s0, s16, v2
	v_add_co_ci_u32_e64 v5, s0, s17, v3, s0
	s_cbranch_vccnz .LBB9_655
; %bb.492:
	v_cmp_lt_i16_e32 vcc_lo, 25, v6
	s_mov_b32 s3, -1
	s_mov_b32 s2, 0
	s_mov_b32 s0, 0
	s_cbranch_vccz .LBB9_525
; %bb.493:
	v_cmp_lt_i16_e32 vcc_lo, 28, v6
	s_cbranch_vccz .LBB9_509
; %bb.494:
	v_cmp_lt_i16_e32 vcc_lo, 43, v6
	;; [unrolled: 3-line block ×3, first 2 shown]
	s_cbranch_vccz .LBB9_499
; %bb.496:
	v_cmp_eq_u16_e32 vcc_lo, 46, v6
	s_mov_b32 s0, -1
	s_cbranch_vccz .LBB9_498
; %bb.497:
	v_cvt_f32_f64_e32 v2, v[0:1]
	s_mov_b32 s0, 0
	s_delay_alu instid0(VALU_DEP_1) | instskip(SKIP_1) | instid1(VALU_DEP_2)
	v_bfe_u32 v3, v2, 16, 1
	v_cmp_o_f32_e32 vcc_lo, v2, v2
	v_add3_u32 v3, v2, v3, 0x7fff
	s_delay_alu instid0(VALU_DEP_1) | instskip(NEXT) | instid1(VALU_DEP_1)
	v_lshrrev_b32_e32 v3, 16, v3
	v_cndmask_b32_e32 v2, 0x7fc0, v3, vcc_lo
	global_store_b32 v[4:5], v2, off
.LBB9_498:
	s_mov_b32 s3, 0
.LBB9_499:
	s_delay_alu instid0(SALU_CYCLE_1)
	s_and_b32 vcc_lo, exec_lo, s3
	s_cbranch_vccz .LBB9_504
; %bb.500:
	v_cmp_eq_u16_e32 vcc_lo, 44, v6
	s_mov_b32 s0, -1
	s_cbranch_vccz .LBB9_504
; %bb.501:
	v_cvt_f32_f64_e32 v2, v[0:1]
	v_mov_b32_e32 v3, 0xff
	s_mov_b32 s3, exec_lo
	s_delay_alu instid0(VALU_DEP_2) | instskip(NEXT) | instid1(VALU_DEP_1)
	v_bfe_u32 v7, v2, 23, 8
	v_cmpx_ne_u32_e32 0xff, v7
; %bb.502:
	v_and_b32_e32 v3, 0x400000, v2
	v_and_or_b32 v7, 0x3fffff, v2, v7
	v_lshrrev_b32_e32 v2, 23, v2
	s_delay_alu instid0(VALU_DEP_3) | instskip(NEXT) | instid1(VALU_DEP_3)
	v_cmp_ne_u32_e32 vcc_lo, 0, v3
	v_cmp_ne_u32_e64 s0, 0, v7
	s_delay_alu instid0(VALU_DEP_1) | instskip(NEXT) | instid1(SALU_CYCLE_1)
	s_and_b32 s0, vcc_lo, s0
	v_cndmask_b32_e64 v3, 0, 1, s0
	s_delay_alu instid0(VALU_DEP_1)
	v_add_nc_u32_e32 v3, v2, v3
; %bb.503:
	s_or_b32 exec_lo, exec_lo, s3
	s_mov_b32 s0, 0
	global_store_b8 v[4:5], v3, off
.LBB9_504:
	s_mov_b32 s3, 0
.LBB9_505:
	s_delay_alu instid0(SALU_CYCLE_1)
	s_and_b32 vcc_lo, exec_lo, s3
	s_cbranch_vccz .LBB9_508
; %bb.506:
	v_cmp_eq_u16_e32 vcc_lo, 29, v6
	s_mov_b32 s0, -1
	s_cbranch_vccz .LBB9_508
; %bb.507:
	v_trunc_f64_e32 v[2:3], v[0:1]
	s_mov_b32 s0, 0
	s_delay_alu instid0(VALU_DEP_1) | instskip(NEXT) | instid1(VALU_DEP_1)
	v_ldexp_f64 v[7:8], v[2:3], 0xffffffe0
	v_floor_f64_e32 v[7:8], v[7:8]
	s_delay_alu instid0(VALU_DEP_1) | instskip(SKIP_1) | instid1(VALU_DEP_2)
	v_fma_f64 v[2:3], 0xc1f00000, v[7:8], v[2:3]
	v_cvt_u32_f64_e32 v8, v[7:8]
	v_cvt_u32_f64_e32 v7, v[2:3]
	global_store_b64 v[4:5], v[7:8], off
.LBB9_508:
	s_mov_b32 s3, 0
.LBB9_509:
	s_delay_alu instid0(SALU_CYCLE_1)
	s_and_b32 vcc_lo, exec_lo, s3
	s_cbranch_vccz .LBB9_524
; %bb.510:
	v_cmp_gt_i16_e32 vcc_lo, 27, v6
	s_mov_b32 s3, -1
	s_cbranch_vccnz .LBB9_516
; %bb.511:
	v_cvt_u32_f64_e32 v2, v[0:1]
	v_cmp_lt_i16_e32 vcc_lo, 27, v6
	s_cbranch_vccz .LBB9_513
; %bb.512:
	s_mov_b32 s3, 0
	global_store_b32 v[4:5], v2, off
.LBB9_513:
	s_and_not1_b32 vcc_lo, exec_lo, s3
	s_cbranch_vccnz .LBB9_515
; %bb.514:
	global_store_b16 v[4:5], v2, off
.LBB9_515:
	s_mov_b32 s3, 0
.LBB9_516:
	s_delay_alu instid0(SALU_CYCLE_1)
	s_and_not1_b32 vcc_lo, exec_lo, s3
	s_cbranch_vccnz .LBB9_524
; %bb.517:
	v_cvt_f32_f64_e32 v2, v[0:1]
	v_mov_b32_e32 v7, 0x80
	s_mov_b32 s3, exec_lo
	s_delay_alu instid0(VALU_DEP_2) | instskip(NEXT) | instid1(VALU_DEP_1)
	v_and_b32_e32 v3, 0x7fffffff, v2
	v_cmpx_gt_u32_e32 0x43800000, v3
	s_cbranch_execz .LBB9_523
; %bb.518:
	v_cmp_lt_u32_e32 vcc_lo, 0x3bffffff, v3
	s_mov_b32 s4, 0
                                        ; implicit-def: $vgpr3
	s_and_saveexec_b32 s5, vcc_lo
	s_delay_alu instid0(SALU_CYCLE_1)
	s_xor_b32 s5, exec_lo, s5
	s_cbranch_execz .LBB9_936
; %bb.519:
	v_bfe_u32 v3, v2, 20, 1
	s_mov_b32 s4, exec_lo
	s_delay_alu instid0(VALU_DEP_1) | instskip(NEXT) | instid1(VALU_DEP_1)
	v_add3_u32 v3, v2, v3, 0x487ffff
	v_lshrrev_b32_e32 v3, 20, v3
	s_or_saveexec_b32 s5, s5
                                        ; implicit-def: $sgpr6
	s_delay_alu instid0(SALU_CYCLE_1)
	s_xor_b32 exec_lo, exec_lo, s5
	s_cbranch_execnz .LBB9_937
.LBB9_520:
	s_or_b32 exec_lo, exec_lo, s5
	v_mov_b32_e32 v7, s6
	s_and_saveexec_b32 s5, s4
.LBB9_521:
	v_lshrrev_b32_e32 v2, 24, v2
	s_delay_alu instid0(VALU_DEP_1)
	v_and_or_b32 v7, 0x80, v2, v3
.LBB9_522:
	s_or_b32 exec_lo, exec_lo, s5
.LBB9_523:
	s_delay_alu instid0(SALU_CYCLE_1)
	s_or_b32 exec_lo, exec_lo, s3
	global_store_b8 v[4:5], v7, off
.LBB9_524:
	s_mov_b32 s3, 0
.LBB9_525:
	s_delay_alu instid0(SALU_CYCLE_1)
	s_and_b32 vcc_lo, exec_lo, s3
	s_cbranch_vccz .LBB9_565
; %bb.526:
	v_cmp_lt_i16_e32 vcc_lo, 22, v6
	s_mov_b32 s2, -1
	s_cbranch_vccz .LBB9_558
; %bb.527:
	v_cmp_gt_i16_e32 vcc_lo, 24, v6
	s_cbranch_vccnz .LBB9_547
; %bb.528:
	v_cmp_lt_i16_e32 vcc_lo, 24, v6
	s_cbranch_vccz .LBB9_536
; %bb.529:
	v_cvt_f32_f64_e32 v2, v[0:1]
	v_mov_b32_e32 v7, 0x80
	s_mov_b32 s2, exec_lo
	s_delay_alu instid0(VALU_DEP_2) | instskip(NEXT) | instid1(VALU_DEP_1)
	v_and_b32_e32 v3, 0x7fffffff, v2
	v_cmpx_gt_u32_e32 0x47800000, v3
	s_cbranch_execz .LBB9_535
; %bb.530:
	v_cmp_lt_u32_e32 vcc_lo, 0x37ffffff, v3
	s_mov_b32 s3, 0
                                        ; implicit-def: $vgpr3
	s_and_saveexec_b32 s4, vcc_lo
	s_delay_alu instid0(SALU_CYCLE_1)
	s_xor_b32 s4, exec_lo, s4
	s_cbranch_execz .LBB9_944
; %bb.531:
	v_bfe_u32 v3, v2, 21, 1
	s_mov_b32 s3, exec_lo
	s_delay_alu instid0(VALU_DEP_1) | instskip(NEXT) | instid1(VALU_DEP_1)
	v_add3_u32 v3, v2, v3, 0x88fffff
	v_lshrrev_b32_e32 v3, 21, v3
	s_or_saveexec_b32 s4, s4
                                        ; implicit-def: $sgpr5
	s_delay_alu instid0(SALU_CYCLE_1)
	s_xor_b32 exec_lo, exec_lo, s4
	s_cbranch_execnz .LBB9_945
.LBB9_532:
	s_or_b32 exec_lo, exec_lo, s4
	v_mov_b32_e32 v7, s5
	s_and_saveexec_b32 s4, s3
.LBB9_533:
	v_lshrrev_b32_e32 v2, 24, v2
	s_delay_alu instid0(VALU_DEP_1)
	v_and_or_b32 v7, 0x80, v2, v3
.LBB9_534:
	s_or_b32 exec_lo, exec_lo, s4
.LBB9_535:
	s_delay_alu instid0(SALU_CYCLE_1)
	s_or_b32 exec_lo, exec_lo, s2
	s_mov_b32 s2, 0
	global_store_b8 v[4:5], v7, off
.LBB9_536:
	s_and_b32 vcc_lo, exec_lo, s2
	s_cbranch_vccz .LBB9_546
; %bb.537:
	v_cvt_f32_f64_e32 v2, v[0:1]
	s_mov_b32 s2, exec_lo
                                        ; implicit-def: $vgpr3
	s_delay_alu instid0(VALU_DEP_1) | instskip(NEXT) | instid1(VALU_DEP_1)
	v_and_b32_e32 v7, 0x7fffffff, v2
	v_cmpx_gt_u32_e32 0x43f00000, v7
	s_xor_b32 s2, exec_lo, s2
	s_cbranch_execz .LBB9_543
; %bb.538:
	s_mov_b32 s3, exec_lo
                                        ; implicit-def: $vgpr3
	v_cmpx_lt_u32_e32 0x3c7fffff, v7
	s_xor_b32 s3, exec_lo, s3
; %bb.539:
	v_bfe_u32 v3, v2, 20, 1
	s_delay_alu instid0(VALU_DEP_1) | instskip(NEXT) | instid1(VALU_DEP_1)
	v_add3_u32 v3, v2, v3, 0x407ffff
	v_and_b32_e32 v7, 0xff00000, v3
	v_lshrrev_b32_e32 v3, 20, v3
	s_delay_alu instid0(VALU_DEP_2) | instskip(NEXT) | instid1(VALU_DEP_2)
	v_cmp_ne_u32_e32 vcc_lo, 0x7f00000, v7
	v_cndmask_b32_e32 v3, 0x7e, v3, vcc_lo
; %bb.540:
	s_and_not1_saveexec_b32 s3, s3
; %bb.541:
	v_add_f32_e64 v3, 0x46800000, |v2|
; %bb.542:
	s_or_b32 exec_lo, exec_lo, s3
                                        ; implicit-def: $vgpr7
.LBB9_543:
	s_and_not1_saveexec_b32 s2, s2
; %bb.544:
	v_mov_b32_e32 v3, 0x7f
	v_cmp_lt_u32_e32 vcc_lo, 0x7f800000, v7
	s_delay_alu instid0(VALU_DEP_2)
	v_cndmask_b32_e32 v3, 0x7e, v3, vcc_lo
; %bb.545:
	s_or_b32 exec_lo, exec_lo, s2
	v_lshrrev_b32_e32 v2, 24, v2
	s_delay_alu instid0(VALU_DEP_1)
	v_and_or_b32 v2, 0x80, v2, v3
	global_store_b8 v[4:5], v2, off
.LBB9_546:
	s_mov_b32 s2, 0
.LBB9_547:
	s_delay_alu instid0(SALU_CYCLE_1)
	s_and_not1_b32 vcc_lo, exec_lo, s2
	s_cbranch_vccnz .LBB9_557
; %bb.548:
	v_cvt_f32_f64_e32 v2, v[0:1]
	s_mov_b32 s2, exec_lo
                                        ; implicit-def: $vgpr3
	s_delay_alu instid0(VALU_DEP_1) | instskip(NEXT) | instid1(VALU_DEP_1)
	v_and_b32_e32 v7, 0x7fffffff, v2
	v_cmpx_gt_u32_e32 0x47800000, v7
	s_xor_b32 s2, exec_lo, s2
	s_cbranch_execz .LBB9_554
; %bb.549:
	s_mov_b32 s3, exec_lo
                                        ; implicit-def: $vgpr3
	v_cmpx_lt_u32_e32 0x387fffff, v7
	s_xor_b32 s3, exec_lo, s3
; %bb.550:
	v_bfe_u32 v3, v2, 21, 1
	s_delay_alu instid0(VALU_DEP_1) | instskip(NEXT) | instid1(VALU_DEP_1)
	v_add3_u32 v3, v2, v3, 0x80fffff
	v_lshrrev_b32_e32 v3, 21, v3
; %bb.551:
	s_and_not1_saveexec_b32 s3, s3
; %bb.552:
	v_add_f32_e64 v3, 0x43000000, |v2|
; %bb.553:
	s_or_b32 exec_lo, exec_lo, s3
                                        ; implicit-def: $vgpr7
.LBB9_554:
	s_and_not1_saveexec_b32 s2, s2
; %bb.555:
	v_mov_b32_e32 v3, 0x7f
	v_cmp_lt_u32_e32 vcc_lo, 0x7f800000, v7
	s_delay_alu instid0(VALU_DEP_2)
	v_cndmask_b32_e32 v3, 0x7c, v3, vcc_lo
; %bb.556:
	s_or_b32 exec_lo, exec_lo, s2
	v_lshrrev_b32_e32 v2, 24, v2
	s_delay_alu instid0(VALU_DEP_1)
	v_and_or_b32 v2, 0x80, v2, v3
	global_store_b8 v[4:5], v2, off
.LBB9_557:
	s_mov_b32 s2, 0
.LBB9_558:
	s_delay_alu instid0(SALU_CYCLE_1)
	s_and_not1_b32 vcc_lo, exec_lo, s2
	s_mov_b32 s2, 0
	s_cbranch_vccnz .LBB9_565
; %bb.559:
	v_cmp_lt_i16_e32 vcc_lo, 14, v6
	s_mov_b32 s2, -1
	s_cbranch_vccz .LBB9_563
; %bb.560:
	v_cmp_eq_u16_e32 vcc_lo, 15, v6
	s_mov_b32 s0, -1
	s_cbranch_vccz .LBB9_562
; %bb.561:
	v_cvt_f32_f64_e32 v2, v[0:1]
	s_mov_b32 s0, 0
	s_delay_alu instid0(VALU_DEP_1) | instskip(SKIP_1) | instid1(VALU_DEP_2)
	v_bfe_u32 v3, v2, 16, 1
	v_cmp_o_f32_e32 vcc_lo, v2, v2
	v_add3_u32 v3, v2, v3, 0x7fff
	s_delay_alu instid0(VALU_DEP_1) | instskip(NEXT) | instid1(VALU_DEP_1)
	v_lshrrev_b32_e32 v3, 16, v3
	v_cndmask_b32_e32 v2, 0x7fc0, v3, vcc_lo
	global_store_b16 v[4:5], v2, off
.LBB9_562:
	s_mov_b32 s2, 0
.LBB9_563:
	s_delay_alu instid0(SALU_CYCLE_1)
	s_and_b32 vcc_lo, exec_lo, s2
	s_mov_b32 s2, 0
	s_cbranch_vccz .LBB9_565
; %bb.564:
	v_cmp_ne_u16_e64 s0, 11, v6
	s_mov_b32 s2, -1
.LBB9_565:
	s_delay_alu instid0(VALU_DEP_1)
	s_and_b32 vcc_lo, exec_lo, s0
	s_cbranch_vccnz .LBB9_940
.LBB9_566:
	s_mov_b32 s0, 0
	s_branch .LBB9_610
.LBB9_567:
	s_mov_b32 s1, 0
	s_mov_b32 s0, s20
	s_cbranch_execnz .LBB9_744
.LBB9_568:
	s_and_not1_b32 vcc_lo, exec_lo, s1
	s_cbranch_vccnz .LBB9_782
.LBB9_569:
	v_add_nc_u32_e32 v36, 0x80, v36
	s_mov_b32 s1, -1
	s_branch .LBB9_783
.LBB9_570:
	s_mov_b32 s4, 0
	s_cbranch_execz .LBB9_490
; %bb.571:
	v_cmp_gt_i16_e32 vcc_lo, 5, v6
	s_mov_b32 s0, -1
	s_cbranch_vccnz .LBB9_592
; %bb.572:
	v_cmp_gt_i16_e32 vcc_lo, 8, v6
	s_cbranch_vccnz .LBB9_582
; %bb.573:
	v_cmp_gt_i16_e32 vcc_lo, 9, v6
	s_cbranch_vccnz .LBB9_579
; %bb.574:
	v_cmp_lt_i16_e32 vcc_lo, 9, v6
	s_cbranch_vccz .LBB9_576
; %bb.575:
	v_mov_b32_e32 v32, 0
	s_mov_b32 s0, 0
	s_delay_alu instid0(VALU_DEP_1)
	v_mov_b32_e32 v33, v32
	global_store_b128 v[2:3], v[30:33], off
.LBB9_576:
	s_and_not1_b32 vcc_lo, exec_lo, s0
	s_cbranch_vccnz .LBB9_578
; %bb.577:
	v_cvt_f32_f64_e32 v7, v[30:31]
	v_mov_b32_e32 v8, 0
	global_store_b64 v[2:3], v[7:8], off
.LBB9_578:
	s_mov_b32 s0, 0
.LBB9_579:
	s_delay_alu instid0(SALU_CYCLE_1)
	s_and_not1_b32 vcc_lo, exec_lo, s0
	s_cbranch_vccnz .LBB9_581
; %bb.580:
	v_cvt_f32_f64_e32 v5, v[30:31]
	s_delay_alu instid0(VALU_DEP_1) | instskip(NEXT) | instid1(VALU_DEP_1)
	v_cvt_f16_f32_e32 v5, v5
	v_and_b32_e32 v5, 0xffff, v5
	global_store_b32 v[2:3], v5, off
.LBB9_581:
	s_mov_b32 s0, 0
.LBB9_582:
	s_delay_alu instid0(SALU_CYCLE_1)
	s_and_not1_b32 vcc_lo, exec_lo, s0
	s_cbranch_vccnz .LBB9_591
; %bb.583:
	v_cmp_gt_i16_e32 vcc_lo, 6, v6
	s_mov_b32 s0, -1
	s_cbranch_vccnz .LBB9_589
; %bb.584:
	v_cmp_lt_i16_e32 vcc_lo, 6, v6
	s_cbranch_vccz .LBB9_586
; %bb.585:
	s_mov_b32 s0, 0
	global_store_b64 v[2:3], v[30:31], off
.LBB9_586:
	s_and_not1_b32 vcc_lo, exec_lo, s0
	s_cbranch_vccnz .LBB9_588
; %bb.587:
	v_cvt_f32_f64_e32 v5, v[30:31]
	global_store_b32 v[2:3], v5, off
.LBB9_588:
	s_mov_b32 s0, 0
.LBB9_589:
	s_delay_alu instid0(SALU_CYCLE_1)
	s_and_not1_b32 vcc_lo, exec_lo, s0
	s_cbranch_vccnz .LBB9_591
; %bb.590:
	v_cvt_f32_f64_e32 v5, v[30:31]
	s_delay_alu instid0(VALU_DEP_1)
	v_cvt_f16_f32_e32 v5, v5
	global_store_b16 v[2:3], v5, off
.LBB9_591:
	s_mov_b32 s0, 0
.LBB9_592:
	s_delay_alu instid0(SALU_CYCLE_1)
	s_and_not1_b32 vcc_lo, exec_lo, s0
	s_cbranch_vccnz .LBB9_608
; %bb.593:
	v_cmp_gt_i16_e32 vcc_lo, 2, v6
	s_mov_b32 s0, -1
	s_cbranch_vccnz .LBB9_603
; %bb.594:
	v_cmp_gt_i16_e32 vcc_lo, 3, v6
	s_cbranch_vccnz .LBB9_600
; %bb.595:
	v_cmp_lt_i16_e32 vcc_lo, 3, v6
	s_cbranch_vccz .LBB9_597
; %bb.596:
	v_trunc_f64_e32 v[7:8], v[30:31]
	s_mov_b32 s0, 0
	s_delay_alu instid0(VALU_DEP_1) | instskip(NEXT) | instid1(VALU_DEP_1)
	v_ldexp_f64 v[9:10], v[7:8], 0xffffffe0
	v_floor_f64_e32 v[9:10], v[9:10]
	s_delay_alu instid0(VALU_DEP_1) | instskip(SKIP_1) | instid1(VALU_DEP_2)
	v_fma_f64 v[7:8], 0xc1f00000, v[9:10], v[7:8]
	v_cvt_i32_f64_e32 v9, v[9:10]
	v_cvt_u32_f64_e32 v8, v[7:8]
	global_store_b64 v[2:3], v[8:9], off
.LBB9_597:
	s_and_not1_b32 vcc_lo, exec_lo, s0
	s_cbranch_vccnz .LBB9_599
; %bb.598:
	v_cvt_i32_f64_e32 v5, v[30:31]
	global_store_b32 v[2:3], v5, off
.LBB9_599:
	s_mov_b32 s0, 0
.LBB9_600:
	s_delay_alu instid0(SALU_CYCLE_1)
	s_and_not1_b32 vcc_lo, exec_lo, s0
	s_cbranch_vccnz .LBB9_602
; %bb.601:
	v_cvt_i32_f64_e32 v5, v[30:31]
	global_store_b16 v[2:3], v5, off
.LBB9_602:
	s_mov_b32 s0, 0
.LBB9_603:
	s_delay_alu instid0(SALU_CYCLE_1)
	s_and_not1_b32 vcc_lo, exec_lo, s0
	s_cbranch_vccnz .LBB9_608
; %bb.604:
	v_cmp_lt_i16_e32 vcc_lo, 0, v6
	s_mov_b32 s0, -1
	s_cbranch_vccz .LBB9_606
; %bb.605:
	v_cvt_i32_f64_e32 v5, v[30:31]
	s_mov_b32 s0, 0
	global_store_b8 v[2:3], v5, off
.LBB9_606:
	s_and_not1_b32 vcc_lo, exec_lo, s0
	s_cbranch_vccnz .LBB9_608
; %bb.607:
	v_trunc_f64_e32 v[7:8], v[30:31]
	s_delay_alu instid0(VALU_DEP_1) | instskip(NEXT) | instid1(VALU_DEP_1)
	v_ldexp_f64 v[9:10], v[7:8], 0xffffffe0
	v_floor_f64_e32 v[9:10], v[9:10]
	s_delay_alu instid0(VALU_DEP_1) | instskip(NEXT) | instid1(VALU_DEP_1)
	v_fma_f64 v[7:8], 0xc1f00000, v[9:10], v[7:8]
	v_cvt_u32_f64_e32 v5, v[7:8]
	global_store_b8 v[2:3], v5, off
.LBB9_608:
	s_branch .LBB9_491
.LBB9_609:
	s_mov_b32 s0, 0
	s_mov_b32 s2, 0
                                        ; implicit-def: $vgpr6
                                        ; implicit-def: $vgpr4_vgpr5
.LBB9_610:
	s_and_not1_b32 s3, s20, exec_lo
	s_and_b32 s1, s1, exec_lo
	s_and_b32 s0, s0, exec_lo
	;; [unrolled: 1-line block ×3, first 2 shown]
	s_or_b32 s20, s3, s1
.LBB9_611:
	s_or_b32 exec_lo, exec_lo, s15
	s_and_saveexec_b32 s1, s20
	s_cbranch_execz .LBB9_614
; %bb.612:
	; divergent unreachable
	s_or_b32 exec_lo, exec_lo, s1
	s_and_saveexec_b32 s1, s14
	s_delay_alu instid0(SALU_CYCLE_1)
	s_xor_b32 s1, exec_lo, s1
	s_cbranch_execnz .LBB9_615
.LBB9_613:
	s_or_b32 exec_lo, exec_lo, s1
	s_and_saveexec_b32 s1, s0
	s_cbranch_execnz .LBB9_616
	s_branch .LBB9_653
.LBB9_614:
	s_or_b32 exec_lo, exec_lo, s1
	s_and_saveexec_b32 s1, s14
	s_delay_alu instid0(SALU_CYCLE_1)
	s_xor_b32 s1, exec_lo, s1
	s_cbranch_execz .LBB9_613
.LBB9_615:
	v_cmp_neq_f64_e32 vcc_lo, 0, v[0:1]
	v_cndmask_b32_e64 v2, 0, 1, vcc_lo
	global_store_b8 v[4:5], v2, off
	s_or_b32 exec_lo, exec_lo, s1
	s_and_saveexec_b32 s1, s0
	s_cbranch_execz .LBB9_653
.LBB9_616:
	v_cmp_gt_i16_e32 vcc_lo, 5, v6
	s_mov_b32 s0, -1
	s_cbranch_vccnz .LBB9_637
; %bb.617:
	v_cmp_gt_i16_e32 vcc_lo, 8, v6
	s_cbranch_vccnz .LBB9_627
; %bb.618:
	v_cmp_gt_i16_e32 vcc_lo, 9, v6
	s_cbranch_vccnz .LBB9_624
; %bb.619:
	v_cmp_lt_i16_e32 vcc_lo, 9, v6
	s_cbranch_vccz .LBB9_621
; %bb.620:
	v_mov_b32_e32 v2, 0
	s_mov_b32 s0, 0
	s_delay_alu instid0(VALU_DEP_1)
	v_mov_b32_e32 v3, v2
	global_store_b128 v[4:5], v[0:3], off
.LBB9_621:
	s_and_not1_b32 vcc_lo, exec_lo, s0
	s_cbranch_vccnz .LBB9_623
; %bb.622:
	v_cvt_f32_f64_e32 v2, v[0:1]
	v_mov_b32_e32 v3, 0
	global_store_b64 v[4:5], v[2:3], off
.LBB9_623:
	s_mov_b32 s0, 0
.LBB9_624:
	s_delay_alu instid0(SALU_CYCLE_1)
	s_and_not1_b32 vcc_lo, exec_lo, s0
	s_cbranch_vccnz .LBB9_626
; %bb.625:
	v_cvt_f32_f64_e32 v2, v[0:1]
	s_delay_alu instid0(VALU_DEP_1) | instskip(NEXT) | instid1(VALU_DEP_1)
	v_cvt_f16_f32_e32 v2, v2
	v_and_b32_e32 v2, 0xffff, v2
	global_store_b32 v[4:5], v2, off
.LBB9_626:
	s_mov_b32 s0, 0
.LBB9_627:
	s_delay_alu instid0(SALU_CYCLE_1)
	s_and_not1_b32 vcc_lo, exec_lo, s0
	s_cbranch_vccnz .LBB9_636
; %bb.628:
	v_cmp_gt_i16_e32 vcc_lo, 6, v6
	s_mov_b32 s0, -1
	s_cbranch_vccnz .LBB9_634
; %bb.629:
	v_cmp_lt_i16_e32 vcc_lo, 6, v6
	s_cbranch_vccz .LBB9_631
; %bb.630:
	s_mov_b32 s0, 0
	global_store_b64 v[4:5], v[0:1], off
.LBB9_631:
	s_and_not1_b32 vcc_lo, exec_lo, s0
	s_cbranch_vccnz .LBB9_633
; %bb.632:
	v_cvt_f32_f64_e32 v2, v[0:1]
	global_store_b32 v[4:5], v2, off
.LBB9_633:
	s_mov_b32 s0, 0
.LBB9_634:
	s_delay_alu instid0(SALU_CYCLE_1)
	s_and_not1_b32 vcc_lo, exec_lo, s0
	s_cbranch_vccnz .LBB9_636
; %bb.635:
	v_cvt_f32_f64_e32 v2, v[0:1]
	s_delay_alu instid0(VALU_DEP_1)
	v_cvt_f16_f32_e32 v2, v2
	global_store_b16 v[4:5], v2, off
.LBB9_636:
	s_mov_b32 s0, 0
.LBB9_637:
	s_delay_alu instid0(SALU_CYCLE_1)
	s_and_not1_b32 vcc_lo, exec_lo, s0
	s_cbranch_vccnz .LBB9_653
; %bb.638:
	v_cmp_gt_i16_e32 vcc_lo, 2, v6
	s_mov_b32 s0, -1
	s_cbranch_vccnz .LBB9_648
; %bb.639:
	v_cmp_gt_i16_e32 vcc_lo, 3, v6
	s_cbranch_vccnz .LBB9_645
; %bb.640:
	v_cmp_lt_i16_e32 vcc_lo, 3, v6
	s_cbranch_vccz .LBB9_642
; %bb.641:
	v_trunc_f64_e32 v[2:3], v[0:1]
	s_mov_b32 s0, 0
	s_delay_alu instid0(VALU_DEP_1) | instskip(NEXT) | instid1(VALU_DEP_1)
	v_ldexp_f64 v[7:8], v[2:3], 0xffffffe0
	v_floor_f64_e32 v[7:8], v[7:8]
	s_delay_alu instid0(VALU_DEP_1) | instskip(SKIP_1) | instid1(VALU_DEP_2)
	v_fma_f64 v[2:3], 0xc1f00000, v[7:8], v[2:3]
	v_cvt_i32_f64_e32 v8, v[7:8]
	v_cvt_u32_f64_e32 v7, v[2:3]
	global_store_b64 v[4:5], v[7:8], off
.LBB9_642:
	s_and_not1_b32 vcc_lo, exec_lo, s0
	s_cbranch_vccnz .LBB9_644
; %bb.643:
	v_cvt_i32_f64_e32 v2, v[0:1]
	global_store_b32 v[4:5], v2, off
.LBB9_644:
	s_mov_b32 s0, 0
.LBB9_645:
	s_delay_alu instid0(SALU_CYCLE_1)
	s_and_not1_b32 vcc_lo, exec_lo, s0
	s_cbranch_vccnz .LBB9_647
; %bb.646:
	v_cvt_i32_f64_e32 v2, v[0:1]
	global_store_b16 v[4:5], v2, off
.LBB9_647:
	s_mov_b32 s0, 0
.LBB9_648:
	s_delay_alu instid0(SALU_CYCLE_1)
	s_and_not1_b32 vcc_lo, exec_lo, s0
	s_cbranch_vccnz .LBB9_653
; %bb.649:
	v_cmp_lt_i16_e32 vcc_lo, 0, v6
	s_mov_b32 s0, -1
	s_cbranch_vccz .LBB9_651
; %bb.650:
	v_cvt_i32_f64_e32 v2, v[0:1]
	s_mov_b32 s0, 0
	global_store_b8 v[4:5], v2, off
.LBB9_651:
	s_and_not1_b32 vcc_lo, exec_lo, s0
	s_cbranch_vccnz .LBB9_653
; %bb.652:
	v_trunc_f64_e32 v[0:1], v[0:1]
	s_delay_alu instid0(VALU_DEP_1) | instskip(NEXT) | instid1(VALU_DEP_1)
	v_ldexp_f64 v[2:3], v[0:1], 0xffffffe0
	v_floor_f64_e32 v[2:3], v[2:3]
	s_delay_alu instid0(VALU_DEP_1) | instskip(NEXT) | instid1(VALU_DEP_1)
	v_fma_f64 v[0:1], 0xc1f00000, v[2:3], v[0:1]
	v_cvt_u32_f64_e32 v0, v[0:1]
	global_store_b8 v[4:5], v0, off
	s_endpgm
.LBB9_653:
	s_endpgm
.LBB9_654:
	s_mov_b32 s2, -1
	s_mov_b32 s1, 0
	s_mov_b32 s0, s20
	s_branch .LBB9_702
.LBB9_655:
	s_mov_b32 s2, 0
	s_mov_b32 s0, -1
	s_branch .LBB9_610
.LBB9_656:
	s_mov_b32 s2, -1
	s_mov_b32 s1, 0
	s_mov_b32 s0, s20
	s_branch .LBB9_685
.LBB9_657:
	s_or_saveexec_b32 s4, s4
                                        ; implicit-def: $sgpr5
	s_delay_alu instid0(SALU_CYCLE_1)
	s_xor_b32 exec_lo, exec_lo, s4
	s_cbranch_execz .LBB9_204
.LBB9_658:
	v_add_f32_e64 v7, 0x46000000, |v5|
	s_and_not1_b32 s3, s3, exec_lo
	s_mov_b32 s5, 0
	s_delay_alu instid0(VALU_DEP_1) | instskip(NEXT) | instid1(VALU_DEP_1)
	v_and_b32_e32 v7, 0xff, v7
	v_cmp_ne_u32_e32 vcc_lo, 0, v7
	s_and_b32 s6, vcc_lo, exec_lo
	s_delay_alu instid0(SALU_CYCLE_1)
	s_or_b32 s3, s3, s6
	s_or_b32 exec_lo, exec_lo, s4
	v_mov_b32_e32 v8, s5
	s_and_saveexec_b32 s4, s3
	s_cbranch_execnz .LBB9_205
	s_branch .LBB9_206
.LBB9_659:
	s_cbranch_execnz .LBB9_668
; %bb.660:
	s_or_b32 s1, s20, exec_lo
	s_cbranch_execz .LBB9_252
	s_branch .LBB9_253
.LBB9_661:
	s_or_saveexec_b32 s3, s3
                                        ; implicit-def: $sgpr4
	s_delay_alu instid0(SALU_CYCLE_1)
	s_xor_b32 exec_lo, exec_lo, s3
	s_cbranch_execz .LBB9_37
.LBB9_662:
	v_add_f32_e64 v3, 0x46000000, |v2|
	s_and_not1_b32 s2, s2, exec_lo
	s_mov_b32 s4, 0
	s_delay_alu instid0(VALU_DEP_1) | instskip(NEXT) | instid1(VALU_DEP_1)
	v_and_b32_e32 v3, 0xff, v3
	v_cmp_ne_u32_e32 vcc_lo, 0, v3
	s_and_b32 s5, vcc_lo, exec_lo
	s_delay_alu instid0(SALU_CYCLE_1)
	s_or_b32 s2, s2, s5
	s_or_b32 exec_lo, exec_lo, s3
	v_mov_b32_e32 v7, s4
	s_and_saveexec_b32 s3, s2
	s_cbranch_execnz .LBB9_38
	s_branch .LBB9_39
.LBB9_663:
	s_mov_b32 s2, -1
	s_mov_b32 s1, 0
	s_mov_b32 s0, s20
	s_branch .LBB9_681
.LBB9_664:
	s_or_saveexec_b32 s3, s3
                                        ; implicit-def: $sgpr4
	s_delay_alu instid0(SALU_CYCLE_1)
	s_xor_b32 exec_lo, exec_lo, s3
	s_cbranch_execz .LBB9_217
.LBB9_665:
	v_add_f32_e64 v7, 0x42800000, |v5|
	s_and_not1_b32 s2, s2, exec_lo
	s_mov_b32 s4, 0
	s_delay_alu instid0(VALU_DEP_1) | instskip(NEXT) | instid1(VALU_DEP_1)
	v_and_b32_e32 v7, 0xff, v7
	v_cmp_ne_u32_e32 vcc_lo, 0, v7
	s_and_b32 s5, vcc_lo, exec_lo
	s_delay_alu instid0(SALU_CYCLE_1)
	s_or_b32 s2, s2, s5
	s_or_b32 exec_lo, exec_lo, s3
	v_mov_b32_e32 v8, s4
	s_and_saveexec_b32 s3, s2
	s_cbranch_execnz .LBB9_218
	s_branch .LBB9_219
.LBB9_666:
	s_or_saveexec_b32 s6, s6
                                        ; implicit-def: $sgpr7
	s_delay_alu instid0(SALU_CYCLE_1)
	s_xor_b32 exec_lo, exec_lo, s6
	s_cbranch_execz .LBB9_322
.LBB9_667:
	v_add_f32_e64 v7, 0x46000000, |v5|
	s_and_not1_b32 s5, s5, exec_lo
	s_mov_b32 s7, 0
	s_delay_alu instid0(VALU_DEP_1) | instskip(NEXT) | instid1(VALU_DEP_1)
	v_and_b32_e32 v7, 0xff, v7
	v_cmp_ne_u32_e32 vcc_lo, 0, v7
	s_and_b32 s8, vcc_lo, exec_lo
	s_delay_alu instid0(SALU_CYCLE_1)
	s_or_b32 s5, s5, s8
	s_or_b32 exec_lo, exec_lo, s6
	v_mov_b32_e32 v8, s7
	s_and_saveexec_b32 s6, s5
	s_cbranch_execnz .LBB9_323
	s_branch .LBB9_324
.LBB9_668:
	s_trap 2
	s_sendmsg_rtn_b32 s0, sendmsg(MSG_RTN_GET_DOORBELL)
	s_mov_b32 ttmp2, m0
	s_waitcnt lgkmcnt(0)
	s_and_b32 s0, s0, 0x3ff
	s_delay_alu instid0(SALU_CYCLE_1) | instskip(NEXT) | instid1(SALU_CYCLE_1)
	s_bitset1_b32 s0, 10
	s_mov_b32 m0, s0
	s_sendmsg sendmsg(MSG_INTERRUPT)
	s_mov_b32 m0, ttmp2
.LBB9_669:                              ; =>This Inner Loop Header: Depth=1
	s_sethalt 5
	s_branch .LBB9_669
.LBB9_670:
	s_cbranch_execnz .LBB9_803
; %bb.671:
	s_or_b32 s1, s1, exec_lo
	s_cbranch_execz .LBB9_370
	s_branch .LBB9_371
.LBB9_672:
	s_or_saveexec_b32 s3, s3
                                        ; implicit-def: $sgpr4
	s_delay_alu instid0(SALU_CYCLE_1)
	s_xor_b32 exec_lo, exec_lo, s3
	s_cbranch_execz .LBB9_49
.LBB9_673:
	v_add_f32_e64 v3, 0x42800000, |v2|
	s_and_not1_b32 s2, s2, exec_lo
	s_mov_b32 s4, 0
	s_delay_alu instid0(VALU_DEP_1) | instskip(NEXT) | instid1(VALU_DEP_1)
	v_and_b32_e32 v3, 0xff, v3
	v_cmp_ne_u32_e32 vcc_lo, 0, v3
	s_and_b32 s5, vcc_lo, exec_lo
	s_delay_alu instid0(SALU_CYCLE_1)
	s_or_b32 s2, s2, s5
	s_or_b32 exec_lo, exec_lo, s3
	v_mov_b32_e32 v7, s4
	s_and_saveexec_b32 s3, s2
	s_cbranch_execnz .LBB9_50
	s_branch .LBB9_51
.LBB9_674:
	s_mov_b32 s2, -1
	s_mov_b32 s1, 0
	s_mov_b32 s0, s20
.LBB9_675:
	s_and_b32 vcc_lo, exec_lo, s2
	s_cbranch_vccz .LBB9_680
; %bb.676:
	v_cmp_eq_u16_e32 vcc_lo, 44, v6
	s_mov_b32 s0, -1
	s_cbranch_vccz .LBB9_680
; %bb.677:
	v_cvt_f32_f64_e32 v2, v[0:1]
	v_mov_b32_e32 v3, 0xff
	s_mov_b32 s1, exec_lo
	s_delay_alu instid0(VALU_DEP_2) | instskip(NEXT) | instid1(VALU_DEP_1)
	v_bfe_u32 v7, v2, 23, 8
	v_cmpx_ne_u32_e32 0xff, v7
; %bb.678:
	v_and_b32_e32 v3, 0x400000, v2
	v_and_or_b32 v7, 0x3fffff, v2, v7
	v_lshrrev_b32_e32 v2, 23, v2
	s_delay_alu instid0(VALU_DEP_3) | instskip(NEXT) | instid1(VALU_DEP_3)
	v_cmp_ne_u32_e32 vcc_lo, 0, v3
	v_cmp_ne_u32_e64 s0, 0, v7
	s_delay_alu instid0(VALU_DEP_1) | instskip(NEXT) | instid1(SALU_CYCLE_1)
	s_and_b32 s0, vcc_lo, s0
	v_cndmask_b32_e64 v3, 0, 1, s0
	s_delay_alu instid0(VALU_DEP_1)
	v_add_nc_u32_e32 v3, v2, v3
; %bb.679:
	s_or_b32 exec_lo, exec_lo, s1
	s_mov_b32 s1, -1
	s_mov_b32 s0, 0
	global_store_b8 v[4:5], v3, off
.LBB9_680:
	s_mov_b32 s2, 0
.LBB9_681:
	s_delay_alu instid0(SALU_CYCLE_1)
	s_and_b32 vcc_lo, exec_lo, s2
	s_cbranch_vccz .LBB9_684
; %bb.682:
	v_cmp_eq_u16_e32 vcc_lo, 29, v6
	s_mov_b32 s0, -1
	s_cbranch_vccz .LBB9_684
; %bb.683:
	v_trunc_f64_e32 v[2:3], v[0:1]
	s_mov_b32 s1, -1
	s_mov_b32 s0, 0
	s_mov_b32 s2, 0
	s_delay_alu instid0(VALU_DEP_1) | instskip(NEXT) | instid1(VALU_DEP_1)
	v_ldexp_f64 v[7:8], v[2:3], 0xffffffe0
	v_floor_f64_e32 v[7:8], v[7:8]
	s_delay_alu instid0(VALU_DEP_1) | instskip(SKIP_1) | instid1(VALU_DEP_2)
	v_fma_f64 v[2:3], 0xc1f00000, v[7:8], v[2:3]
	v_cvt_u32_f64_e32 v8, v[7:8]
	v_cvt_u32_f64_e32 v7, v[2:3]
	global_store_b64 v[4:5], v[7:8], off
	s_branch .LBB9_685
.LBB9_684:
	s_mov_b32 s2, 0
.LBB9_685:
	s_delay_alu instid0(SALU_CYCLE_1)
	s_and_b32 vcc_lo, exec_lo, s2
	s_cbranch_vccz .LBB9_701
; %bb.686:
	v_cmp_gt_i16_e32 vcc_lo, 27, v6
	s_mov_b32 s1, -1
	s_cbranch_vccnz .LBB9_692
; %bb.687:
	v_cmp_lt_i16_e32 vcc_lo, 27, v6
	s_cbranch_vccz .LBB9_689
; %bb.688:
	v_cvt_u32_f64_e32 v2, v[0:1]
	s_mov_b32 s1, 0
	global_store_b32 v[4:5], v2, off
.LBB9_689:
	s_and_not1_b32 vcc_lo, exec_lo, s1
	s_cbranch_vccnz .LBB9_691
; %bb.690:
	v_cvt_u32_f64_e32 v2, v[0:1]
	global_store_b16 v[4:5], v2, off
.LBB9_691:
	s_mov_b32 s1, 0
.LBB9_692:
	s_delay_alu instid0(SALU_CYCLE_1)
	s_and_not1_b32 vcc_lo, exec_lo, s1
	s_cbranch_vccnz .LBB9_700
; %bb.693:
	v_cvt_f32_f64_e32 v2, v[0:1]
	v_mov_b32_e32 v7, 0x80
	s_mov_b32 s1, exec_lo
	s_delay_alu instid0(VALU_DEP_2) | instskip(NEXT) | instid1(VALU_DEP_1)
	v_and_b32_e32 v3, 0x7fffffff, v2
	v_cmpx_gt_u32_e32 0x43800000, v3
	s_cbranch_execz .LBB9_699
; %bb.694:
	v_cmp_lt_u32_e32 vcc_lo, 0x3bffffff, v3
	s_mov_b32 s2, 0
                                        ; implicit-def: $vgpr3
	s_and_saveexec_b32 s3, vcc_lo
	s_delay_alu instid0(SALU_CYCLE_1)
	s_xor_b32 s3, exec_lo, s3
	s_cbranch_execz .LBB9_796
; %bb.695:
	v_bfe_u32 v3, v2, 20, 1
	s_mov_b32 s2, exec_lo
	s_delay_alu instid0(VALU_DEP_1) | instskip(NEXT) | instid1(VALU_DEP_1)
	v_add3_u32 v3, v2, v3, 0x487ffff
	v_lshrrev_b32_e32 v3, 20, v3
	s_or_saveexec_b32 s3, s3
                                        ; implicit-def: $sgpr4
	s_delay_alu instid0(SALU_CYCLE_1)
	s_xor_b32 exec_lo, exec_lo, s3
	s_cbranch_execnz .LBB9_797
.LBB9_696:
	s_or_b32 exec_lo, exec_lo, s3
	v_mov_b32_e32 v7, s4
	s_and_saveexec_b32 s3, s2
.LBB9_697:
	v_lshrrev_b32_e32 v2, 24, v2
	s_delay_alu instid0(VALU_DEP_1)
	v_and_or_b32 v7, 0x80, v2, v3
.LBB9_698:
	s_or_b32 exec_lo, exec_lo, s3
.LBB9_699:
	s_delay_alu instid0(SALU_CYCLE_1)
	s_or_b32 exec_lo, exec_lo, s1
	global_store_b8 v[4:5], v7, off
.LBB9_700:
	s_mov_b32 s1, -1
.LBB9_701:
	s_mov_b32 s2, 0
.LBB9_702:
	s_delay_alu instid0(SALU_CYCLE_1)
	s_and_b32 vcc_lo, exec_lo, s2
	s_cbranch_vccz .LBB9_743
; %bb.703:
	v_cmp_lt_i16_e32 vcc_lo, 22, v6
	s_mov_b32 s2, -1
	s_cbranch_vccz .LBB9_735
; %bb.704:
	v_cmp_gt_i16_e32 vcc_lo, 24, v6
	s_mov_b32 s1, -1
	s_cbranch_vccnz .LBB9_724
; %bb.705:
	v_cmp_lt_i16_e32 vcc_lo, 24, v6
	s_cbranch_vccz .LBB9_713
; %bb.706:
	v_cvt_f32_f64_e32 v2, v[0:1]
	v_mov_b32_e32 v7, 0x80
	s_mov_b32 s1, exec_lo
	s_delay_alu instid0(VALU_DEP_2) | instskip(NEXT) | instid1(VALU_DEP_1)
	v_and_b32_e32 v3, 0x7fffffff, v2
	v_cmpx_gt_u32_e32 0x47800000, v3
	s_cbranch_execz .LBB9_712
; %bb.707:
	v_cmp_lt_u32_e32 vcc_lo, 0x37ffffff, v3
	s_mov_b32 s2, 0
                                        ; implicit-def: $vgpr3
	s_and_saveexec_b32 s3, vcc_lo
	s_delay_alu instid0(SALU_CYCLE_1)
	s_xor_b32 s3, exec_lo, s3
	s_cbranch_execz .LBB9_807
; %bb.708:
	v_bfe_u32 v3, v2, 21, 1
	s_mov_b32 s2, exec_lo
	s_delay_alu instid0(VALU_DEP_1) | instskip(NEXT) | instid1(VALU_DEP_1)
	v_add3_u32 v3, v2, v3, 0x88fffff
	v_lshrrev_b32_e32 v3, 21, v3
	s_or_saveexec_b32 s3, s3
                                        ; implicit-def: $sgpr4
	s_delay_alu instid0(SALU_CYCLE_1)
	s_xor_b32 exec_lo, exec_lo, s3
	s_cbranch_execnz .LBB9_808
.LBB9_709:
	s_or_b32 exec_lo, exec_lo, s3
	v_mov_b32_e32 v7, s4
	s_and_saveexec_b32 s3, s2
.LBB9_710:
	v_lshrrev_b32_e32 v2, 24, v2
	s_delay_alu instid0(VALU_DEP_1)
	v_and_or_b32 v7, 0x80, v2, v3
.LBB9_711:
	s_or_b32 exec_lo, exec_lo, s3
.LBB9_712:
	s_delay_alu instid0(SALU_CYCLE_1)
	s_or_b32 exec_lo, exec_lo, s1
	s_mov_b32 s1, 0
	global_store_b8 v[4:5], v7, off
.LBB9_713:
	s_and_b32 vcc_lo, exec_lo, s1
	s_cbranch_vccz .LBB9_723
; %bb.714:
	v_cvt_f32_f64_e32 v2, v[0:1]
	s_mov_b32 s1, exec_lo
                                        ; implicit-def: $vgpr3
	s_delay_alu instid0(VALU_DEP_1) | instskip(NEXT) | instid1(VALU_DEP_1)
	v_and_b32_e32 v7, 0x7fffffff, v2
	v_cmpx_gt_u32_e32 0x43f00000, v7
	s_xor_b32 s1, exec_lo, s1
	s_cbranch_execz .LBB9_720
; %bb.715:
	s_mov_b32 s2, exec_lo
                                        ; implicit-def: $vgpr3
	v_cmpx_lt_u32_e32 0x3c7fffff, v7
	s_xor_b32 s2, exec_lo, s2
; %bb.716:
	v_bfe_u32 v3, v2, 20, 1
	s_delay_alu instid0(VALU_DEP_1) | instskip(NEXT) | instid1(VALU_DEP_1)
	v_add3_u32 v3, v2, v3, 0x407ffff
	v_and_b32_e32 v7, 0xff00000, v3
	v_lshrrev_b32_e32 v3, 20, v3
	s_delay_alu instid0(VALU_DEP_2) | instskip(NEXT) | instid1(VALU_DEP_2)
	v_cmp_ne_u32_e32 vcc_lo, 0x7f00000, v7
	v_cndmask_b32_e32 v3, 0x7e, v3, vcc_lo
; %bb.717:
	s_and_not1_saveexec_b32 s2, s2
; %bb.718:
	v_add_f32_e64 v3, 0x46800000, |v2|
; %bb.719:
	s_or_b32 exec_lo, exec_lo, s2
                                        ; implicit-def: $vgpr7
.LBB9_720:
	s_and_not1_saveexec_b32 s1, s1
; %bb.721:
	v_mov_b32_e32 v3, 0x7f
	v_cmp_lt_u32_e32 vcc_lo, 0x7f800000, v7
	s_delay_alu instid0(VALU_DEP_2)
	v_cndmask_b32_e32 v3, 0x7e, v3, vcc_lo
; %bb.722:
	s_or_b32 exec_lo, exec_lo, s1
	v_lshrrev_b32_e32 v2, 24, v2
	s_delay_alu instid0(VALU_DEP_1)
	v_and_or_b32 v2, 0x80, v2, v3
	global_store_b8 v[4:5], v2, off
.LBB9_723:
	s_mov_b32 s1, 0
.LBB9_724:
	s_delay_alu instid0(SALU_CYCLE_1)
	s_and_not1_b32 vcc_lo, exec_lo, s1
	s_cbranch_vccnz .LBB9_734
; %bb.725:
	v_cvt_f32_f64_e32 v2, v[0:1]
	s_mov_b32 s1, exec_lo
                                        ; implicit-def: $vgpr3
	s_delay_alu instid0(VALU_DEP_1) | instskip(NEXT) | instid1(VALU_DEP_1)
	v_and_b32_e32 v7, 0x7fffffff, v2
	v_cmpx_gt_u32_e32 0x47800000, v7
	s_xor_b32 s1, exec_lo, s1
	s_cbranch_execz .LBB9_731
; %bb.726:
	s_mov_b32 s2, exec_lo
                                        ; implicit-def: $vgpr3
	v_cmpx_lt_u32_e32 0x387fffff, v7
	s_xor_b32 s2, exec_lo, s2
; %bb.727:
	v_bfe_u32 v3, v2, 21, 1
	s_delay_alu instid0(VALU_DEP_1) | instskip(NEXT) | instid1(VALU_DEP_1)
	v_add3_u32 v3, v2, v3, 0x80fffff
	v_lshrrev_b32_e32 v3, 21, v3
; %bb.728:
	s_and_not1_saveexec_b32 s2, s2
; %bb.729:
	v_add_f32_e64 v3, 0x43000000, |v2|
; %bb.730:
	s_or_b32 exec_lo, exec_lo, s2
                                        ; implicit-def: $vgpr7
.LBB9_731:
	s_and_not1_saveexec_b32 s1, s1
; %bb.732:
	v_mov_b32_e32 v3, 0x7f
	v_cmp_lt_u32_e32 vcc_lo, 0x7f800000, v7
	s_delay_alu instid0(VALU_DEP_2)
	v_cndmask_b32_e32 v3, 0x7c, v3, vcc_lo
; %bb.733:
	s_or_b32 exec_lo, exec_lo, s1
	v_lshrrev_b32_e32 v2, 24, v2
	s_delay_alu instid0(VALU_DEP_1)
	v_and_or_b32 v2, 0x80, v2, v3
	global_store_b8 v[4:5], v2, off
.LBB9_734:
	s_mov_b32 s2, 0
	s_mov_b32 s1, -1
.LBB9_735:
	s_and_not1_b32 vcc_lo, exec_lo, s2
	s_cbranch_vccnz .LBB9_743
; %bb.736:
	v_cmp_lt_i16_e32 vcc_lo, 14, v6
	s_mov_b32 s2, -1
	s_cbranch_vccz .LBB9_740
; %bb.737:
	v_cmp_eq_u16_e32 vcc_lo, 15, v6
	s_mov_b32 s0, -1
	s_cbranch_vccz .LBB9_739
; %bb.738:
	v_cvt_f32_f64_e32 v2, v[0:1]
	s_mov_b32 s1, -1
	s_mov_b32 s0, 0
	s_delay_alu instid0(VALU_DEP_1) | instskip(SKIP_1) | instid1(VALU_DEP_2)
	v_bfe_u32 v3, v2, 16, 1
	v_cmp_o_f32_e32 vcc_lo, v2, v2
	v_add3_u32 v3, v2, v3, 0x7fff
	s_delay_alu instid0(VALU_DEP_1) | instskip(NEXT) | instid1(VALU_DEP_1)
	v_lshrrev_b32_e32 v3, 16, v3
	v_cndmask_b32_e32 v2, 0x7fc0, v3, vcc_lo
	global_store_b16 v[4:5], v2, off
.LBB9_739:
	s_mov_b32 s2, 0
.LBB9_740:
	s_delay_alu instid0(SALU_CYCLE_1)
	s_and_b32 vcc_lo, exec_lo, s2
	s_cbranch_vccz .LBB9_743
; %bb.741:
	v_cmp_eq_u16_e32 vcc_lo, 11, v6
	s_mov_b32 s0, -1
	s_cbranch_vccz .LBB9_743
; %bb.742:
	v_cmp_neq_f64_e32 vcc_lo, 0, v[0:1]
	s_mov_b32 s1, -1
	s_mov_b32 s0, 0
	v_cndmask_b32_e64 v2, 0, 1, vcc_lo
	global_store_b8 v[4:5], v2, off
.LBB9_743:
	s_branch .LBB9_568
.LBB9_744:
	v_cmp_gt_i16_e32 vcc_lo, 5, v6
	s_mov_b32 s1, -1
	s_cbranch_vccnz .LBB9_765
; %bb.745:
	v_cmp_gt_i16_e32 vcc_lo, 8, v6
	s_cbranch_vccnz .LBB9_755
; %bb.746:
	v_cmp_gt_i16_e32 vcc_lo, 9, v6
	s_cbranch_vccnz .LBB9_752
; %bb.747:
	v_cmp_lt_i16_e32 vcc_lo, 9, v6
	s_cbranch_vccz .LBB9_749
; %bb.748:
	v_mov_b32_e32 v2, 0
	s_mov_b32 s1, 0
	s_delay_alu instid0(VALU_DEP_1)
	v_mov_b32_e32 v3, v2
	global_store_b128 v[4:5], v[0:3], off
.LBB9_749:
	s_and_not1_b32 vcc_lo, exec_lo, s1
	s_cbranch_vccnz .LBB9_751
; %bb.750:
	v_cvt_f32_f64_e32 v2, v[0:1]
	v_mov_b32_e32 v3, 0
	global_store_b64 v[4:5], v[2:3], off
.LBB9_751:
	s_mov_b32 s1, 0
.LBB9_752:
	s_delay_alu instid0(SALU_CYCLE_1)
	s_and_not1_b32 vcc_lo, exec_lo, s1
	s_cbranch_vccnz .LBB9_754
; %bb.753:
	v_cvt_f32_f64_e32 v2, v[0:1]
	s_delay_alu instid0(VALU_DEP_1) | instskip(NEXT) | instid1(VALU_DEP_1)
	v_cvt_f16_f32_e32 v2, v2
	v_and_b32_e32 v2, 0xffff, v2
	global_store_b32 v[4:5], v2, off
.LBB9_754:
	s_mov_b32 s1, 0
.LBB9_755:
	s_delay_alu instid0(SALU_CYCLE_1)
	s_and_not1_b32 vcc_lo, exec_lo, s1
	s_cbranch_vccnz .LBB9_764
; %bb.756:
	v_cmp_gt_i16_e32 vcc_lo, 6, v6
	s_mov_b32 s1, -1
	s_cbranch_vccnz .LBB9_762
; %bb.757:
	v_cmp_lt_i16_e32 vcc_lo, 6, v6
	s_cbranch_vccz .LBB9_759
; %bb.758:
	s_mov_b32 s1, 0
	global_store_b64 v[4:5], v[0:1], off
.LBB9_759:
	s_and_not1_b32 vcc_lo, exec_lo, s1
	s_cbranch_vccnz .LBB9_761
; %bb.760:
	v_cvt_f32_f64_e32 v2, v[0:1]
	global_store_b32 v[4:5], v2, off
.LBB9_761:
	s_mov_b32 s1, 0
.LBB9_762:
	s_delay_alu instid0(SALU_CYCLE_1)
	s_and_not1_b32 vcc_lo, exec_lo, s1
	s_cbranch_vccnz .LBB9_764
; %bb.763:
	v_cvt_f32_f64_e32 v2, v[0:1]
	s_delay_alu instid0(VALU_DEP_1)
	v_cvt_f16_f32_e32 v2, v2
	global_store_b16 v[4:5], v2, off
.LBB9_764:
	s_mov_b32 s1, 0
.LBB9_765:
	s_delay_alu instid0(SALU_CYCLE_1)
	s_and_not1_b32 vcc_lo, exec_lo, s1
	s_cbranch_vccnz .LBB9_781
; %bb.766:
	v_cmp_gt_i16_e32 vcc_lo, 2, v6
	s_mov_b32 s1, -1
	s_cbranch_vccnz .LBB9_776
; %bb.767:
	v_cmp_gt_i16_e32 vcc_lo, 3, v6
	s_cbranch_vccnz .LBB9_773
; %bb.768:
	v_cmp_lt_i16_e32 vcc_lo, 3, v6
	s_cbranch_vccz .LBB9_770
; %bb.769:
	v_trunc_f64_e32 v[2:3], v[0:1]
	s_mov_b32 s1, 0
	s_delay_alu instid0(VALU_DEP_1) | instskip(NEXT) | instid1(VALU_DEP_1)
	v_ldexp_f64 v[7:8], v[2:3], 0xffffffe0
	v_floor_f64_e32 v[7:8], v[7:8]
	s_delay_alu instid0(VALU_DEP_1) | instskip(SKIP_1) | instid1(VALU_DEP_2)
	v_fma_f64 v[2:3], 0xc1f00000, v[7:8], v[2:3]
	v_cvt_i32_f64_e32 v8, v[7:8]
	v_cvt_u32_f64_e32 v7, v[2:3]
	global_store_b64 v[4:5], v[7:8], off
.LBB9_770:
	s_and_not1_b32 vcc_lo, exec_lo, s1
	s_cbranch_vccnz .LBB9_772
; %bb.771:
	v_cvt_i32_f64_e32 v2, v[0:1]
	global_store_b32 v[4:5], v2, off
.LBB9_772:
	s_mov_b32 s1, 0
.LBB9_773:
	s_delay_alu instid0(SALU_CYCLE_1)
	s_and_not1_b32 vcc_lo, exec_lo, s1
	s_cbranch_vccnz .LBB9_775
; %bb.774:
	v_cvt_i32_f64_e32 v2, v[0:1]
	global_store_b16 v[4:5], v2, off
.LBB9_775:
	s_mov_b32 s1, 0
.LBB9_776:
	s_delay_alu instid0(SALU_CYCLE_1)
	s_and_not1_b32 vcc_lo, exec_lo, s1
	s_cbranch_vccnz .LBB9_781
; %bb.777:
	v_cmp_lt_i16_e32 vcc_lo, 0, v6
	s_mov_b32 s1, -1
	s_cbranch_vccz .LBB9_779
; %bb.778:
	v_cvt_i32_f64_e32 v2, v[0:1]
	s_mov_b32 s1, 0
	global_store_b8 v[4:5], v2, off
.LBB9_779:
	s_and_not1_b32 vcc_lo, exec_lo, s1
	s_cbranch_vccnz .LBB9_781
; %bb.780:
	v_trunc_f64_e32 v[0:1], v[0:1]
	s_delay_alu instid0(VALU_DEP_1) | instskip(NEXT) | instid1(VALU_DEP_1)
	v_ldexp_f64 v[2:3], v[0:1], 0xffffffe0
	v_floor_f64_e32 v[2:3], v[2:3]
	s_delay_alu instid0(VALU_DEP_1) | instskip(NEXT) | instid1(VALU_DEP_1)
	v_fma_f64 v[0:1], 0xc1f00000, v[2:3], v[0:1]
	v_cvt_u32_f64_e32 v0, v[0:1]
	global_store_b8 v[4:5], v0, off
.LBB9_781:
	s_branch .LBB9_569
.LBB9_782:
	s_mov_b32 s1, 0
                                        ; implicit-def: $vgpr36
.LBB9_783:
	s_and_not1_b32 s2, s20, exec_lo
	s_and_b32 s0, s0, exec_lo
	s_delay_alu instid0(SALU_CYCLE_1)
	s_or_b32 s23, s2, s0
	s_or_not1_b32 s2, s1, exec_lo
.LBB9_784:
	s_or_b32 exec_lo, exec_lo, s24
	s_mov_b32 s0, 0
	s_mov_b32 s1, 0
                                        ; implicit-def: $vgpr6
                                        ; implicit-def: $vgpr4_vgpr5
                                        ; implicit-def: $vgpr0_vgpr1
	s_and_saveexec_b32 s24, s2
	s_cbranch_execz .LBB9_1019
; %bb.785:
	s_mov_b32 s2, -1
	s_mov_b32 s26, s23
	s_mov_b32 s25, exec_lo
	v_cmpx_gt_i32_e64 s21, v36
	s_cbranch_execz .LBB9_922
; %bb.786:
	v_dual_mov_b32 v0, s18 :: v_dual_mov_b32 v1, s19
	v_dual_mov_b32 v2, s13 :: v_dual_mov_b32 v3, v37
	v_mov_b32_e32 v4, v36
	s_getpc_b64 s[0:1]
	s_add_u32 s0, s0, _ZN2at6native6invokeIZZZNS0_12_GLOBAL__N_137scaled_modified_bessel_k1_kernel_cudaERNS_18TensorIteratorBaseEENKUlvE_clEvENKUlvE_clEvEUldE_i15function_traitsIS7_EEENT1_11result_typeERKT_PrKPcPKT0_PKN3c1010ScalarTypeEi@rel32@lo+4
	s_addc_u32 s1, s1, _ZN2at6native6invokeIZZZNS0_12_GLOBAL__N_137scaled_modified_bessel_k1_kernel_cudaERNS_18TensorIteratorBaseEENKUlvE_clEvENKUlvE_clEvEUldE_i15function_traitsIS7_EEENT1_11result_typeERKT_PrKPcPKT0_PKN3c1010ScalarTypeEi@rel32@hi+12
	s_delay_alu instid0(SALU_CYCLE_1) | instskip(SKIP_2) | instid1(VALU_DEP_1)
	s_swappc_b64 s[30:31], s[0:1]
	v_mul_lo_u32 v2, v36, s12
	v_and_b32_e32 v6, 0xff, v39
	v_cmp_gt_i16_e32 vcc_lo, 11, v6
	s_delay_alu instid0(VALU_DEP_3) | instskip(SKIP_1) | instid1(VALU_DEP_1)
	v_ashrrev_i32_e32 v3, 31, v2
	v_add_co_u32 v4, s0, s16, v2
	v_add_co_ci_u32_e64 v5, s0, s17, v3, s0
	s_cbranch_vccnz .LBB9_793
; %bb.787:
	v_cmp_lt_i16_e32 vcc_lo, 25, v6
	s_cbranch_vccz .LBB9_794
; %bb.788:
	v_cmp_lt_i16_e32 vcc_lo, 28, v6
	s_cbranch_vccz .LBB9_795
	;; [unrolled: 3-line block ×4, first 2 shown]
; %bb.791:
	v_cmp_eq_u16_e32 vcc_lo, 46, v6
	s_mov_b32 s2, 0
	s_mov_b32 s0, -1
	s_mov_b32 s1, 0
	s_cbranch_vccz .LBB9_810
; %bb.792:
	v_cvt_f32_f64_e32 v2, v[0:1]
	s_mov_b32 s1, -1
	s_mov_b32 s0, 0
	s_delay_alu instid0(VALU_DEP_1) | instskip(SKIP_1) | instid1(VALU_DEP_2)
	v_bfe_u32 v3, v2, 16, 1
	v_cmp_o_f32_e32 vcc_lo, v2, v2
	v_add3_u32 v3, v2, v3, 0x7fff
	s_delay_alu instid0(VALU_DEP_1) | instskip(NEXT) | instid1(VALU_DEP_1)
	v_lshrrev_b32_e32 v3, 16, v3
	v_cndmask_b32_e32 v2, 0x7fc0, v3, vcc_lo
	global_store_b32 v[4:5], v2, off
	s_branch .LBB9_810
.LBB9_793:
	s_mov_b32 s2, -1
	s_mov_b32 s1, 0
	s_mov_b32 s0, s23
	s_branch .LBB9_879
.LBB9_794:
	s_mov_b32 s2, -1
	s_mov_b32 s1, 0
	s_mov_b32 s0, s23
	s_branch .LBB9_837
.LBB9_795:
	s_mov_b32 s2, -1
	s_mov_b32 s1, 0
	s_mov_b32 s0, s23
	s_branch .LBB9_820
.LBB9_796:
	s_or_saveexec_b32 s3, s3
                                        ; implicit-def: $sgpr4
	s_delay_alu instid0(SALU_CYCLE_1)
	s_xor_b32 exec_lo, exec_lo, s3
	s_cbranch_execz .LBB9_696
.LBB9_797:
	v_add_f32_e64 v3, 0x46000000, |v2|
	s_and_not1_b32 s2, s2, exec_lo
	s_mov_b32 s4, 0
	s_delay_alu instid0(VALU_DEP_1) | instskip(NEXT) | instid1(VALU_DEP_1)
	v_and_b32_e32 v3, 0xff, v3
	v_cmp_ne_u32_e32 vcc_lo, 0, v3
	s_and_b32 s5, vcc_lo, exec_lo
	s_delay_alu instid0(SALU_CYCLE_1)
	s_or_b32 s2, s2, s5
	s_or_b32 exec_lo, exec_lo, s3
	v_mov_b32_e32 v7, s4
	s_and_saveexec_b32 s3, s2
	s_cbranch_execnz .LBB9_697
	s_branch .LBB9_698
.LBB9_798:
	s_mov_b32 s2, -1
	s_mov_b32 s1, 0
	s_mov_b32 s0, s23
	s_branch .LBB9_816
.LBB9_799:
	s_or_saveexec_b32 s5, s5
                                        ; implicit-def: $sgpr6
	s_delay_alu instid0(SALU_CYCLE_1)
	s_xor_b32 exec_lo, exec_lo, s5
	s_cbranch_execz .LBB9_335
.LBB9_800:
	v_add_f32_e64 v7, 0x42800000, |v5|
	s_and_not1_b32 s4, s4, exec_lo
	s_mov_b32 s6, 0
	s_delay_alu instid0(VALU_DEP_1) | instskip(NEXT) | instid1(VALU_DEP_1)
	v_and_b32_e32 v7, 0xff, v7
	v_cmp_ne_u32_e32 vcc_lo, 0, v7
	s_and_b32 s7, vcc_lo, exec_lo
	s_delay_alu instid0(SALU_CYCLE_1)
	s_or_b32 s4, s4, s7
	s_or_b32 exec_lo, exec_lo, s5
	v_mov_b32_e32 v8, s6
	s_and_saveexec_b32 s5, s4
	s_cbranch_execnz .LBB9_336
	s_branch .LBB9_337
.LBB9_801:
	s_or_saveexec_b32 s6, s6
                                        ; implicit-def: $sgpr7
	s_delay_alu instid0(SALU_CYCLE_1)
	s_xor_b32 exec_lo, exec_lo, s6
	s_cbranch_execz .LBB9_440
.LBB9_802:
	v_add_f32_e64 v7, 0x46000000, |v5|
	s_and_not1_b32 s5, s5, exec_lo
	s_mov_b32 s7, 0
	s_delay_alu instid0(VALU_DEP_1) | instskip(NEXT) | instid1(VALU_DEP_1)
	v_and_b32_e32 v7, 0xff, v7
	v_cmp_ne_u32_e32 vcc_lo, 0, v7
	s_and_b32 s8, vcc_lo, exec_lo
	s_delay_alu instid0(SALU_CYCLE_1)
	s_or_b32 s5, s5, s8
	s_or_b32 exec_lo, exec_lo, s6
	v_mov_b32_e32 v8, s7
	s_and_saveexec_b32 s6, s5
	s_cbranch_execnz .LBB9_441
	s_branch .LBB9_442
.LBB9_803:
	s_trap 2
	s_sendmsg_rtn_b32 s0, sendmsg(MSG_RTN_GET_DOORBELL)
	s_mov_b32 ttmp2, m0
	s_waitcnt lgkmcnt(0)
	s_and_b32 s0, s0, 0x3ff
	s_delay_alu instid0(SALU_CYCLE_1) | instskip(NEXT) | instid1(SALU_CYCLE_1)
	s_bitset1_b32 s0, 10
	s_mov_b32 m0, s0
	s_sendmsg sendmsg(MSG_INTERRUPT)
	s_mov_b32 m0, ttmp2
.LBB9_804:                              ; =>This Inner Loop Header: Depth=1
	s_sethalt 5
	s_branch .LBB9_804
.LBB9_805:
	s_cbranch_execnz .LBB9_938
; %bb.806:
	s_or_b32 s1, s1, exec_lo
	s_cbranch_execz .LBB9_488
	s_branch .LBB9_489
.LBB9_807:
	s_or_saveexec_b32 s3, s3
                                        ; implicit-def: $sgpr4
	s_delay_alu instid0(SALU_CYCLE_1)
	s_xor_b32 exec_lo, exec_lo, s3
	s_cbranch_execz .LBB9_709
.LBB9_808:
	v_add_f32_e64 v3, 0x42800000, |v2|
	s_and_not1_b32 s2, s2, exec_lo
	s_mov_b32 s4, 0
	s_delay_alu instid0(VALU_DEP_1) | instskip(NEXT) | instid1(VALU_DEP_1)
	v_and_b32_e32 v3, 0xff, v3
	v_cmp_ne_u32_e32 vcc_lo, 0, v3
	s_and_b32 s5, vcc_lo, exec_lo
	s_delay_alu instid0(SALU_CYCLE_1)
	s_or_b32 s2, s2, s5
	s_or_b32 exec_lo, exec_lo, s3
	v_mov_b32_e32 v7, s4
	s_and_saveexec_b32 s3, s2
	s_cbranch_execnz .LBB9_710
	s_branch .LBB9_711
.LBB9_809:
	s_mov_b32 s2, -1
	s_mov_b32 s1, 0
	s_mov_b32 s0, s23
.LBB9_810:
	s_and_b32 vcc_lo, exec_lo, s2
	s_cbranch_vccz .LBB9_815
; %bb.811:
	v_cmp_eq_u16_e32 vcc_lo, 44, v6
	s_mov_b32 s0, -1
	s_cbranch_vccz .LBB9_815
; %bb.812:
	v_cvt_f32_f64_e32 v2, v[0:1]
	v_mov_b32_e32 v3, 0xff
	s_mov_b32 s1, exec_lo
	s_delay_alu instid0(VALU_DEP_2) | instskip(NEXT) | instid1(VALU_DEP_1)
	v_bfe_u32 v7, v2, 23, 8
	v_cmpx_ne_u32_e32 0xff, v7
; %bb.813:
	v_and_b32_e32 v3, 0x400000, v2
	v_and_or_b32 v7, 0x3fffff, v2, v7
	v_lshrrev_b32_e32 v2, 23, v2
	s_delay_alu instid0(VALU_DEP_3) | instskip(NEXT) | instid1(VALU_DEP_3)
	v_cmp_ne_u32_e32 vcc_lo, 0, v3
	v_cmp_ne_u32_e64 s0, 0, v7
	s_delay_alu instid0(VALU_DEP_1) | instskip(NEXT) | instid1(SALU_CYCLE_1)
	s_and_b32 s0, vcc_lo, s0
	v_cndmask_b32_e64 v3, 0, 1, s0
	s_delay_alu instid0(VALU_DEP_1)
	v_add_nc_u32_e32 v3, v2, v3
; %bb.814:
	s_or_b32 exec_lo, exec_lo, s1
	s_mov_b32 s1, -1
	s_mov_b32 s0, 0
	global_store_b8 v[4:5], v3, off
.LBB9_815:
	s_mov_b32 s2, 0
.LBB9_816:
	s_delay_alu instid0(SALU_CYCLE_1)
	s_and_b32 vcc_lo, exec_lo, s2
	s_cbranch_vccz .LBB9_819
; %bb.817:
	v_cmp_eq_u16_e32 vcc_lo, 29, v6
	s_mov_b32 s0, -1
	s_cbranch_vccz .LBB9_819
; %bb.818:
	v_trunc_f64_e32 v[2:3], v[0:1]
	s_mov_b32 s1, -1
	s_mov_b32 s0, 0
	s_mov_b32 s2, 0
	s_delay_alu instid0(VALU_DEP_1) | instskip(NEXT) | instid1(VALU_DEP_1)
	v_ldexp_f64 v[7:8], v[2:3], 0xffffffe0
	v_floor_f64_e32 v[7:8], v[7:8]
	s_delay_alu instid0(VALU_DEP_1) | instskip(SKIP_1) | instid1(VALU_DEP_2)
	v_fma_f64 v[2:3], 0xc1f00000, v[7:8], v[2:3]
	v_cvt_u32_f64_e32 v8, v[7:8]
	v_cvt_u32_f64_e32 v7, v[2:3]
	global_store_b64 v[4:5], v[7:8], off
	s_branch .LBB9_820
.LBB9_819:
	s_mov_b32 s2, 0
.LBB9_820:
	s_delay_alu instid0(SALU_CYCLE_1)
	s_and_b32 vcc_lo, exec_lo, s2
	s_cbranch_vccz .LBB9_836
; %bb.821:
	v_cmp_gt_i16_e32 vcc_lo, 27, v6
	s_mov_b32 s1, -1
	s_cbranch_vccnz .LBB9_827
; %bb.822:
	v_cmp_lt_i16_e32 vcc_lo, 27, v6
	s_cbranch_vccz .LBB9_824
; %bb.823:
	v_cvt_u32_f64_e32 v2, v[0:1]
	s_mov_b32 s1, 0
	global_store_b32 v[4:5], v2, off
.LBB9_824:
	s_and_not1_b32 vcc_lo, exec_lo, s1
	s_cbranch_vccnz .LBB9_826
; %bb.825:
	v_cvt_u32_f64_e32 v2, v[0:1]
	global_store_b16 v[4:5], v2, off
.LBB9_826:
	s_mov_b32 s1, 0
.LBB9_827:
	s_delay_alu instid0(SALU_CYCLE_1)
	s_and_not1_b32 vcc_lo, exec_lo, s1
	s_cbranch_vccnz .LBB9_835
; %bb.828:
	v_cvt_f32_f64_e32 v2, v[0:1]
	v_mov_b32_e32 v7, 0x80
	s_mov_b32 s1, exec_lo
	s_delay_alu instid0(VALU_DEP_2) | instskip(NEXT) | instid1(VALU_DEP_1)
	v_and_b32_e32 v3, 0x7fffffff, v2
	v_cmpx_gt_u32_e32 0x43800000, v3
	s_cbranch_execz .LBB9_834
; %bb.829:
	v_cmp_lt_u32_e32 vcc_lo, 0x3bffffff, v3
	s_mov_b32 s2, 0
                                        ; implicit-def: $vgpr3
	s_and_saveexec_b32 s3, vcc_lo
	s_delay_alu instid0(SALU_CYCLE_1)
	s_xor_b32 s3, exec_lo, s3
	s_cbranch_execz .LBB9_932
; %bb.830:
	v_bfe_u32 v3, v2, 20, 1
	s_mov_b32 s2, exec_lo
	s_delay_alu instid0(VALU_DEP_1) | instskip(NEXT) | instid1(VALU_DEP_1)
	v_add3_u32 v3, v2, v3, 0x487ffff
	v_lshrrev_b32_e32 v3, 20, v3
	s_or_saveexec_b32 s3, s3
                                        ; implicit-def: $sgpr4
	s_delay_alu instid0(SALU_CYCLE_1)
	s_xor_b32 exec_lo, exec_lo, s3
	s_cbranch_execnz .LBB9_933
.LBB9_831:
	s_or_b32 exec_lo, exec_lo, s3
	v_mov_b32_e32 v7, s4
	s_and_saveexec_b32 s3, s2
.LBB9_832:
	v_lshrrev_b32_e32 v2, 24, v2
	s_delay_alu instid0(VALU_DEP_1)
	v_and_or_b32 v7, 0x80, v2, v3
.LBB9_833:
	s_or_b32 exec_lo, exec_lo, s3
.LBB9_834:
	s_delay_alu instid0(SALU_CYCLE_1)
	s_or_b32 exec_lo, exec_lo, s1
	global_store_b8 v[4:5], v7, off
.LBB9_835:
	s_mov_b32 s1, -1
.LBB9_836:
	s_mov_b32 s2, 0
.LBB9_837:
	s_delay_alu instid0(SALU_CYCLE_1)
	s_and_b32 vcc_lo, exec_lo, s2
	s_cbranch_vccz .LBB9_878
; %bb.838:
	v_cmp_lt_i16_e32 vcc_lo, 22, v6
	s_mov_b32 s2, -1
	s_cbranch_vccz .LBB9_870
; %bb.839:
	v_cmp_gt_i16_e32 vcc_lo, 24, v6
	s_mov_b32 s1, -1
	s_cbranch_vccnz .LBB9_859
; %bb.840:
	v_cmp_lt_i16_e32 vcc_lo, 24, v6
	s_cbranch_vccz .LBB9_848
; %bb.841:
	v_cvt_f32_f64_e32 v2, v[0:1]
	v_mov_b32_e32 v7, 0x80
	s_mov_b32 s1, exec_lo
	s_delay_alu instid0(VALU_DEP_2) | instskip(NEXT) | instid1(VALU_DEP_1)
	v_and_b32_e32 v3, 0x7fffffff, v2
	v_cmpx_gt_u32_e32 0x47800000, v3
	s_cbranch_execz .LBB9_847
; %bb.842:
	v_cmp_lt_u32_e32 vcc_lo, 0x37ffffff, v3
	s_mov_b32 s2, 0
                                        ; implicit-def: $vgpr3
	s_and_saveexec_b32 s3, vcc_lo
	s_delay_alu instid0(SALU_CYCLE_1)
	s_xor_b32 s3, exec_lo, s3
	s_cbranch_execz .LBB9_942
; %bb.843:
	v_bfe_u32 v3, v2, 21, 1
	s_mov_b32 s2, exec_lo
	s_delay_alu instid0(VALU_DEP_1) | instskip(NEXT) | instid1(VALU_DEP_1)
	v_add3_u32 v3, v2, v3, 0x88fffff
	v_lshrrev_b32_e32 v3, 21, v3
	s_or_saveexec_b32 s3, s3
                                        ; implicit-def: $sgpr4
	s_delay_alu instid0(SALU_CYCLE_1)
	s_xor_b32 exec_lo, exec_lo, s3
	s_cbranch_execnz .LBB9_943
.LBB9_844:
	s_or_b32 exec_lo, exec_lo, s3
	v_mov_b32_e32 v7, s4
	s_and_saveexec_b32 s3, s2
.LBB9_845:
	v_lshrrev_b32_e32 v2, 24, v2
	s_delay_alu instid0(VALU_DEP_1)
	v_and_or_b32 v7, 0x80, v2, v3
.LBB9_846:
	s_or_b32 exec_lo, exec_lo, s3
.LBB9_847:
	s_delay_alu instid0(SALU_CYCLE_1)
	s_or_b32 exec_lo, exec_lo, s1
	s_mov_b32 s1, 0
	global_store_b8 v[4:5], v7, off
.LBB9_848:
	s_and_b32 vcc_lo, exec_lo, s1
	s_cbranch_vccz .LBB9_858
; %bb.849:
	v_cvt_f32_f64_e32 v2, v[0:1]
	s_mov_b32 s1, exec_lo
                                        ; implicit-def: $vgpr3
	s_delay_alu instid0(VALU_DEP_1) | instskip(NEXT) | instid1(VALU_DEP_1)
	v_and_b32_e32 v7, 0x7fffffff, v2
	v_cmpx_gt_u32_e32 0x43f00000, v7
	s_xor_b32 s1, exec_lo, s1
	s_cbranch_execz .LBB9_855
; %bb.850:
	s_mov_b32 s2, exec_lo
                                        ; implicit-def: $vgpr3
	v_cmpx_lt_u32_e32 0x3c7fffff, v7
	s_xor_b32 s2, exec_lo, s2
; %bb.851:
	v_bfe_u32 v3, v2, 20, 1
	s_delay_alu instid0(VALU_DEP_1) | instskip(NEXT) | instid1(VALU_DEP_1)
	v_add3_u32 v3, v2, v3, 0x407ffff
	v_and_b32_e32 v7, 0xff00000, v3
	v_lshrrev_b32_e32 v3, 20, v3
	s_delay_alu instid0(VALU_DEP_2) | instskip(NEXT) | instid1(VALU_DEP_2)
	v_cmp_ne_u32_e32 vcc_lo, 0x7f00000, v7
	v_cndmask_b32_e32 v3, 0x7e, v3, vcc_lo
; %bb.852:
	s_and_not1_saveexec_b32 s2, s2
; %bb.853:
	v_add_f32_e64 v3, 0x46800000, |v2|
; %bb.854:
	s_or_b32 exec_lo, exec_lo, s2
                                        ; implicit-def: $vgpr7
.LBB9_855:
	s_and_not1_saveexec_b32 s1, s1
; %bb.856:
	v_mov_b32_e32 v3, 0x7f
	v_cmp_lt_u32_e32 vcc_lo, 0x7f800000, v7
	s_delay_alu instid0(VALU_DEP_2)
	v_cndmask_b32_e32 v3, 0x7e, v3, vcc_lo
; %bb.857:
	s_or_b32 exec_lo, exec_lo, s1
	v_lshrrev_b32_e32 v2, 24, v2
	s_delay_alu instid0(VALU_DEP_1)
	v_and_or_b32 v2, 0x80, v2, v3
	global_store_b8 v[4:5], v2, off
.LBB9_858:
	s_mov_b32 s1, 0
.LBB9_859:
	s_delay_alu instid0(SALU_CYCLE_1)
	s_and_not1_b32 vcc_lo, exec_lo, s1
	s_cbranch_vccnz .LBB9_869
; %bb.860:
	v_cvt_f32_f64_e32 v2, v[0:1]
	s_mov_b32 s1, exec_lo
                                        ; implicit-def: $vgpr3
	s_delay_alu instid0(VALU_DEP_1) | instskip(NEXT) | instid1(VALU_DEP_1)
	v_and_b32_e32 v7, 0x7fffffff, v2
	v_cmpx_gt_u32_e32 0x47800000, v7
	s_xor_b32 s1, exec_lo, s1
	s_cbranch_execz .LBB9_866
; %bb.861:
	s_mov_b32 s2, exec_lo
                                        ; implicit-def: $vgpr3
	v_cmpx_lt_u32_e32 0x387fffff, v7
	s_xor_b32 s2, exec_lo, s2
; %bb.862:
	v_bfe_u32 v3, v2, 21, 1
	s_delay_alu instid0(VALU_DEP_1) | instskip(NEXT) | instid1(VALU_DEP_1)
	v_add3_u32 v3, v2, v3, 0x80fffff
	v_lshrrev_b32_e32 v3, 21, v3
; %bb.863:
	s_and_not1_saveexec_b32 s2, s2
; %bb.864:
	v_add_f32_e64 v3, 0x43000000, |v2|
; %bb.865:
	s_or_b32 exec_lo, exec_lo, s2
                                        ; implicit-def: $vgpr7
.LBB9_866:
	s_and_not1_saveexec_b32 s1, s1
; %bb.867:
	v_mov_b32_e32 v3, 0x7f
	v_cmp_lt_u32_e32 vcc_lo, 0x7f800000, v7
	s_delay_alu instid0(VALU_DEP_2)
	v_cndmask_b32_e32 v3, 0x7c, v3, vcc_lo
; %bb.868:
	s_or_b32 exec_lo, exec_lo, s1
	v_lshrrev_b32_e32 v2, 24, v2
	s_delay_alu instid0(VALU_DEP_1)
	v_and_or_b32 v2, 0x80, v2, v3
	global_store_b8 v[4:5], v2, off
.LBB9_869:
	s_mov_b32 s2, 0
	s_mov_b32 s1, -1
.LBB9_870:
	s_and_not1_b32 vcc_lo, exec_lo, s2
	s_cbranch_vccnz .LBB9_878
; %bb.871:
	v_cmp_lt_i16_e32 vcc_lo, 14, v6
	s_mov_b32 s2, -1
	s_cbranch_vccz .LBB9_875
; %bb.872:
	v_cmp_eq_u16_e32 vcc_lo, 15, v6
	s_mov_b32 s0, -1
	s_cbranch_vccz .LBB9_874
; %bb.873:
	v_cvt_f32_f64_e32 v2, v[0:1]
	s_mov_b32 s1, -1
	s_mov_b32 s0, 0
	s_delay_alu instid0(VALU_DEP_1) | instskip(SKIP_1) | instid1(VALU_DEP_2)
	v_bfe_u32 v3, v2, 16, 1
	v_cmp_o_f32_e32 vcc_lo, v2, v2
	v_add3_u32 v3, v2, v3, 0x7fff
	s_delay_alu instid0(VALU_DEP_1) | instskip(NEXT) | instid1(VALU_DEP_1)
	v_lshrrev_b32_e32 v3, 16, v3
	v_cndmask_b32_e32 v2, 0x7fc0, v3, vcc_lo
	global_store_b16 v[4:5], v2, off
.LBB9_874:
	s_mov_b32 s2, 0
.LBB9_875:
	s_delay_alu instid0(SALU_CYCLE_1)
	s_and_b32 vcc_lo, exec_lo, s2
	s_cbranch_vccz .LBB9_878
; %bb.876:
	v_cmp_eq_u16_e32 vcc_lo, 11, v6
	s_mov_b32 s0, -1
	s_cbranch_vccz .LBB9_878
; %bb.877:
	v_cmp_neq_f64_e32 vcc_lo, 0, v[0:1]
	s_mov_b32 s1, -1
	s_mov_b32 s0, 0
	v_cndmask_b32_e64 v2, 0, 1, vcc_lo
	global_store_b8 v[4:5], v2, off
.LBB9_878:
	s_mov_b32 s2, 0
.LBB9_879:
	s_delay_alu instid0(SALU_CYCLE_1)
	s_and_b32 vcc_lo, exec_lo, s2
	s_cbranch_vccz .LBB9_918
; %bb.880:
	v_cmp_gt_i16_e32 vcc_lo, 5, v6
	s_mov_b32 s1, -1
	s_cbranch_vccnz .LBB9_901
; %bb.881:
	v_cmp_gt_i16_e32 vcc_lo, 8, v6
	s_cbranch_vccnz .LBB9_891
; %bb.882:
	v_cmp_gt_i16_e32 vcc_lo, 9, v6
	s_cbranch_vccnz .LBB9_888
; %bb.883:
	v_cmp_lt_i16_e32 vcc_lo, 9, v6
	s_cbranch_vccz .LBB9_885
; %bb.884:
	v_mov_b32_e32 v2, 0
	s_mov_b32 s1, 0
	s_delay_alu instid0(VALU_DEP_1)
	v_mov_b32_e32 v3, v2
	global_store_b128 v[4:5], v[0:3], off
.LBB9_885:
	s_and_not1_b32 vcc_lo, exec_lo, s1
	s_cbranch_vccnz .LBB9_887
; %bb.886:
	v_cvt_f32_f64_e32 v2, v[0:1]
	v_mov_b32_e32 v3, 0
	global_store_b64 v[4:5], v[2:3], off
.LBB9_887:
	s_mov_b32 s1, 0
.LBB9_888:
	s_delay_alu instid0(SALU_CYCLE_1)
	s_and_not1_b32 vcc_lo, exec_lo, s1
	s_cbranch_vccnz .LBB9_890
; %bb.889:
	v_cvt_f32_f64_e32 v2, v[0:1]
	s_delay_alu instid0(VALU_DEP_1) | instskip(NEXT) | instid1(VALU_DEP_1)
	v_cvt_f16_f32_e32 v2, v2
	v_and_b32_e32 v2, 0xffff, v2
	global_store_b32 v[4:5], v2, off
.LBB9_890:
	s_mov_b32 s1, 0
.LBB9_891:
	s_delay_alu instid0(SALU_CYCLE_1)
	s_and_not1_b32 vcc_lo, exec_lo, s1
	s_cbranch_vccnz .LBB9_900
; %bb.892:
	v_cmp_gt_i16_e32 vcc_lo, 6, v6
	s_mov_b32 s1, -1
	s_cbranch_vccnz .LBB9_898
; %bb.893:
	v_cmp_lt_i16_e32 vcc_lo, 6, v6
	s_cbranch_vccz .LBB9_895
; %bb.894:
	s_mov_b32 s1, 0
	global_store_b64 v[4:5], v[0:1], off
.LBB9_895:
	s_and_not1_b32 vcc_lo, exec_lo, s1
	s_cbranch_vccnz .LBB9_897
; %bb.896:
	v_cvt_f32_f64_e32 v2, v[0:1]
	global_store_b32 v[4:5], v2, off
.LBB9_897:
	s_mov_b32 s1, 0
.LBB9_898:
	s_delay_alu instid0(SALU_CYCLE_1)
	s_and_not1_b32 vcc_lo, exec_lo, s1
	s_cbranch_vccnz .LBB9_900
; %bb.899:
	v_cvt_f32_f64_e32 v2, v[0:1]
	s_delay_alu instid0(VALU_DEP_1)
	v_cvt_f16_f32_e32 v2, v2
	global_store_b16 v[4:5], v2, off
.LBB9_900:
	s_mov_b32 s1, 0
.LBB9_901:
	s_delay_alu instid0(SALU_CYCLE_1)
	s_and_not1_b32 vcc_lo, exec_lo, s1
	s_cbranch_vccnz .LBB9_917
; %bb.902:
	v_cmp_gt_i16_e32 vcc_lo, 2, v6
	s_mov_b32 s1, -1
	s_cbranch_vccnz .LBB9_912
; %bb.903:
	v_cmp_gt_i16_e32 vcc_lo, 3, v6
	s_cbranch_vccnz .LBB9_909
; %bb.904:
	v_cmp_lt_i16_e32 vcc_lo, 3, v6
	s_cbranch_vccz .LBB9_906
; %bb.905:
	v_trunc_f64_e32 v[2:3], v[0:1]
	s_mov_b32 s1, 0
	s_delay_alu instid0(VALU_DEP_1) | instskip(NEXT) | instid1(VALU_DEP_1)
	v_ldexp_f64 v[7:8], v[2:3], 0xffffffe0
	v_floor_f64_e32 v[7:8], v[7:8]
	s_delay_alu instid0(VALU_DEP_1) | instskip(SKIP_1) | instid1(VALU_DEP_2)
	v_fma_f64 v[2:3], 0xc1f00000, v[7:8], v[2:3]
	v_cvt_i32_f64_e32 v8, v[7:8]
	v_cvt_u32_f64_e32 v7, v[2:3]
	global_store_b64 v[4:5], v[7:8], off
.LBB9_906:
	s_and_not1_b32 vcc_lo, exec_lo, s1
	s_cbranch_vccnz .LBB9_908
; %bb.907:
	v_cvt_i32_f64_e32 v2, v[0:1]
	global_store_b32 v[4:5], v2, off
.LBB9_908:
	s_mov_b32 s1, 0
.LBB9_909:
	s_delay_alu instid0(SALU_CYCLE_1)
	s_and_not1_b32 vcc_lo, exec_lo, s1
	s_cbranch_vccnz .LBB9_911
; %bb.910:
	v_cvt_i32_f64_e32 v2, v[0:1]
	global_store_b16 v[4:5], v2, off
.LBB9_911:
	s_mov_b32 s1, 0
.LBB9_912:
	s_delay_alu instid0(SALU_CYCLE_1)
	s_and_not1_b32 vcc_lo, exec_lo, s1
	s_cbranch_vccnz .LBB9_917
; %bb.913:
	v_cmp_lt_i16_e32 vcc_lo, 0, v6
	s_mov_b32 s1, -1
	s_cbranch_vccz .LBB9_915
; %bb.914:
	v_cvt_i32_f64_e32 v2, v[0:1]
	s_mov_b32 s1, 0
	global_store_b8 v[4:5], v2, off
.LBB9_915:
	s_and_not1_b32 vcc_lo, exec_lo, s1
	s_cbranch_vccnz .LBB9_917
; %bb.916:
	v_trunc_f64_e32 v[0:1], v[0:1]
	s_delay_alu instid0(VALU_DEP_1) | instskip(NEXT) | instid1(VALU_DEP_1)
	v_ldexp_f64 v[2:3], v[0:1], 0xffffffe0
	v_floor_f64_e32 v[2:3], v[2:3]
	s_delay_alu instid0(VALU_DEP_1) | instskip(NEXT) | instid1(VALU_DEP_1)
	v_fma_f64 v[0:1], 0xc1f00000, v[2:3], v[0:1]
	v_cvt_u32_f64_e32 v0, v[0:1]
	global_store_b8 v[4:5], v0, off
.LBB9_917:
	s_mov_b32 s1, -1
.LBB9_918:
	s_delay_alu instid0(SALU_CYCLE_1)
	s_and_not1_b32 vcc_lo, exec_lo, s1
	s_cbranch_vccnz .LBB9_920
; %bb.919:
	v_add_nc_u32_e32 v36, 0x80, v36
	s_mov_b32 s1, -1
	s_branch .LBB9_921
.LBB9_920:
	s_mov_b32 s1, 0
                                        ; implicit-def: $vgpr36
.LBB9_921:
	s_and_not1_b32 s2, s23, exec_lo
	s_and_b32 s0, s0, exec_lo
	s_delay_alu instid0(SALU_CYCLE_1)
	s_or_b32 s26, s2, s0
	s_or_not1_b32 s2, s1, exec_lo
.LBB9_922:
	s_or_b32 exec_lo, exec_lo, s25
	s_mov_b32 s0, 0
	s_mov_b32 s1, 0
                                        ; implicit-def: $vgpr6
                                        ; implicit-def: $vgpr4_vgpr5
                                        ; implicit-def: $vgpr0_vgpr1
	s_and_saveexec_b32 s25, s2
	s_cbranch_execz .LBB9_1018
; %bb.923:
	v_cmp_gt_i32_e32 vcc_lo, s21, v36
	s_mov_b32 s2, s26
                                        ; implicit-def: $vgpr6
                                        ; implicit-def: $vgpr4_vgpr5
                                        ; implicit-def: $vgpr0_vgpr1
	s_and_saveexec_b32 s21, vcc_lo
	s_cbranch_execz .LBB9_1017
; %bb.924:
	v_dual_mov_b32 v0, s18 :: v_dual_mov_b32 v1, s19
	v_dual_mov_b32 v2, s13 :: v_dual_mov_b32 v3, v37
	v_mov_b32_e32 v4, v36
	s_getpc_b64 s[0:1]
	s_add_u32 s0, s0, _ZN2at6native6invokeIZZZNS0_12_GLOBAL__N_137scaled_modified_bessel_k1_kernel_cudaERNS_18TensorIteratorBaseEENKUlvE_clEvENKUlvE_clEvEUldE_i15function_traitsIS7_EEENT1_11result_typeERKT_PrKPcPKT0_PKN3c1010ScalarTypeEi@rel32@lo+4
	s_addc_u32 s1, s1, _ZN2at6native6invokeIZZZNS0_12_GLOBAL__N_137scaled_modified_bessel_k1_kernel_cudaERNS_18TensorIteratorBaseEENKUlvE_clEvENKUlvE_clEvEUldE_i15function_traitsIS7_EEENT1_11result_typeERKT_PrKPcPKT0_PKN3c1010ScalarTypeEi@rel32@hi+12
	s_delay_alu instid0(SALU_CYCLE_1) | instskip(SKIP_2) | instid1(VALU_DEP_1)
	s_swappc_b64 s[30:31], s[0:1]
	v_mul_lo_u32 v2, v36, s12
	v_and_b32_e32 v6, 0xff, v39
	v_cmp_gt_i16_e32 vcc_lo, 11, v6
	s_delay_alu instid0(VALU_DEP_3) | instskip(SKIP_1) | instid1(VALU_DEP_1)
	v_ashrrev_i32_e32 v3, 31, v2
	v_add_co_u32 v4, s0, s16, v2
	v_add_co_ci_u32_e64 v5, s0, s17, v3, s0
	s_cbranch_vccnz .LBB9_931
; %bb.925:
	v_cmp_lt_i16_e32 vcc_lo, 25, v6
	s_mov_b32 s1, -1
	s_mov_b32 s0, s26
	s_cbranch_vccz .LBB9_975
; %bb.926:
	v_cmp_lt_i16_e32 vcc_lo, 28, v6
	s_mov_b32 s0, s26
	s_cbranch_vccz .LBB9_959
; %bb.927:
	v_cmp_lt_i16_e32 vcc_lo, 43, v6
	;; [unrolled: 4-line block ×3, first 2 shown]
	s_mov_b32 s0, s26
	s_cbranch_vccz .LBB9_949
; %bb.929:
	v_cmp_eq_u16_e32 vcc_lo, 46, v6
	s_mov_b32 s0, -1
	s_cbranch_vccz .LBB9_948
; %bb.930:
	v_cvt_f32_f64_e32 v2, v[0:1]
	s_mov_b32 s0, 0
	s_mov_b32 s1, 0
	s_delay_alu instid0(VALU_DEP_1) | instskip(SKIP_1) | instid1(VALU_DEP_2)
	v_bfe_u32 v3, v2, 16, 1
	v_cmp_o_f32_e32 vcc_lo, v2, v2
	v_add3_u32 v3, v2, v3, 0x7fff
	s_delay_alu instid0(VALU_DEP_1) | instskip(NEXT) | instid1(VALU_DEP_1)
	v_lshrrev_b32_e32 v3, 16, v3
	v_cndmask_b32_e32 v2, 0x7fc0, v3, vcc_lo
	global_store_b32 v[4:5], v2, off
	s_branch .LBB9_949
.LBB9_931:
	s_mov_b32 s2, 0
	s_mov_b32 s1, -1
	s_mov_b32 s0, s26
	s_branch .LBB9_1016
.LBB9_932:
	s_or_saveexec_b32 s3, s3
                                        ; implicit-def: $sgpr4
	s_delay_alu instid0(SALU_CYCLE_1)
	s_xor_b32 exec_lo, exec_lo, s3
	s_cbranch_execz .LBB9_831
.LBB9_933:
	v_add_f32_e64 v3, 0x46000000, |v2|
	s_and_not1_b32 s2, s2, exec_lo
	s_mov_b32 s4, 0
	s_delay_alu instid0(VALU_DEP_1) | instskip(NEXT) | instid1(VALU_DEP_1)
	v_and_b32_e32 v3, 0xff, v3
	v_cmp_ne_u32_e32 vcc_lo, 0, v3
	s_and_b32 s5, vcc_lo, exec_lo
	s_delay_alu instid0(SALU_CYCLE_1)
	s_or_b32 s2, s2, s5
	s_or_b32 exec_lo, exec_lo, s3
	v_mov_b32_e32 v7, s4
	s_and_saveexec_b32 s3, s2
	s_cbranch_execnz .LBB9_832
	s_branch .LBB9_833
.LBB9_934:
	s_or_saveexec_b32 s5, s5
                                        ; implicit-def: $sgpr6
	s_delay_alu instid0(SALU_CYCLE_1)
	s_xor_b32 exec_lo, exec_lo, s5
	s_cbranch_execz .LBB9_453
.LBB9_935:
	v_add_f32_e64 v7, 0x42800000, |v5|
	s_and_not1_b32 s4, s4, exec_lo
	s_mov_b32 s6, 0
	s_delay_alu instid0(VALU_DEP_1) | instskip(NEXT) | instid1(VALU_DEP_1)
	v_and_b32_e32 v7, 0xff, v7
	v_cmp_ne_u32_e32 vcc_lo, 0, v7
	s_and_b32 s7, vcc_lo, exec_lo
	s_delay_alu instid0(SALU_CYCLE_1)
	s_or_b32 s4, s4, s7
	s_or_b32 exec_lo, exec_lo, s5
	v_mov_b32_e32 v8, s6
	s_and_saveexec_b32 s5, s4
	s_cbranch_execnz .LBB9_454
	s_branch .LBB9_455
.LBB9_936:
	s_or_saveexec_b32 s5, s5
                                        ; implicit-def: $sgpr6
	s_delay_alu instid0(SALU_CYCLE_1)
	s_xor_b32 exec_lo, exec_lo, s5
	s_cbranch_execz .LBB9_520
.LBB9_937:
	v_add_f32_e64 v3, 0x46000000, |v2|
	s_and_not1_b32 s4, s4, exec_lo
	s_mov_b32 s6, 0
	s_delay_alu instid0(VALU_DEP_1) | instskip(NEXT) | instid1(VALU_DEP_1)
	v_and_b32_e32 v3, 0xff, v3
	v_cmp_ne_u32_e32 vcc_lo, 0, v3
	s_and_b32 s7, vcc_lo, exec_lo
	s_delay_alu instid0(SALU_CYCLE_1)
	s_or_b32 s4, s4, s7
	s_or_b32 exec_lo, exec_lo, s5
	v_mov_b32_e32 v7, s6
	s_and_saveexec_b32 s5, s4
	s_cbranch_execnz .LBB9_521
	s_branch .LBB9_522
.LBB9_938:
	s_trap 2
	s_sendmsg_rtn_b32 s0, sendmsg(MSG_RTN_GET_DOORBELL)
	s_mov_b32 ttmp2, m0
	s_waitcnt lgkmcnt(0)
	s_and_b32 s0, s0, 0x3ff
	s_delay_alu instid0(SALU_CYCLE_1) | instskip(NEXT) | instid1(SALU_CYCLE_1)
	s_bitset1_b32 s0, 10
	s_mov_b32 m0, s0
	s_sendmsg sendmsg(MSG_INTERRUPT)
	s_mov_b32 m0, ttmp2
.LBB9_939:                              ; =>This Inner Loop Header: Depth=1
	s_sethalt 5
	s_branch .LBB9_939
.LBB9_940:
	s_cbranch_execnz .LBB9_946
; %bb.941:
	s_mov_b32 s2, 0
	s_or_b32 s1, s1, exec_lo
	s_branch .LBB9_566
.LBB9_942:
	s_or_saveexec_b32 s3, s3
                                        ; implicit-def: $sgpr4
	s_delay_alu instid0(SALU_CYCLE_1)
	s_xor_b32 exec_lo, exec_lo, s3
	s_cbranch_execz .LBB9_844
.LBB9_943:
	v_add_f32_e64 v3, 0x42800000, |v2|
	s_and_not1_b32 s2, s2, exec_lo
	s_mov_b32 s4, 0
	s_delay_alu instid0(VALU_DEP_1) | instskip(NEXT) | instid1(VALU_DEP_1)
	v_and_b32_e32 v3, 0xff, v3
	v_cmp_ne_u32_e32 vcc_lo, 0, v3
	s_and_b32 s5, vcc_lo, exec_lo
	s_delay_alu instid0(SALU_CYCLE_1)
	s_or_b32 s2, s2, s5
	s_or_b32 exec_lo, exec_lo, s3
	v_mov_b32_e32 v7, s4
	s_and_saveexec_b32 s3, s2
	s_cbranch_execnz .LBB9_845
	s_branch .LBB9_846
.LBB9_944:
	s_or_saveexec_b32 s4, s4
                                        ; implicit-def: $sgpr5
	s_delay_alu instid0(SALU_CYCLE_1)
	s_xor_b32 exec_lo, exec_lo, s4
	s_cbranch_execz .LBB9_532
.LBB9_945:
	v_add_f32_e64 v3, 0x42800000, |v2|
	s_and_not1_b32 s3, s3, exec_lo
	s_mov_b32 s5, 0
	s_delay_alu instid0(VALU_DEP_1) | instskip(NEXT) | instid1(VALU_DEP_1)
	v_and_b32_e32 v3, 0xff, v3
	v_cmp_ne_u32_e32 vcc_lo, 0, v3
	s_and_b32 s6, vcc_lo, exec_lo
	s_delay_alu instid0(SALU_CYCLE_1)
	s_or_b32 s3, s3, s6
	s_or_b32 exec_lo, exec_lo, s4
	v_mov_b32_e32 v7, s5
	s_and_saveexec_b32 s4, s3
	s_cbranch_execnz .LBB9_533
	s_branch .LBB9_534
.LBB9_946:
	s_trap 2
	s_sendmsg_rtn_b32 s0, sendmsg(MSG_RTN_GET_DOORBELL)
	s_mov_b32 ttmp2, m0
	s_waitcnt lgkmcnt(0)
	s_and_b32 s0, s0, 0x3ff
	s_delay_alu instid0(SALU_CYCLE_1) | instskip(NEXT) | instid1(SALU_CYCLE_1)
	s_bitset1_b32 s0, 10
	s_mov_b32 m0, s0
	s_sendmsg sendmsg(MSG_INTERRUPT)
	s_mov_b32 m0, ttmp2
.LBB9_947:                              ; =>This Inner Loop Header: Depth=1
	s_sethalt 5
	s_branch .LBB9_947
.LBB9_948:
	s_mov_b32 s1, 0
.LBB9_949:
	s_delay_alu instid0(SALU_CYCLE_1)
	s_and_b32 vcc_lo, exec_lo, s1
	s_cbranch_vccz .LBB9_954
; %bb.950:
	v_cmp_eq_u16_e32 vcc_lo, 44, v6
	s_mov_b32 s0, -1
	s_cbranch_vccz .LBB9_954
; %bb.951:
	v_cvt_f32_f64_e32 v2, v[0:1]
	v_mov_b32_e32 v3, 0xff
	s_mov_b32 s1, exec_lo
	s_delay_alu instid0(VALU_DEP_2) | instskip(NEXT) | instid1(VALU_DEP_1)
	v_bfe_u32 v7, v2, 23, 8
	v_cmpx_ne_u32_e32 0xff, v7
; %bb.952:
	v_and_b32_e32 v3, 0x400000, v2
	v_and_or_b32 v7, 0x3fffff, v2, v7
	v_lshrrev_b32_e32 v2, 23, v2
	s_delay_alu instid0(VALU_DEP_3) | instskip(NEXT) | instid1(VALU_DEP_3)
	v_cmp_ne_u32_e32 vcc_lo, 0, v3
	v_cmp_ne_u32_e64 s0, 0, v7
	s_delay_alu instid0(VALU_DEP_1) | instskip(NEXT) | instid1(SALU_CYCLE_1)
	s_and_b32 s0, vcc_lo, s0
	v_cndmask_b32_e64 v3, 0, 1, s0
	s_delay_alu instid0(VALU_DEP_1)
	v_add_nc_u32_e32 v3, v2, v3
; %bb.953:
	s_or_b32 exec_lo, exec_lo, s1
	s_mov_b32 s0, 0
	global_store_b8 v[4:5], v3, off
.LBB9_954:
	s_mov_b32 s1, 0
.LBB9_955:
	s_delay_alu instid0(SALU_CYCLE_1)
	s_and_b32 vcc_lo, exec_lo, s1
	s_cbranch_vccz .LBB9_958
; %bb.956:
	v_cmp_eq_u16_e32 vcc_lo, 29, v6
	s_mov_b32 s0, -1
	s_cbranch_vccz .LBB9_958
; %bb.957:
	v_trunc_f64_e32 v[2:3], v[0:1]
	s_mov_b32 s0, 0
	s_mov_b32 s1, 0
	s_delay_alu instid0(VALU_DEP_1) | instskip(NEXT) | instid1(VALU_DEP_1)
	v_ldexp_f64 v[7:8], v[2:3], 0xffffffe0
	v_floor_f64_e32 v[7:8], v[7:8]
	s_delay_alu instid0(VALU_DEP_1) | instskip(SKIP_1) | instid1(VALU_DEP_2)
	v_fma_f64 v[2:3], 0xc1f00000, v[7:8], v[2:3]
	v_cvt_u32_f64_e32 v8, v[7:8]
	v_cvt_u32_f64_e32 v7, v[2:3]
	global_store_b64 v[4:5], v[7:8], off
	s_branch .LBB9_959
.LBB9_958:
	s_mov_b32 s1, 0
.LBB9_959:
	s_delay_alu instid0(SALU_CYCLE_1)
	s_and_b32 vcc_lo, exec_lo, s1
	s_cbranch_vccz .LBB9_974
; %bb.960:
	v_cmp_gt_i16_e32 vcc_lo, 27, v6
	s_mov_b32 s1, -1
	s_cbranch_vccnz .LBB9_966
; %bb.961:
	v_cmp_lt_i16_e32 vcc_lo, 27, v6
	s_cbranch_vccz .LBB9_963
; %bb.962:
	v_cvt_u32_f64_e32 v2, v[0:1]
	s_mov_b32 s1, 0
	global_store_b32 v[4:5], v2, off
.LBB9_963:
	s_and_not1_b32 vcc_lo, exec_lo, s1
	s_cbranch_vccnz .LBB9_965
; %bb.964:
	v_cvt_u32_f64_e32 v2, v[0:1]
	global_store_b16 v[4:5], v2, off
.LBB9_965:
	s_mov_b32 s1, 0
.LBB9_966:
	s_delay_alu instid0(SALU_CYCLE_1)
	s_and_not1_b32 vcc_lo, exec_lo, s1
	s_cbranch_vccnz .LBB9_974
; %bb.967:
	v_cvt_f32_f64_e32 v2, v[0:1]
	v_mov_b32_e32 v7, 0x80
	s_mov_b32 s1, exec_lo
	s_delay_alu instid0(VALU_DEP_2) | instskip(NEXT) | instid1(VALU_DEP_1)
	v_and_b32_e32 v3, 0x7fffffff, v2
	v_cmpx_gt_u32_e32 0x43800000, v3
	s_cbranch_execz .LBB9_973
; %bb.968:
	v_cmp_lt_u32_e32 vcc_lo, 0x3bffffff, v3
	s_mov_b32 s2, 0
                                        ; implicit-def: $vgpr3
	s_and_saveexec_b32 s3, vcc_lo
	s_delay_alu instid0(SALU_CYCLE_1)
	s_xor_b32 s3, exec_lo, s3
	s_cbranch_execz .LBB9_1024
; %bb.969:
	v_bfe_u32 v3, v2, 20, 1
	s_mov_b32 s2, exec_lo
	s_delay_alu instid0(VALU_DEP_1) | instskip(NEXT) | instid1(VALU_DEP_1)
	v_add3_u32 v3, v2, v3, 0x487ffff
	v_lshrrev_b32_e32 v3, 20, v3
	s_or_saveexec_b32 s3, s3
                                        ; implicit-def: $sgpr4
	s_delay_alu instid0(SALU_CYCLE_1)
	s_xor_b32 exec_lo, exec_lo, s3
	s_cbranch_execnz .LBB9_1025
.LBB9_970:
	s_or_b32 exec_lo, exec_lo, s3
	v_mov_b32_e32 v7, s4
	s_and_saveexec_b32 s3, s2
.LBB9_971:
	v_lshrrev_b32_e32 v2, 24, v2
	s_delay_alu instid0(VALU_DEP_1)
	v_and_or_b32 v7, 0x80, v2, v3
.LBB9_972:
	s_or_b32 exec_lo, exec_lo, s3
.LBB9_973:
	s_delay_alu instid0(SALU_CYCLE_1)
	s_or_b32 exec_lo, exec_lo, s1
	global_store_b8 v[4:5], v7, off
.LBB9_974:
	s_mov_b32 s1, 0
.LBB9_975:
	s_delay_alu instid0(SALU_CYCLE_1)
	s_and_b32 vcc_lo, exec_lo, s1
	s_mov_b32 s1, 0
	s_cbranch_vccz .LBB9_1015
; %bb.976:
	v_cmp_lt_i16_e32 vcc_lo, 22, v6
	s_mov_b32 s2, -1
	s_cbranch_vccz .LBB9_1008
; %bb.977:
	v_cmp_gt_i16_e32 vcc_lo, 24, v6
	s_cbranch_vccnz .LBB9_997
; %bb.978:
	v_cmp_lt_i16_e32 vcc_lo, 24, v6
	s_cbranch_vccz .LBB9_986
; %bb.979:
	v_cvt_f32_f64_e32 v2, v[0:1]
	v_mov_b32_e32 v7, 0x80
	s_mov_b32 s2, exec_lo
	s_delay_alu instid0(VALU_DEP_2) | instskip(NEXT) | instid1(VALU_DEP_1)
	v_and_b32_e32 v3, 0x7fffffff, v2
	v_cmpx_gt_u32_e32 0x47800000, v3
	s_cbranch_execz .LBB9_985
; %bb.980:
	v_cmp_lt_u32_e32 vcc_lo, 0x37ffffff, v3
	s_mov_b32 s3, 0
                                        ; implicit-def: $vgpr3
	s_and_saveexec_b32 s4, vcc_lo
	s_delay_alu instid0(SALU_CYCLE_1)
	s_xor_b32 s4, exec_lo, s4
	s_cbranch_execz .LBB9_1026
; %bb.981:
	v_bfe_u32 v3, v2, 21, 1
	s_mov_b32 s3, exec_lo
	s_delay_alu instid0(VALU_DEP_1) | instskip(NEXT) | instid1(VALU_DEP_1)
	v_add3_u32 v3, v2, v3, 0x88fffff
	v_lshrrev_b32_e32 v3, 21, v3
	s_or_saveexec_b32 s4, s4
                                        ; implicit-def: $sgpr5
	s_delay_alu instid0(SALU_CYCLE_1)
	s_xor_b32 exec_lo, exec_lo, s4
	s_cbranch_execnz .LBB9_1027
.LBB9_982:
	s_or_b32 exec_lo, exec_lo, s4
	v_mov_b32_e32 v7, s5
	s_and_saveexec_b32 s4, s3
.LBB9_983:
	v_lshrrev_b32_e32 v2, 24, v2
	s_delay_alu instid0(VALU_DEP_1)
	v_and_or_b32 v7, 0x80, v2, v3
.LBB9_984:
	s_or_b32 exec_lo, exec_lo, s4
.LBB9_985:
	s_delay_alu instid0(SALU_CYCLE_1)
	s_or_b32 exec_lo, exec_lo, s2
	s_mov_b32 s2, 0
	global_store_b8 v[4:5], v7, off
.LBB9_986:
	s_and_b32 vcc_lo, exec_lo, s2
	s_cbranch_vccz .LBB9_996
; %bb.987:
	v_cvt_f32_f64_e32 v2, v[0:1]
	s_mov_b32 s2, exec_lo
                                        ; implicit-def: $vgpr3
	s_delay_alu instid0(VALU_DEP_1) | instskip(NEXT) | instid1(VALU_DEP_1)
	v_and_b32_e32 v7, 0x7fffffff, v2
	v_cmpx_gt_u32_e32 0x43f00000, v7
	s_xor_b32 s2, exec_lo, s2
	s_cbranch_execz .LBB9_993
; %bb.988:
	s_mov_b32 s3, exec_lo
                                        ; implicit-def: $vgpr3
	v_cmpx_lt_u32_e32 0x3c7fffff, v7
	s_xor_b32 s3, exec_lo, s3
; %bb.989:
	v_bfe_u32 v3, v2, 20, 1
	s_delay_alu instid0(VALU_DEP_1) | instskip(NEXT) | instid1(VALU_DEP_1)
	v_add3_u32 v3, v2, v3, 0x407ffff
	v_and_b32_e32 v7, 0xff00000, v3
	v_lshrrev_b32_e32 v3, 20, v3
	s_delay_alu instid0(VALU_DEP_2) | instskip(NEXT) | instid1(VALU_DEP_2)
	v_cmp_ne_u32_e32 vcc_lo, 0x7f00000, v7
	v_cndmask_b32_e32 v3, 0x7e, v3, vcc_lo
; %bb.990:
	s_and_not1_saveexec_b32 s3, s3
; %bb.991:
	v_add_f32_e64 v3, 0x46800000, |v2|
; %bb.992:
	s_or_b32 exec_lo, exec_lo, s3
                                        ; implicit-def: $vgpr7
.LBB9_993:
	s_and_not1_saveexec_b32 s2, s2
; %bb.994:
	v_mov_b32_e32 v3, 0x7f
	v_cmp_lt_u32_e32 vcc_lo, 0x7f800000, v7
	s_delay_alu instid0(VALU_DEP_2)
	v_cndmask_b32_e32 v3, 0x7e, v3, vcc_lo
; %bb.995:
	s_or_b32 exec_lo, exec_lo, s2
	v_lshrrev_b32_e32 v2, 24, v2
	s_delay_alu instid0(VALU_DEP_1)
	v_and_or_b32 v2, 0x80, v2, v3
	global_store_b8 v[4:5], v2, off
.LBB9_996:
	s_mov_b32 s2, 0
.LBB9_997:
	s_delay_alu instid0(SALU_CYCLE_1)
	s_and_not1_b32 vcc_lo, exec_lo, s2
	s_cbranch_vccnz .LBB9_1007
; %bb.998:
	v_cvt_f32_f64_e32 v2, v[0:1]
	s_mov_b32 s2, exec_lo
                                        ; implicit-def: $vgpr3
	s_delay_alu instid0(VALU_DEP_1) | instskip(NEXT) | instid1(VALU_DEP_1)
	v_and_b32_e32 v7, 0x7fffffff, v2
	v_cmpx_gt_u32_e32 0x47800000, v7
	s_xor_b32 s2, exec_lo, s2
	s_cbranch_execz .LBB9_1004
; %bb.999:
	s_mov_b32 s3, exec_lo
                                        ; implicit-def: $vgpr3
	v_cmpx_lt_u32_e32 0x387fffff, v7
	s_xor_b32 s3, exec_lo, s3
; %bb.1000:
	v_bfe_u32 v3, v2, 21, 1
	s_delay_alu instid0(VALU_DEP_1) | instskip(NEXT) | instid1(VALU_DEP_1)
	v_add3_u32 v3, v2, v3, 0x80fffff
	v_lshrrev_b32_e32 v3, 21, v3
; %bb.1001:
	s_and_not1_saveexec_b32 s3, s3
; %bb.1002:
	v_add_f32_e64 v3, 0x43000000, |v2|
; %bb.1003:
	s_or_b32 exec_lo, exec_lo, s3
                                        ; implicit-def: $vgpr7
.LBB9_1004:
	s_and_not1_saveexec_b32 s2, s2
; %bb.1005:
	v_mov_b32_e32 v3, 0x7f
	v_cmp_lt_u32_e32 vcc_lo, 0x7f800000, v7
	s_delay_alu instid0(VALU_DEP_2)
	v_cndmask_b32_e32 v3, 0x7c, v3, vcc_lo
; %bb.1006:
	s_or_b32 exec_lo, exec_lo, s2
	v_lshrrev_b32_e32 v2, 24, v2
	s_delay_alu instid0(VALU_DEP_1)
	v_and_or_b32 v2, 0x80, v2, v3
	global_store_b8 v[4:5], v2, off
.LBB9_1007:
	s_mov_b32 s2, 0
.LBB9_1008:
	s_delay_alu instid0(SALU_CYCLE_1)
	s_and_not1_b32 vcc_lo, exec_lo, s2
	s_mov_b32 s2, 0
	s_cbranch_vccnz .LBB9_1016
; %bb.1009:
	v_cmp_lt_i16_e32 vcc_lo, 14, v6
	s_mov_b32 s2, -1
	s_cbranch_vccz .LBB9_1013
; %bb.1010:
	v_cmp_eq_u16_e32 vcc_lo, 15, v6
	s_mov_b32 s0, -1
	s_cbranch_vccz .LBB9_1012
; %bb.1011:
	v_cvt_f32_f64_e32 v2, v[0:1]
	s_mov_b32 s0, 0
	s_delay_alu instid0(VALU_DEP_1) | instskip(SKIP_1) | instid1(VALU_DEP_2)
	v_bfe_u32 v3, v2, 16, 1
	v_cmp_o_f32_e32 vcc_lo, v2, v2
	v_add3_u32 v3, v2, v3, 0x7fff
	s_delay_alu instid0(VALU_DEP_1) | instskip(NEXT) | instid1(VALU_DEP_1)
	v_lshrrev_b32_e32 v3, 16, v3
	v_cndmask_b32_e32 v2, 0x7fc0, v3, vcc_lo
	global_store_b16 v[4:5], v2, off
.LBB9_1012:
	s_mov_b32 s2, 0
.LBB9_1013:
	s_delay_alu instid0(SALU_CYCLE_1)
	s_and_b32 vcc_lo, exec_lo, s2
	s_mov_b32 s2, 0
	s_cbranch_vccz .LBB9_1016
; %bb.1014:
	v_cmp_ne_u16_e32 vcc_lo, 11, v6
	s_and_not1_b32 s0, s0, exec_lo
	s_mov_b32 s2, -1
	s_and_b32 s3, vcc_lo, exec_lo
	s_delay_alu instid0(SALU_CYCLE_1)
	s_or_b32 s0, s0, s3
	s_branch .LBB9_1016
.LBB9_1015:
	s_mov_b32 s2, 0
.LBB9_1016:
	s_and_not1_b32 s3, s26, exec_lo
	s_and_b32 s4, s0, exec_lo
	s_and_b32 s1, s1, exec_lo
	s_and_b32 s0, s2, exec_lo
	s_or_b32 s2, s3, s4
.LBB9_1017:
	s_or_b32 exec_lo, exec_lo, s21
	s_delay_alu instid0(SALU_CYCLE_1)
	s_and_not1_b32 s3, s26, exec_lo
	s_and_b32 s2, s2, exec_lo
	s_and_b32 s1, s1, exec_lo
	;; [unrolled: 1-line block ×3, first 2 shown]
	s_or_b32 s26, s3, s2
.LBB9_1018:
	s_or_b32 exec_lo, exec_lo, s25
	s_delay_alu instid0(SALU_CYCLE_1)
	s_and_not1_b32 s2, s23, exec_lo
	s_and_b32 s3, s26, exec_lo
	s_and_b32 s1, s1, exec_lo
	;; [unrolled: 1-line block ×3, first 2 shown]
	s_or_b32 s23, s2, s3
.LBB9_1019:
	s_or_b32 exec_lo, exec_lo, s24
	s_delay_alu instid0(SALU_CYCLE_1)
	s_and_not1_b32 s2, s20, exec_lo
	s_and_b32 s3, s23, exec_lo
	s_and_b32 s1, s1, exec_lo
	;; [unrolled: 1-line block ×3, first 2 shown]
	s_or_b32 s20, s2, s3
	s_or_b32 exec_lo, exec_lo, s22
	s_mov_b32 s0, 0
	s_and_saveexec_b32 s2, s20
	s_cbranch_execz .LBB9_134
.LBB9_1020:
	s_cbranch_execnz .LBB9_1022
; %bb.1021:
	s_mov_b32 s0, exec_lo
	s_and_not1_b32 s23, s23, exec_lo
	s_or_b32 exec_lo, exec_lo, s2
	s_and_saveexec_b32 s2, s23
	s_delay_alu instid0(SALU_CYCLE_1)
	s_xor_b32 s2, exec_lo, s2
	s_cbranch_execnz .LBB9_135
	s_branch .LBB9_136
.LBB9_1022:
	s_trap 2
	s_sendmsg_rtn_b32 s0, sendmsg(MSG_RTN_GET_DOORBELL)
	s_mov_b32 ttmp2, m0
	s_waitcnt lgkmcnt(0)
	s_and_b32 s0, s0, 0x3ff
	s_delay_alu instid0(SALU_CYCLE_1) | instskip(NEXT) | instid1(SALU_CYCLE_1)
	s_bitset1_b32 s0, 10
	s_mov_b32 m0, s0
	s_sendmsg sendmsg(MSG_INTERRUPT)
	s_mov_b32 m0, ttmp2
.LBB9_1023:                             ; =>This Inner Loop Header: Depth=1
	s_sethalt 5
	s_branch .LBB9_1023
.LBB9_1024:
	s_or_saveexec_b32 s3, s3
                                        ; implicit-def: $sgpr4
	s_delay_alu instid0(SALU_CYCLE_1)
	s_xor_b32 exec_lo, exec_lo, s3
	s_cbranch_execz .LBB9_970
.LBB9_1025:
	v_add_f32_e64 v3, 0x46000000, |v2|
	s_and_not1_b32 s2, s2, exec_lo
	s_mov_b32 s4, 0
	s_delay_alu instid0(VALU_DEP_1) | instskip(NEXT) | instid1(VALU_DEP_1)
	v_and_b32_e32 v3, 0xff, v3
	v_cmp_ne_u32_e32 vcc_lo, 0, v3
	s_and_b32 s5, vcc_lo, exec_lo
	s_delay_alu instid0(SALU_CYCLE_1)
	s_or_b32 s2, s2, s5
	s_or_b32 exec_lo, exec_lo, s3
	v_mov_b32_e32 v7, s4
	s_and_saveexec_b32 s3, s2
	s_cbranch_execnz .LBB9_971
	s_branch .LBB9_972
.LBB9_1026:
	s_or_saveexec_b32 s4, s4
                                        ; implicit-def: $sgpr5
	s_delay_alu instid0(SALU_CYCLE_1)
	s_xor_b32 exec_lo, exec_lo, s4
	s_cbranch_execz .LBB9_982
.LBB9_1027:
	v_add_f32_e64 v3, 0x42800000, |v2|
	s_and_not1_b32 s3, s3, exec_lo
	s_mov_b32 s5, 0
	s_delay_alu instid0(VALU_DEP_1) | instskip(NEXT) | instid1(VALU_DEP_1)
	v_and_b32_e32 v3, 0xff, v3
	v_cmp_ne_u32_e32 vcc_lo, 0, v3
	s_and_b32 s6, vcc_lo, exec_lo
	s_delay_alu instid0(SALU_CYCLE_1)
	s_or_b32 s3, s3, s6
	s_or_b32 exec_lo, exec_lo, s4
	v_mov_b32_e32 v7, s5
	s_and_saveexec_b32 s4, s3
	s_cbranch_execnz .LBB9_983
	s_branch .LBB9_984
	.section	.rodata,"a",@progbits
	.p2align	6, 0x0
	.amdhsa_kernel _ZN2at6native32elementwise_kernel_manual_unrollILi128ELi4EZNS0_15gpu_kernel_implIZZZNS0_12_GLOBAL__N_137scaled_modified_bessel_k1_kernel_cudaERNS_18TensorIteratorBaseEENKUlvE_clEvENKUlvE_clEvEUldE_EEvS5_RKT_EUlibE_EEviT1_
		.amdhsa_group_segment_fixed_size 0
		.amdhsa_private_segment_fixed_size 0
		.amdhsa_kernarg_size 40
		.amdhsa_user_sgpr_count 15
		.amdhsa_user_sgpr_dispatch_ptr 0
		.amdhsa_user_sgpr_queue_ptr 0
		.amdhsa_user_sgpr_kernarg_segment_ptr 1
		.amdhsa_user_sgpr_dispatch_id 0
		.amdhsa_user_sgpr_private_segment_size 0
		.amdhsa_wavefront_size32 1
		.amdhsa_uses_dynamic_stack 0
		.amdhsa_enable_private_segment 0
		.amdhsa_system_sgpr_workgroup_id_x 1
		.amdhsa_system_sgpr_workgroup_id_y 0
		.amdhsa_system_sgpr_workgroup_id_z 0
		.amdhsa_system_sgpr_workgroup_info 0
		.amdhsa_system_vgpr_workitem_id 0
		.amdhsa_next_free_vgpr 40
		.amdhsa_next_free_sgpr 33
		.amdhsa_reserve_vcc 1
		.amdhsa_float_round_mode_32 0
		.amdhsa_float_round_mode_16_64 0
		.amdhsa_float_denorm_mode_32 3
		.amdhsa_float_denorm_mode_16_64 3
		.amdhsa_dx10_clamp 1
		.amdhsa_ieee_mode 1
		.amdhsa_fp16_overflow 0
		.amdhsa_workgroup_processor_mode 1
		.amdhsa_memory_ordered 1
		.amdhsa_forward_progress 0
		.amdhsa_shared_vgpr_count 0
		.amdhsa_exception_fp_ieee_invalid_op 0
		.amdhsa_exception_fp_denorm_src 0
		.amdhsa_exception_fp_ieee_div_zero 0
		.amdhsa_exception_fp_ieee_overflow 0
		.amdhsa_exception_fp_ieee_underflow 0
		.amdhsa_exception_fp_ieee_inexact 0
		.amdhsa_exception_int_div_zero 0
	.end_amdhsa_kernel
	.section	.text._ZN2at6native32elementwise_kernel_manual_unrollILi128ELi4EZNS0_15gpu_kernel_implIZZZNS0_12_GLOBAL__N_137scaled_modified_bessel_k1_kernel_cudaERNS_18TensorIteratorBaseEENKUlvE_clEvENKUlvE_clEvEUldE_EEvS5_RKT_EUlibE_EEviT1_,"axG",@progbits,_ZN2at6native32elementwise_kernel_manual_unrollILi128ELi4EZNS0_15gpu_kernel_implIZZZNS0_12_GLOBAL__N_137scaled_modified_bessel_k1_kernel_cudaERNS_18TensorIteratorBaseEENKUlvE_clEvENKUlvE_clEvEUldE_EEvS5_RKT_EUlibE_EEviT1_,comdat
.Lfunc_end9:
	.size	_ZN2at6native32elementwise_kernel_manual_unrollILi128ELi4EZNS0_15gpu_kernel_implIZZZNS0_12_GLOBAL__N_137scaled_modified_bessel_k1_kernel_cudaERNS_18TensorIteratorBaseEENKUlvE_clEvENKUlvE_clEvEUldE_EEvS5_RKT_EUlibE_EEviT1_, .Lfunc_end9-_ZN2at6native32elementwise_kernel_manual_unrollILi128ELi4EZNS0_15gpu_kernel_implIZZZNS0_12_GLOBAL__N_137scaled_modified_bessel_k1_kernel_cudaERNS_18TensorIteratorBaseEENKUlvE_clEvENKUlvE_clEvEUldE_EEvS5_RKT_EUlibE_EEviT1_
                                        ; -- End function
	.section	.AMDGPU.csdata,"",@progbits
; Kernel info:
; codeLenInByte = 18460
; NumSgprs: 35
; NumVgprs: 40
; ScratchSize: 0
; MemoryBound: 0
; FloatMode: 240
; IeeeMode: 1
; LDSByteSize: 0 bytes/workgroup (compile time only)
; SGPRBlocks: 4
; VGPRBlocks: 4
; NumSGPRsForWavesPerEU: 35
; NumVGPRsForWavesPerEU: 40
; Occupancy: 16
; WaveLimiterHint : 0
; COMPUTE_PGM_RSRC2:SCRATCH_EN: 0
; COMPUTE_PGM_RSRC2:USER_SGPR: 15
; COMPUTE_PGM_RSRC2:TRAP_HANDLER: 0
; COMPUTE_PGM_RSRC2:TGID_X_EN: 1
; COMPUTE_PGM_RSRC2:TGID_Y_EN: 0
; COMPUTE_PGM_RSRC2:TGID_Z_EN: 0
; COMPUTE_PGM_RSRC2:TIDIG_COMP_CNT: 0
	.text
	.p2align	2                               ; -- Begin function _ZN2at6native6invokeIZZZNS0_12_GLOBAL__N_137scaled_modified_bessel_k1_kernel_cudaERNS_18TensorIteratorBaseEENKUlvE_clEvENKUlvE_clEvEUldE_j15function_traitsIS7_EEENT1_11result_typeERKT_PrKPcPKT0_PKN3c1010ScalarTypeEi
	.type	_ZN2at6native6invokeIZZZNS0_12_GLOBAL__N_137scaled_modified_bessel_k1_kernel_cudaERNS_18TensorIteratorBaseEENKUlvE_clEvENKUlvE_clEvEUldE_j15function_traitsIS7_EEENT1_11result_typeERKT_PrKPcPKT0_PKN3c1010ScalarTypeEi,@function
_ZN2at6native6invokeIZZZNS0_12_GLOBAL__N_137scaled_modified_bessel_k1_kernel_cudaERNS_18TensorIteratorBaseEENKUlvE_clEvENKUlvE_clEvEUldE_j15function_traitsIS7_EEENT1_11result_typeERKT_PrKPcPKT0_PKN3c1010ScalarTypeEi: ; @_ZN2at6native6invokeIZZZNS0_12_GLOBAL__N_137scaled_modified_bessel_k1_kernel_cudaERNS_18TensorIteratorBaseEENKUlvE_clEvENKUlvE_clEvEUldE_j15function_traitsIS7_EEENT1_11result_typeERKT_PrKPcPKT0_PKN3c1010ScalarTypeEi
; %bb.0:
	s_waitcnt vmcnt(0) expcnt(0) lgkmcnt(0)
	v_add_co_u32 v0, vcc_lo, v0, v2
	v_and_b32_e32 v4, 0xff, v3
	v_add_co_ci_u32_e32 v1, vcc_lo, 0, v1, vcc_lo
	s_mov_b32 s0, 0
                                        ; implicit-def: $vgpr2_vgpr3
	s_mov_b32 s1, exec_lo
	s_delay_alu instid0(VALU_DEP_2)
	v_cmpx_lt_i16_e32 10, v4
	s_xor_b32 s2, exec_lo, s1
	s_cbranch_execz .LBB10_7
; %bb.1:
	s_mov_b32 s3, 0
	s_mov_b32 s6, 0
	;; [unrolled: 1-line block ×3, first 2 shown]
                                        ; implicit-def: $vgpr2_vgpr3
	s_mov_b32 s0, exec_lo
	v_cmpx_lt_i16_e32 25, v4
	s_xor_b32 s5, exec_lo, s0
	s_cbranch_execnz .LBB10_64
; %bb.2:
	s_and_not1_saveexec_b32 s5, s5
	s_cbranch_execnz .LBB10_99
.LBB10_3:
	s_or_b32 exec_lo, exec_lo, s5
	s_and_saveexec_b32 s0, s6
	s_cbranch_execnz .LBB10_126
.LBB10_4:
	s_or_b32 exec_lo, exec_lo, s0
	s_and_saveexec_b32 s0, s3
	s_delay_alu instid0(SALU_CYCLE_1)
	s_xor_b32 s0, exec_lo, s0
	s_cbranch_execz .LBB10_6
.LBB10_5:
	flat_load_u8 v0, v[0:1]
	v_mov_b32_e32 v2, 0
	s_or_b32 s4, s4, exec_lo
	s_waitcnt vmcnt(0) lgkmcnt(0)
	v_cmp_ne_u16_e32 vcc_lo, 0, v0
	v_cndmask_b32_e64 v3, 0, 0x3ff00000, vcc_lo
.LBB10_6:
	s_or_b32 exec_lo, exec_lo, s0
	s_delay_alu instid0(SALU_CYCLE_1)
	s_and_b32 s0, s4, exec_lo
                                        ; implicit-def: $vgpr4
                                        ; implicit-def: $vgpr0_vgpr1
.LBB10_7:
	s_and_not1_saveexec_b32 s1, s2
	s_cbranch_execnz .LBB10_10
; %bb.8:
	s_or_b32 exec_lo, exec_lo, s1
                                        ; implicit-def: $vgpr0_vgpr1
	s_and_saveexec_b32 s2, s0
	s_cbranch_execnz .LBB10_51
.LBB10_9:
	s_or_b32 exec_lo, exec_lo, s2
	s_waitcnt vmcnt(0) lgkmcnt(0)
	s_setpc_b64 s[30:31]
.LBB10_10:
	s_mov_b32 s2, exec_lo
                                        ; implicit-def: $vgpr2_vgpr3
	v_cmpx_lt_i16_e32 4, v4
	s_xor_b32 s2, exec_lo, s2
	s_cbranch_execz .LBB10_32
; %bb.11:
	s_mov_b32 s3, exec_lo
                                        ; implicit-def: $vgpr2_vgpr3
	v_cmpx_lt_i16_e32 7, v4
	s_xor_b32 s3, exec_lo, s3
	s_cbranch_execz .LBB10_21
; %bb.12:
	s_mov_b32 s4, exec_lo
                                        ; implicit-def: $vgpr2_vgpr3
	v_cmpx_lt_i16_e32 8, v4
	s_xor_b32 s4, exec_lo, s4
	s_cbranch_execz .LBB10_18
; %bb.13:
	s_mov_b32 s5, exec_lo
                                        ; implicit-def: $vgpr2_vgpr3
	v_cmpx_lt_i16_e32 9, v4
	s_xor_b32 s5, exec_lo, s5
	s_cbranch_execz .LBB10_15
; %bb.14:
	flat_load_b64 v[2:3], v[0:1]
                                        ; implicit-def: $vgpr0_vgpr1
.LBB10_15:
	s_and_not1_saveexec_b32 s5, s5
	s_cbranch_execz .LBB10_17
; %bb.16:
	flat_load_b32 v0, v[0:1]
	s_waitcnt vmcnt(0) lgkmcnt(0)
	v_cvt_f64_f32_e32 v[2:3], v0
.LBB10_17:
	s_or_b32 exec_lo, exec_lo, s5
                                        ; implicit-def: $vgpr0_vgpr1
.LBB10_18:
	s_and_not1_saveexec_b32 s4, s4
	s_cbranch_execz .LBB10_20
; %bb.19:
	flat_load_b32 v0, v[0:1]
	s_waitcnt vmcnt(0) lgkmcnt(0)
	v_cvt_f32_f16_e32 v0, v0
	s_delay_alu instid0(VALU_DEP_1)
	v_cvt_f64_f32_e32 v[2:3], v0
.LBB10_20:
	s_or_b32 exec_lo, exec_lo, s4
                                        ; implicit-def: $vgpr0_vgpr1
                                        ; implicit-def: $vgpr4
.LBB10_21:
	s_and_not1_saveexec_b32 s3, s3
	s_cbranch_execz .LBB10_31
; %bb.22:
	s_mov_b32 s4, exec_lo
                                        ; implicit-def: $vgpr2_vgpr3
	v_cmpx_lt_i16_e32 5, v4
	s_xor_b32 s4, exec_lo, s4
	s_cbranch_execz .LBB10_28
; %bb.23:
	s_mov_b32 s5, exec_lo
                                        ; implicit-def: $vgpr2_vgpr3
	v_cmpx_lt_i16_e32 6, v4
	s_xor_b32 s5, exec_lo, s5
	s_cbranch_execz .LBB10_25
; %bb.24:
	s_waitcnt vmcnt(0) lgkmcnt(0)
	flat_load_b64 v[2:3], v[0:1]
                                        ; implicit-def: $vgpr0_vgpr1
.LBB10_25:
	s_and_not1_saveexec_b32 s5, s5
	s_cbranch_execz .LBB10_27
; %bb.26:
	flat_load_b32 v0, v[0:1]
	s_waitcnt vmcnt(0) lgkmcnt(0)
	v_cvt_f64_f32_e32 v[2:3], v0
.LBB10_27:
	s_or_b32 exec_lo, exec_lo, s5
                                        ; implicit-def: $vgpr0_vgpr1
.LBB10_28:
	s_and_not1_saveexec_b32 s4, s4
	s_cbranch_execz .LBB10_30
; %bb.29:
	flat_load_u16 v0, v[0:1]
	s_waitcnt vmcnt(0) lgkmcnt(0)
	v_cvt_f32_f16_e32 v0, v0
	s_delay_alu instid0(VALU_DEP_1)
	v_cvt_f64_f32_e32 v[2:3], v0
.LBB10_30:
	s_or_b32 exec_lo, exec_lo, s4
.LBB10_31:
	s_delay_alu instid0(SALU_CYCLE_1)
	s_or_b32 exec_lo, exec_lo, s3
                                        ; implicit-def: $vgpr4
                                        ; implicit-def: $vgpr0_vgpr1
.LBB10_32:
	s_and_not1_saveexec_b32 s2, s2
	s_cbranch_execz .LBB10_50
; %bb.33:
	s_mov_b32 s3, exec_lo
                                        ; implicit-def: $vgpr2_vgpr3
	v_cmpx_lt_i16_e32 1, v4
	s_xor_b32 s3, exec_lo, s3
	s_cbranch_execz .LBB10_43
; %bb.34:
	s_mov_b32 s4, exec_lo
                                        ; implicit-def: $vgpr2_vgpr3
	v_cmpx_lt_i16_e32 2, v4
	s_xor_b32 s4, exec_lo, s4
	;; [unrolled: 6-line block ×3, first 2 shown]
	s_cbranch_execz .LBB10_37
; %bb.36:
	flat_load_b64 v[0:1], v[0:1]
	s_waitcnt vmcnt(0) lgkmcnt(0)
	v_cvt_f64_i32_e32 v[1:2], v1
	v_cvt_f64_u32_e32 v[3:4], v0
	s_delay_alu instid0(VALU_DEP_2) | instskip(NEXT) | instid1(VALU_DEP_1)
	v_ldexp_f64 v[1:2], v[1:2], 32
	v_add_f64 v[2:3], v[1:2], v[3:4]
                                        ; implicit-def: $vgpr0_vgpr1
.LBB10_37:
	s_and_not1_saveexec_b32 s5, s5
	s_cbranch_execz .LBB10_39
; %bb.38:
	flat_load_b32 v0, v[0:1]
	s_waitcnt vmcnt(0) lgkmcnt(0)
	v_cvt_f64_i32_e32 v[2:3], v0
.LBB10_39:
	s_or_b32 exec_lo, exec_lo, s5
                                        ; implicit-def: $vgpr0_vgpr1
.LBB10_40:
	s_and_not1_saveexec_b32 s4, s4
	s_cbranch_execz .LBB10_42
; %bb.41:
	flat_load_i16 v0, v[0:1]
	s_waitcnt vmcnt(0) lgkmcnt(0)
	v_cvt_f64_i32_e32 v[2:3], v0
.LBB10_42:
	s_or_b32 exec_lo, exec_lo, s4
                                        ; implicit-def: $vgpr0_vgpr1
                                        ; implicit-def: $vgpr4
.LBB10_43:
	s_and_not1_saveexec_b32 s3, s3
	s_cbranch_execz .LBB10_49
; %bb.44:
	s_mov_b32 s4, exec_lo
                                        ; implicit-def: $vgpr2_vgpr3
	v_cmpx_lt_i16_e32 0, v4
	s_xor_b32 s4, exec_lo, s4
	s_cbranch_execz .LBB10_46
; %bb.45:
	flat_load_i8 v0, v[0:1]
	s_waitcnt vmcnt(0) lgkmcnt(0)
	v_cvt_f64_i32_e32 v[2:3], v0
                                        ; implicit-def: $vgpr0_vgpr1
.LBB10_46:
	s_and_not1_saveexec_b32 s4, s4
	s_cbranch_execz .LBB10_48
; %bb.47:
	flat_load_u8 v0, v[0:1]
	s_waitcnt vmcnt(0) lgkmcnt(0)
	v_cvt_f64_u32_e32 v[2:3], v0
.LBB10_48:
	s_or_b32 exec_lo, exec_lo, s4
.LBB10_49:
	s_delay_alu instid0(SALU_CYCLE_1)
	s_or_b32 exec_lo, exec_lo, s3
.LBB10_50:
	s_delay_alu instid0(SALU_CYCLE_1) | instskip(NEXT) | instid1(SALU_CYCLE_1)
	s_or_b32 exec_lo, exec_lo, s2
	s_or_b32 s0, s0, exec_lo
	s_or_b32 exec_lo, exec_lo, s1
                                        ; implicit-def: $vgpr0_vgpr1
	s_and_saveexec_b32 s2, s0
	s_cbranch_execz .LBB10_9
.LBB10_51:
	v_mov_b32_e32 v0, 0
	v_mov_b32_e32 v1, 0x7ff00000
	s_mov_b32 s3, exec_lo
	s_waitcnt vmcnt(0) lgkmcnt(0)
	s_delay_alu instid0(VALU_DEP_3)
	v_cmpx_neq_f64_e32 0, v[2:3]
	s_cbranch_execz .LBB10_63
; %bb.52:
	v_mov_b32_e32 v0, 0
	v_mov_b32_e32 v1, 0x7ff80000
	s_mov_b32 s4, exec_lo
	v_cmpx_ngt_f64_e32 0, v[2:3]
	s_cbranch_execz .LBB10_62
; %bb.53:
                                        ; implicit-def: $vgpr0_vgpr1
	s_mov_b32 s0, exec_lo
	v_cmpx_ge_f64_e32 2.0, v[2:3]
	s_xor_b32 s5, exec_lo, s0
	s_cbranch_execz .LBB10_59
; %bb.54:
	v_mul_f64 v[0:1], v[2:3], 0.5
	s_mov_b32 s0, exec_lo
                                        ; implicit-def: $vgpr6_vgpr7
                                        ; implicit-def: $vgpr4_vgpr5
	v_cmpx_ge_f64_e32 0x40200000, v[2:3]
	s_xor_b32 s0, exec_lo, s0
	s_cbranch_execz .LBB10_56
; %bb.55:
	s_delay_alu instid0(VALU_DEP_2)
	v_add_f64 v[4:5], v[0:1], -2.0
	s_mov_b32 s6, 0xc38a0576
	s_mov_b32 s7, 0xbc7857d0
	;; [unrolled: 1-line block ×4, first 2 shown]
	v_cmp_nlt_f64_e32 vcc_lo, 0x40900000, v[2:3]
	s_delay_alu instid0(VALU_DEP_2) | instskip(SKIP_3) | instid1(VALU_DEP_1)
	v_fma_f64 v[6:7], v[4:5], s[8:9], s[6:7]
	s_mov_b32 s9, 0xbc499f2a
	s_mov_b32 s6, 0xe593bfac
	;; [unrolled: 1-line block ×3, first 2 shown]
	v_fma_f64 v[8:9], v[4:5], v[6:7], s[8:9]
	s_mov_b32 s8, 0x6a5dcb37
	s_mov_b32 s9, 0x3e5ade15
	s_delay_alu instid0(VALU_DEP_1) | instskip(SKIP_2) | instid1(VALU_DEP_1)
	v_add_f64 v[8:9], v[8:9], s[6:7]
	s_mov_b32 s6, 0x7e0d1573
	s_mov_b32 s7, 0xbcd3eaaa
	v_fma_f64 v[6:7], v[4:5], v[8:9], -v[6:7]
	s_delay_alu instid0(VALU_DEP_1) | instskip(SKIP_2) | instid1(VALU_DEP_1)
	v_add_f64 v[6:7], v[6:7], s[6:7]
	s_mov_b32 s6, 0x615290c
	s_mov_b32 s7, 0x3d011d7f
	v_fma_f64 v[8:9], v[4:5], v[6:7], -v[8:9]
	;; [unrolled: 5-line block ×19, first 2 shown]
	s_delay_alu instid0(VALU_DEP_1) | instskip(SKIP_2) | instid1(SALU_CYCLE_1)
	v_add_f64 v[6:7], v[6:7], s[6:7]
	s_mov_b32 s6, 0x652b82fe
	s_mov_b32 s7, 0x3ff71547
	v_mul_f64 v[10:11], v[2:3], s[6:7]
	s_mov_b32 s6, 0x49d3a1b4
	s_mov_b32 s7, 0x3f710653
	s_delay_alu instid0(VALU_DEP_2) | instskip(NEXT) | instid1(VALU_DEP_2)
	v_fma_f64 v[8:9], v[4:5], v[6:7], -v[8:9]
	v_rndne_f64_e32 v[10:11], v[10:11]
	s_delay_alu instid0(VALU_DEP_2)
	v_add_f64 v[8:9], v[8:9], s[6:7]
	s_mov_b32 s6, 0xfefa39ef
	s_mov_b32 s7, 0xbfe62e42
	s_delay_alu instid0(VALU_DEP_2) | instid1(SALU_CYCLE_1)
	v_fma_f64 v[12:13], v[10:11], s[6:7], v[2:3]
	s_mov_b32 s6, 0x7913a26a
	s_mov_b32 s7, 0xbf85a29f
	s_delay_alu instid0(VALU_DEP_2) | instskip(NEXT) | instid1(VALU_DEP_1)
	v_fma_f64 v[6:7], v[4:5], v[8:9], -v[6:7]
	v_add_f64 v[6:7], v[6:7], s[6:7]
	s_mov_b32 s6, 0x3b39803f
	s_mov_b32 s7, 0xbc7abc9e
	s_delay_alu instid0(VALU_DEP_3) | instid1(SALU_CYCLE_1)
	v_fma_f64 v[12:13], v[10:11], s[6:7], v[12:13]
	s_mov_b32 s6, 0xfca7ab0c
	s_mov_b32 s7, 0x3e928af3
	s_delay_alu instid0(VALU_DEP_2) | instskip(NEXT) | instid1(VALU_DEP_2)
	v_fma_f64 v[8:9], v[4:5], v[6:7], -v[8:9]
	v_fma_f64 v[14:15], v[12:13], s[8:9], s[6:7]
	s_mov_b32 s6, 0xe7bb2349
	s_mov_b32 s7, 0x3f9951e3
	s_delay_alu instid0(VALU_DEP_2) | instid1(SALU_CYCLE_1)
	v_add_f64 v[8:9], v[8:9], s[6:7]
	s_mov_b32 s6, 0x623fde64
	s_mov_b32 s7, 0x3ec71dee
	s_delay_alu instid0(VALU_DEP_2) | instid1(SALU_CYCLE_1)
	v_fma_f64 v[14:15], v[12:13], v[14:15], s[6:7]
	s_mov_b32 s6, 0x7c89e6b0
	s_mov_b32 s7, 0x3efa0199
	s_delay_alu instid0(VALU_DEP_2) | instskip(NEXT) | instid1(VALU_DEP_2)
	v_fma_f64 v[6:7], v[4:5], v[8:9], -v[6:7]
	v_fma_f64 v[14:15], v[12:13], v[14:15], s[6:7]
	s_mov_b32 s6, 0x537c9ebc
	s_mov_b32 s7, 0xbfab1bbc
	s_delay_alu instid0(VALU_DEP_2) | instid1(SALU_CYCLE_1)
	v_add_f64 v[6:7], v[6:7], s[6:7]
	s_mov_b32 s6, 0x14761f6e
	s_mov_b32 s7, 0x3f2a01a0
	s_delay_alu instid0(VALU_DEP_2) | instid1(SALU_CYCLE_1)
	;; [unrolled: 13-line block ×4, first 2 shown]
	v_fma_f64 v[14:15], v[12:13], v[14:15], s[6:7]
	s_mov_b32 s6, 11
	s_mov_b32 s7, 0x3fe00000
	s_delay_alu instid0(VALU_DEP_2) | instskip(NEXT) | instid1(VALU_DEP_2)
	v_fma_f64 v[4:5], v[4:5], v[6:7], -v[8:9]
	v_fma_f64 v[6:7], v[12:13], v[14:15], s[6:7]
	s_mov_b32 s6, 0x724a7ffa
	s_mov_b32 s7, 0x3fd02a63
	s_delay_alu instid0(VALU_DEP_2) | instid1(SALU_CYCLE_1)
	v_add_f64 v[4:5], v[4:5], s[6:7]
	s_delay_alu instid0(VALU_DEP_2) | instskip(NEXT) | instid1(VALU_DEP_2)
	v_fma_f64 v[6:7], v[12:13], v[6:7], 1.0
	v_add_f64 v[4:5], v[4:5], -v[8:9]
	v_cvt_i32_f64_e32 v8, v[10:11]
	s_delay_alu instid0(VALU_DEP_3) | instskip(NEXT) | instid1(VALU_DEP_3)
	v_fma_f64 v[6:7], v[12:13], v[6:7], 1.0
	v_mul_f64 v[4:5], v[4:5], 0.5
	s_delay_alu instid0(VALU_DEP_2) | instskip(NEXT) | instid1(VALU_DEP_2)
	v_ldexp_f64 v[6:7], v[6:7], v8
	v_mul_f64 v[8:9], v[2:3], v[4:5]
	s_delay_alu instid0(VALU_DEP_2) | instskip(NEXT) | instid1(VALU_DEP_3)
	v_cndmask_b32_e32 v5, 0x7ff00000, v7, vcc_lo
	v_cndmask_b32_e32 v4, 0, v6, vcc_lo
	s_delay_alu instid0(VALU_DEP_1)
	v_mul_f64 v[6:7], v[4:5], v[8:9]
.LBB10_56:
	s_and_not1_saveexec_b32 s1, s0
	s_cbranch_execz .LBB10_58
; %bb.57:
	v_div_scale_f64 v[4:5], null, v[2:3], v[2:3], 0x40400000
	v_div_scale_f64 v[10:11], vcc_lo, 0x40400000, v[2:3], 0x40400000
	s_mov_b32 s6, 0xea87b950
	s_mov_b32 s7, 0x3c545b8a
	;; [unrolled: 1-line block ×4, first 2 shown]
	v_cmp_nlt_f64_e64 s0, 0x40900000, v[2:3]
	s_delay_alu instid0(VALU_DEP_3) | instskip(SKIP_2) | instid1(VALU_DEP_1)
	v_rcp_f64_e32 v[6:7], v[4:5]
	s_waitcnt_depctr 0xfff
	v_fma_f64 v[8:9], -v[4:5], v[6:7], 1.0
	v_fma_f64 v[6:7], v[6:7], v[8:9], v[6:7]
	s_delay_alu instid0(VALU_DEP_1) | instskip(NEXT) | instid1(VALU_DEP_1)
	v_fma_f64 v[8:9], -v[4:5], v[6:7], 1.0
	v_fma_f64 v[6:7], v[6:7], v[8:9], v[6:7]
	s_delay_alu instid0(VALU_DEP_1) | instskip(NEXT) | instid1(VALU_DEP_1)
	v_mul_f64 v[8:9], v[10:11], v[6:7]
	v_fma_f64 v[4:5], -v[4:5], v[8:9], v[10:11]
	s_delay_alu instid0(VALU_DEP_1) | instskip(SKIP_1) | instid1(VALU_DEP_2)
	v_div_fmas_f64 v[4:5], v[4:5], v[6:7], v[8:9]
	v_cmp_gt_f64_e32 vcc_lo, 0x10000000, v[2:3]
	v_div_fixup_f64 v[4:5], v[4:5], v[2:3], 0x40400000
	v_cndmask_b32_e64 v16, 0, 1, vcc_lo
	s_delay_alu instid0(VALU_DEP_1) | instskip(NEXT) | instid1(VALU_DEP_1)
	v_lshlrev_b32_e32 v16, 8, v16
	v_ldexp_f64 v[16:17], v[2:3], v16
	s_delay_alu instid0(VALU_DEP_4) | instskip(NEXT) | instid1(VALU_DEP_2)
	v_add_f64 v[4:5], v[4:5], -2.0
	v_rsq_f64_e32 v[18:19], v[16:17]
	s_delay_alu instid0(VALU_DEP_1)
	v_fma_f64 v[6:7], v[4:5], s[8:9], s[6:7]
	s_mov_b32 s9, 0xbc61556d
	s_mov_b32 s6, 0xb2532277
	;; [unrolled: 1-line block ×3, first 2 shown]
	s_waitcnt_depctr 0xfff
	v_mul_f64 v[20:21], v[16:17], v[18:19]
	v_mul_f64 v[18:19], v[18:19], 0.5
	v_fma_f64 v[8:9], v[4:5], v[6:7], s[8:9]
	s_mov_b32 s8, 0x6a5dcb37
	s_mov_b32 s9, 0x3e5ade15
	s_delay_alu instid0(VALU_DEP_2) | instskip(NEXT) | instid1(VALU_DEP_2)
	v_fma_f64 v[22:23], -v[18:19], v[20:21], 0.5
	v_add_f64 v[8:9], v[8:9], s[6:7]
	s_mov_b32 s6, 0x9c773320
	s_mov_b32 s7, 0xbc82806c
	s_delay_alu instid0(VALU_DEP_2) | instskip(SKIP_1) | instid1(VALU_DEP_3)
	v_fma_f64 v[20:21], v[20:21], v[22:23], v[20:21]
	v_fma_f64 v[18:19], v[18:19], v[22:23], v[18:19]
	v_fma_f64 v[6:7], v[4:5], v[8:9], -v[6:7]
	s_delay_alu instid0(VALU_DEP_3) | instskip(NEXT) | instid1(VALU_DEP_2)
	v_fma_f64 v[22:23], -v[20:21], v[20:21], v[16:17]
	v_add_f64 v[6:7], v[6:7], s[6:7]
	s_mov_b32 s6, 0xfceb588a
	s_mov_b32 s7, 0x3cb55915
	s_delay_alu instid0(VALU_DEP_1) | instskip(NEXT) | instid1(VALU_DEP_1)
	v_fma_f64 v[8:9], v[4:5], v[6:7], -v[8:9]
	v_add_f64 v[8:9], v[8:9], s[6:7]
	s_mov_b32 s6, 0x5f04a2d1
	s_mov_b32 s7, 0x3cb7d68e
	s_delay_alu instid0(VALU_DEP_1) | instskip(NEXT) | instid1(VALU_DEP_1)
	v_fma_f64 v[6:7], v[4:5], v[8:9], -v[6:7]
	;; [unrolled: 5-line block ×14, first 2 shown]
	v_add_f64 v[6:7], v[6:7], s[6:7]
	s_mov_b32 s6, 0x652b82fe
	s_mov_b32 s7, 0x3ff71547
	s_delay_alu instid0(SALU_CYCLE_1) | instskip(SKIP_2) | instid1(VALU_DEP_2)
	v_mul_f64 v[10:11], v[2:3], s[6:7]
	s_mov_b32 s6, 0x9ad53528
	s_mov_b32 s7, 0xbe30790b
	v_fma_f64 v[8:9], v[4:5], v[6:7], -v[8:9]
	s_delay_alu instid0(VALU_DEP_2) | instskip(NEXT) | instid1(VALU_DEP_2)
	v_rndne_f64_e32 v[10:11], v[10:11]
	v_add_f64 v[8:9], v[8:9], s[6:7]
	s_mov_b32 s6, 0xfefa39ef
	s_mov_b32 s7, 0xbfe62e42
	s_delay_alu instid0(VALU_DEP_2) | instid1(SALU_CYCLE_1)
	v_fma_f64 v[12:13], v[10:11], s[6:7], v[2:3]
	s_mov_b32 s6, 0x3b39803f
	s_mov_b32 s7, 0xbc7abc9e
	s_delay_alu instid0(VALU_DEP_2) | instskip(NEXT) | instid1(VALU_DEP_2)
	v_fma_f64 v[6:7], v[4:5], v[8:9], -v[6:7]
	v_fma_f64 v[12:13], v[10:11], s[6:7], v[12:13]
	s_mov_b32 s6, 0x94bb46c1
	s_mov_b32 s7, 0xbe5c4153
	s_delay_alu instid0(VALU_DEP_2) | instid1(SALU_CYCLE_1)
	v_add_f64 v[6:7], v[6:7], s[6:7]
	s_mov_b32 s6, 0xfca7ab0c
	s_mov_b32 s7, 0x3e928af3
	s_delay_alu instid0(VALU_DEP_2) | instid1(SALU_CYCLE_1)
	v_fma_f64 v[14:15], v[12:13], s[8:9], s[6:7]
	s_mov_b32 s6, 0x623fde64
	s_mov_b32 s7, 0x3ec71dee
	s_delay_alu instid0(VALU_DEP_2) | instskip(NEXT) | instid1(VALU_DEP_2)
	v_fma_f64 v[8:9], v[4:5], v[6:7], -v[8:9]
	v_fma_f64 v[14:15], v[12:13], v[14:15], s[6:7]
	s_mov_b32 s6, 0x2e9e5443
	s_mov_b32 s7, 0xbe90dbfd
	s_delay_alu instid0(VALU_DEP_2) | instid1(SALU_CYCLE_1)
	;; [unrolled: 13-line block ×5, first 2 shown]
	v_add_f64 v[6:7], v[6:7], s[6:7]
	s_mov_b32 s6, 11
	s_mov_b32 s7, 0x3fe00000
	s_delay_alu instid0(VALU_DEP_2) | instid1(SALU_CYCLE_1)
	v_fma_f64 v[14:15], v[12:13], v[14:15], s[6:7]
	s_mov_b32 s6, 0xb55b1514
	s_mov_b32 s7, 0x3fe8ea18
	s_delay_alu instid0(VALU_DEP_2) | instskip(SKIP_2) | instid1(VALU_DEP_4)
	v_fma_f64 v[4:5], v[4:5], v[6:7], -v[8:9]
	v_fma_f64 v[6:7], v[22:23], v[18:19], v[20:21]
	v_cvt_i32_f64_e32 v20, v[10:11]
	v_fma_f64 v[14:15], v[12:13], v[14:15], 1.0
	s_delay_alu instid0(VALU_DEP_4) | instskip(NEXT) | instid1(VALU_DEP_4)
	v_add_f64 v[4:5], v[4:5], s[6:7]
	v_fma_f64 v[10:11], -v[6:7], v[6:7], v[16:17]
	s_delay_alu instid0(VALU_DEP_3) | instskip(NEXT) | instid1(VALU_DEP_3)
	v_fma_f64 v[12:13], v[12:13], v[14:15], 1.0
	v_add_f64 v[4:5], v[4:5], -v[8:9]
	s_delay_alu instid0(VALU_DEP_3) | instskip(NEXT) | instid1(VALU_DEP_3)
	v_fma_f64 v[6:7], v[10:11], v[18:19], v[6:7]
	v_ldexp_f64 v[8:9], v[12:13], v20
	s_delay_alu instid0(VALU_DEP_3) | instskip(SKIP_2) | instid1(VALU_DEP_4)
	v_mul_f64 v[10:11], v[4:5], 0.5
	v_cndmask_b32_e64 v4, 0, 0xffffff80, vcc_lo
	v_cmp_class_f64_e64 vcc_lo, v[16:17], 0x260
	v_cndmask_b32_e64 v5, 0x7ff00000, v9, s0
	s_delay_alu instid0(VALU_DEP_3) | instskip(SKIP_1) | instid1(VALU_DEP_1)
	v_ldexp_f64 v[6:7], v[6:7], v4
	v_cndmask_b32_e64 v4, 0, v8, s0
	v_mul_f64 v[8:9], v[4:5], v[10:11]
	s_delay_alu instid0(VALU_DEP_3) | instskip(NEXT) | instid1(VALU_DEP_1)
	v_dual_cndmask_b32 v7, v7, v17 :: v_dual_cndmask_b32 v6, v6, v16
	v_div_scale_f64 v[10:11], null, v[6:7], v[6:7], v[8:9]
	s_delay_alu instid0(VALU_DEP_1) | instskip(SKIP_2) | instid1(VALU_DEP_1)
	v_rcp_f64_e32 v[12:13], v[10:11]
	s_waitcnt_depctr 0xfff
	v_fma_f64 v[14:15], -v[10:11], v[12:13], 1.0
	v_fma_f64 v[12:13], v[12:13], v[14:15], v[12:13]
	s_delay_alu instid0(VALU_DEP_1) | instskip(NEXT) | instid1(VALU_DEP_1)
	v_fma_f64 v[14:15], -v[10:11], v[12:13], 1.0
	v_fma_f64 v[12:13], v[12:13], v[14:15], v[12:13]
	v_div_scale_f64 v[14:15], vcc_lo, v[8:9], v[6:7], v[8:9]
	s_delay_alu instid0(VALU_DEP_1) | instskip(NEXT) | instid1(VALU_DEP_1)
	v_mul_f64 v[16:17], v[14:15], v[12:13]
	v_fma_f64 v[10:11], -v[10:11], v[16:17], v[14:15]
	s_delay_alu instid0(VALU_DEP_1) | instskip(NEXT) | instid1(VALU_DEP_1)
	v_div_fmas_f64 v[10:11], v[10:11], v[12:13], v[16:17]
	v_div_fixup_f64 v[6:7], v[10:11], v[6:7], v[8:9]
.LBB10_58:
	s_or_b32 exec_lo, exec_lo, s1
	s_delay_alu instid0(VALU_DEP_2)
	v_frexp_mant_f64_e32 v[8:9], v[0:1]
	s_mov_b32 s1, 0x3fe55555
	s_mov_b32 s0, 0x55555555
	v_mov_b32_e32 v10, 0
	v_fma_f64 v[22:23], v[2:3], v[2:3], -2.0
	s_mov_b32 s6, 0x7a0399e0
	s_mov_b32 s7, 0xbce5dd51
	s_mov_b32 s9, 0xbc603228
	s_mov_b32 s8, 0x3d3cda56
	v_frexp_exp_i32_f64_e32 v26, v[0:1]
	s_delay_alu instid0(VALU_DEP_4) | instskip(SKIP_1) | instid1(VALU_DEP_3)
	v_cmp_gt_f64_e32 vcc_lo, s[0:1], v[8:9]
	s_mov_b32 s0, 0x55555780
	v_fma_f64 v[24:25], v[22:23], s[8:9], s[6:7]
	s_mov_b32 s9, 0x3c603228
	s_mov_b32 s6, 0xddd0e045
	;; [unrolled: 1-line block ×3, first 2 shown]
	v_cndmask_b32_e64 v11, 0x3ff00000, 2.0, vcc_lo
	s_delay_alu instid0(VALU_DEP_1) | instskip(NEXT) | instid1(VALU_DEP_1)
	v_mul_f64 v[8:9], v[8:9], v[10:11]
	v_add_f64 v[10:11], v[8:9], 1.0
	v_add_f64 v[16:17], v[8:9], -1.0
	s_delay_alu instid0(VALU_DEP_2) | instskip(SKIP_1) | instid1(VALU_DEP_1)
	v_rcp_f64_e32 v[12:13], v[10:11]
	v_add_f64 v[18:19], v[10:11], -1.0
	v_add_f64 v[8:9], v[8:9], -v[18:19]
	s_waitcnt_depctr 0xfff
	v_fma_f64 v[14:15], -v[10:11], v[12:13], 1.0
	s_delay_alu instid0(VALU_DEP_1) | instskip(NEXT) | instid1(VALU_DEP_1)
	v_fma_f64 v[12:13], v[14:15], v[12:13], v[12:13]
	v_fma_f64 v[14:15], -v[10:11], v[12:13], 1.0
	s_delay_alu instid0(VALU_DEP_1) | instskip(NEXT) | instid1(VALU_DEP_1)
	v_fma_f64 v[12:13], v[14:15], v[12:13], v[12:13]
	v_mul_f64 v[14:15], v[16:17], v[12:13]
	s_delay_alu instid0(VALU_DEP_1) | instskip(NEXT) | instid1(VALU_DEP_1)
	v_mul_f64 v[20:21], v[10:11], v[14:15]
	v_fma_f64 v[10:11], v[14:15], v[10:11], -v[20:21]
	s_delay_alu instid0(VALU_DEP_1) | instskip(NEXT) | instid1(VALU_DEP_1)
	v_fma_f64 v[8:9], v[14:15], v[8:9], v[10:11]
	v_add_f64 v[10:11], v[20:21], v[8:9]
	s_delay_alu instid0(VALU_DEP_1) | instskip(SKIP_1) | instid1(VALU_DEP_2)
	v_add_f64 v[18:19], v[16:17], -v[10:11]
	v_add_f64 v[20:21], v[10:11], -v[20:21]
	;; [unrolled: 1-line block ×3, first 2 shown]
	s_delay_alu instid0(VALU_DEP_2) | instskip(NEXT) | instid1(VALU_DEP_2)
	v_add_f64 v[8:9], v[20:21], -v[8:9]
	v_add_f64 v[10:11], v[16:17], -v[10:11]
	v_fma_f64 v[16:17], v[22:23], v[24:25], s[8:9]
	s_mov_b32 s8, 0xbf559e2b
	s_mov_b32 s9, 0x3fc3ab76
	s_delay_alu instid0(VALU_DEP_2) | instskip(NEXT) | instid1(VALU_DEP_2)
	v_add_f64 v[8:9], v[8:9], v[10:11]
	v_add_f64 v[10:11], v[16:17], s[6:7]
	s_mov_b32 s6, 0xb84626ca
	s_mov_b32 s7, 0xbde3663b
	s_delay_alu instid0(VALU_DEP_2) | instskip(NEXT) | instid1(VALU_DEP_2)
	v_add_f64 v[8:9], v[18:19], v[8:9]
	v_fma_f64 v[16:17], v[22:23], v[10:11], -v[24:25]
	s_delay_alu instid0(VALU_DEP_2) | instskip(NEXT) | instid1(VALU_DEP_2)
	v_mul_f64 v[8:9], v[12:13], v[8:9]
	v_add_f64 v[12:13], v[16:17], s[6:7]
	s_mov_b32 s6, 0x145c31d0
	s_mov_b32 s7, 0xbe57c41d
	s_delay_alu instid0(VALU_DEP_2) | instskip(NEXT) | instid1(VALU_DEP_2)
	v_add_f64 v[16:17], v[14:15], v[8:9]
	v_fma_f64 v[10:11], v[22:23], v[12:13], -v[10:11]
	s_delay_alu instid0(VALU_DEP_2) | instskip(NEXT) | instid1(VALU_DEP_2)
	v_mul_f64 v[18:19], v[16:17], v[16:17]
	v_add_f64 v[10:11], v[10:11], s[6:7]
	s_mov_b32 s6, 0x6b47b09a
	s_mov_b32 s7, 0x3fc38538
	v_add_f64 v[14:15], v[16:17], -v[14:15]
	s_delay_alu instid0(VALU_DEP_3) | instskip(NEXT) | instid1(VALU_DEP_3)
	v_fma_f64 v[20:21], v[18:19], s[8:9], s[6:7]
	v_fma_f64 v[12:13], v[22:23], v[10:11], -v[12:13]
	s_mov_b32 s6, 0xd7f4df2e
	s_mov_b32 s7, 0x3fc7474d
	v_mul_f64 v[24:25], v[16:17], v[18:19]
	s_delay_alu instid0(VALU_DEP_4) | instskip(NEXT) | instid1(VALU_DEP_4)
	v_add_f64 v[8:9], v[8:9], -v[14:15]
	v_fma_f64 v[20:21], v[18:19], v[20:21], s[6:7]
	s_mov_b32 s6, 0x2c832e3a
	s_mov_b32 s7, 0xbec469b3
	s_delay_alu instid0(VALU_DEP_4) | instid1(SALU_CYCLE_1)
	v_add_f64 v[12:13], v[12:13], s[6:7]
	s_mov_b32 s6, 0x16291751
	s_mov_b32 s7, 0x3fcc71c0
	s_delay_alu instid0(VALU_DEP_3) | instskip(NEXT) | instid1(VALU_DEP_3)
	v_ldexp_f64 v[8:9], v[8:9], 1
	v_fma_f64 v[20:21], v[18:19], v[20:21], s[6:7]
	s_mov_b32 s6, 0x9b27acf1
	s_mov_b32 s7, 0x3fd24924
	s_delay_alu instid0(VALU_DEP_3) | instskip(NEXT) | instid1(VALU_DEP_2)
	v_fma_f64 v[10:11], v[22:23], v[12:13], -v[10:11]
	v_fma_f64 v[20:21], v[18:19], v[20:21], s[6:7]
	s_mov_b32 s6, 0xe5a3bd02
	s_mov_b32 s7, 0xbf26ade2
	s_delay_alu instid0(VALU_DEP_2) | instid1(SALU_CYCLE_1)
	v_add_f64 v[10:11], v[10:11], s[6:7]
	s_mov_b32 s6, 0x998ef7b6
	s_mov_b32 s7, 0x3fd99999
	s_delay_alu instid0(VALU_DEP_2) | instid1(SALU_CYCLE_1)
	v_fma_f64 v[20:21], v[18:19], v[20:21], s[6:7]
	s_delay_alu instid0(VALU_DEP_2) | instskip(NEXT) | instid1(VALU_DEP_2)
	v_fma_f64 v[12:13], v[22:23], v[10:11], -v[12:13]
	v_fma_f64 v[18:19], v[18:19], v[20:21], s[0:1]
	s_mov_b32 s0, 0x9d7d4192
	s_mov_b32 s1, 0xbf7c9293
	v_ldexp_f64 v[20:21], v[16:17], 1
	s_delay_alu instid0(VALU_DEP_3) | instskip(SKIP_2) | instid1(VALU_DEP_3)
	v_add_f64 v[12:13], v[12:13], s[0:1]
	s_mov_b32 s0, 0x43c1db74
	s_mov_b32 s1, 0xbfbf6372
	v_mul_f64 v[18:19], v[24:25], v[18:19]
	v_subrev_co_ci_u32_e32 v24, vcc_lo, 0, v26, vcc_lo
	s_delay_alu instid0(VALU_DEP_3) | instskip(NEXT) | instid1(VALU_DEP_2)
	v_fma_f64 v[10:11], v[22:23], v[12:13], -v[10:11]
	v_cvt_f64_i32_e32 v[24:25], v24
	s_delay_alu instid0(VALU_DEP_4) | instskip(NEXT) | instid1(VALU_DEP_3)
	v_add_f64 v[16:17], v[20:21], v[18:19]
	v_add_f64 v[10:11], v[10:11], s[0:1]
	s_mov_b32 s0, 0xfefa39ef
	s_mov_b32 s1, 0x3fe62e42
	s_delay_alu instid0(VALU_DEP_3) | instid1(SALU_CYCLE_1)
	v_mul_f64 v[26:27], v[24:25], s[0:1]
	s_delay_alu instid0(VALU_DEP_3) | instskip(NEXT) | instid1(VALU_DEP_3)
	v_add_f64 v[14:15], v[16:17], -v[20:21]
	v_fma_f64 v[12:13], v[22:23], v[10:11], -v[12:13]
	s_delay_alu instid0(VALU_DEP_3) | instskip(SKIP_2) | instid1(VALU_DEP_3)
	v_fma_f64 v[20:21], v[24:25], s[0:1], -v[26:27]
	s_mov_b32 s0, 0x757b0dd4
	s_mov_b32 s1, 0xbfd69a1b
	v_add_f64 v[14:15], v[18:19], -v[14:15]
	s_delay_alu instid0(VALU_DEP_3)
	v_add_f64 v[12:13], v[12:13], s[0:1]
	s_mov_b32 s0, 0x3b39803f
	s_mov_b32 s1, 0x3c7abc9e
	s_delay_alu instid0(VALU_DEP_3) | instid1(SALU_CYCLE_1)
	v_fma_f64 v[18:19], v[24:25], s[0:1], v[20:21]
	s_mov_b32 s0, 0x361008ca
	s_mov_b32 s1, 0x3ff867a1
	s_delay_alu instid0(VALU_DEP_3) | instskip(NEXT) | instid1(VALU_DEP_3)
	v_add_f64 v[8:9], v[8:9], v[14:15]
	v_fma_f64 v[12:13], v[22:23], v[12:13], -v[10:11]
	s_delay_alu instid0(VALU_DEP_3) | instskip(NEXT) | instid1(VALU_DEP_3)
	v_add_f64 v[14:15], v[26:27], v[18:19]
	v_add_f64 v[20:21], v[16:17], v[8:9]
	s_delay_alu instid0(VALU_DEP_3) | instskip(SKIP_1) | instid1(VALU_DEP_4)
	v_add_f64 v[12:13], v[12:13], s[0:1]
	v_cmp_eq_f64_e64 s0, 0x7ff00000, v[0:1]
	v_add_f64 v[24:25], v[14:15], -v[26:27]
	s_delay_alu instid0(VALU_DEP_4) | instskip(SKIP_2) | instid1(VALU_DEP_4)
	v_add_f64 v[22:23], v[14:15], v[20:21]
	v_add_f64 v[16:17], v[20:21], -v[16:17]
	v_add_f64 v[10:11], v[12:13], -v[10:11]
	;; [unrolled: 1-line block ×3, first 2 shown]
	s_delay_alu instid0(VALU_DEP_4) | instskip(NEXT) | instid1(VALU_DEP_4)
	v_add_f64 v[12:13], v[22:23], -v[14:15]
	v_add_f64 v[8:9], v[8:9], -v[16:17]
	s_delay_alu instid0(VALU_DEP_4) | instskip(NEXT) | instid1(VALU_DEP_3)
	v_mul_f64 v[10:11], v[10:11], 0.5
	v_add_f64 v[26:27], v[22:23], -v[12:13]
	v_add_f64 v[12:13], v[20:21], -v[12:13]
	s_delay_alu instid0(VALU_DEP_4) | instskip(NEXT) | instid1(VALU_DEP_4)
	v_add_f64 v[20:21], v[18:19], v[8:9]
	v_div_scale_f64 v[28:29], null, v[2:3], v[2:3], v[10:11]
	s_delay_alu instid0(VALU_DEP_4) | instskip(NEXT) | instid1(VALU_DEP_3)
	v_add_f64 v[14:15], v[14:15], -v[26:27]
	v_add_f64 v[24:25], v[20:21], -v[18:19]
	s_delay_alu instid0(VALU_DEP_3) | instskip(NEXT) | instid1(VALU_DEP_2)
	v_rcp_f64_e32 v[16:17], v[28:29]
	v_add_f64 v[12:13], v[12:13], v[14:15]
	s_delay_alu instid0(VALU_DEP_2) | instskip(SKIP_3) | instid1(VALU_DEP_2)
	v_add_f64 v[8:9], v[8:9], -v[24:25]
	s_waitcnt_depctr 0xfff
	v_fma_f64 v[14:15], -v[28:29], v[16:17], 1.0
	v_add_f64 v[12:13], v[20:21], v[12:13]
	v_fma_f64 v[14:15], v[16:17], v[14:15], v[16:17]
	v_add_f64 v[16:17], v[20:21], -v[24:25]
	s_delay_alu instid0(VALU_DEP_3) | instskip(NEXT) | instid1(VALU_DEP_3)
	v_add_f64 v[20:21], v[22:23], v[12:13]
	v_fma_f64 v[26:27], -v[28:29], v[14:15], 1.0
	s_delay_alu instid0(VALU_DEP_3) | instskip(NEXT) | instid1(VALU_DEP_3)
	v_add_f64 v[16:17], v[18:19], -v[16:17]
	v_add_f64 v[18:19], v[20:21], -v[22:23]
	v_div_scale_f64 v[22:23], vcc_lo, v[10:11], v[2:3], v[10:11]
	s_delay_alu instid0(VALU_DEP_4) | instskip(NEXT) | instid1(VALU_DEP_4)
	v_fma_f64 v[14:15], v[14:15], v[26:27], v[14:15]
	v_add_f64 v[8:9], v[8:9], v[16:17]
	s_delay_alu instid0(VALU_DEP_4) | instskip(NEXT) | instid1(VALU_DEP_3)
	v_add_f64 v[12:13], v[12:13], -v[18:19]
	v_mul_f64 v[16:17], v[22:23], v[14:15]
	s_delay_alu instid0(VALU_DEP_2) | instskip(NEXT) | instid1(VALU_DEP_2)
	v_add_f64 v[8:9], v[8:9], v[12:13]
	v_fma_f64 v[12:13], -v[28:29], v[16:17], v[22:23]
	s_delay_alu instid0(VALU_DEP_2) | instskip(NEXT) | instid1(VALU_DEP_2)
	v_add_f64 v[8:9], v[20:21], v[8:9]
	v_div_fmas_f64 v[12:13], v[12:13], v[14:15], v[16:17]
	v_cmp_neq_f64_e32 vcc_lo, 0, v[0:1]
	s_delay_alu instid0(VALU_DEP_3) | instskip(NEXT) | instid1(VALU_DEP_4)
	v_cndmask_b32_e64 v8, v8, v0, s0
	v_cndmask_b32_e64 v9, v9, v1, s0
	s_delay_alu instid0(VALU_DEP_4) | instskip(NEXT) | instid1(VALU_DEP_2)
	v_div_fixup_f64 v[0:1], v[12:13], v[2:3], v[10:11]
	v_cndmask_b32_e32 v3, 0xfff00000, v9, vcc_lo
	s_delay_alu instid0(VALU_DEP_4) | instskip(NEXT) | instid1(VALU_DEP_1)
	v_cndmask_b32_e32 v2, 0, v8, vcc_lo
	v_fma_f64 v[0:1], v[2:3], v[6:7], v[0:1]
                                        ; implicit-def: $vgpr2_vgpr3
	s_delay_alu instid0(VALU_DEP_1)
	v_mul_f64 v[0:1], v[4:5], v[0:1]
.LBB10_59:
	s_and_not1_saveexec_b32 s0, s5
	s_cbranch_execz .LBB10_61
; %bb.60:
	v_div_scale_f64 v[0:1], null, v[2:3], v[2:3], 0x40200000
	v_div_scale_f64 v[8:9], vcc_lo, 0x40200000, v[2:3], 0x40200000
	s_mov_b32 s6, 0x838f5ed3
	s_mov_b32 s7, 0x3c74af1a
	;; [unrolled: 1-line block ×4, first 2 shown]
	s_delay_alu instid0(VALU_DEP_2) | instskip(SKIP_2) | instid1(VALU_DEP_1)
	v_rcp_f64_e32 v[4:5], v[0:1]
	s_waitcnt_depctr 0xfff
	v_fma_f64 v[6:7], -v[0:1], v[4:5], 1.0
	v_fma_f64 v[4:5], v[4:5], v[6:7], v[4:5]
	s_delay_alu instid0(VALU_DEP_1) | instskip(NEXT) | instid1(VALU_DEP_1)
	v_fma_f64 v[6:7], -v[0:1], v[4:5], 1.0
	v_fma_f64 v[4:5], v[4:5], v[6:7], v[4:5]
	s_delay_alu instid0(VALU_DEP_1) | instskip(NEXT) | instid1(VALU_DEP_1)
	v_mul_f64 v[6:7], v[8:9], v[4:5]
	v_fma_f64 v[0:1], -v[0:1], v[6:7], v[8:9]
	s_delay_alu instid0(VALU_DEP_1) | instskip(SKIP_1) | instid1(VALU_DEP_2)
	v_div_fmas_f64 v[0:1], v[0:1], v[4:5], v[6:7]
	v_cmp_gt_f64_e32 vcc_lo, 0x10000000, v[2:3]
	v_div_fixup_f64 v[0:1], v[0:1], v[2:3], 0x40200000
	v_cndmask_b32_e64 v8, 0, 1, vcc_lo
	s_delay_alu instid0(VALU_DEP_1) | instskip(NEXT) | instid1(VALU_DEP_1)
	v_lshlrev_b32_e32 v8, 8, v8
	v_ldexp_f64 v[2:3], v[2:3], v8
	s_delay_alu instid0(VALU_DEP_4) | instskip(NEXT) | instid1(VALU_DEP_2)
	v_add_f64 v[0:1], v[0:1], -2.0
	v_rsq_f64_e32 v[8:9], v[2:3]
	s_delay_alu instid0(VALU_DEP_1)
	v_fma_f64 v[4:5], v[0:1], s[8:9], s[6:7]
	s_mov_b32 s9, 0x3c5a8c5d
	s_mov_b32 s6, 0x17771d52
	;; [unrolled: 1-line block ×3, first 2 shown]
	s_waitcnt_depctr 0xfff
	v_mul_f64 v[10:11], v[2:3], v[8:9]
	v_mul_f64 v[8:9], v[8:9], 0.5
	v_fma_f64 v[6:7], v[0:1], v[4:5], s[8:9]
	s_delay_alu instid0(VALU_DEP_2) | instskip(NEXT) | instid1(VALU_DEP_2)
	v_fma_f64 v[12:13], -v[8:9], v[10:11], 0.5
	v_add_f64 v[6:7], v[6:7], s[6:7]
	s_mov_b32 s6, 0x44ee2c0b
	s_mov_b32 s7, 0x3caa7d5e
	s_delay_alu instid0(VALU_DEP_2) | instskip(SKIP_1) | instid1(VALU_DEP_3)
	v_fma_f64 v[10:11], v[10:11], v[12:13], v[10:11]
	v_fma_f64 v[8:9], v[8:9], v[12:13], v[8:9]
	v_fma_f64 v[4:5], v[0:1], v[6:7], -v[4:5]
	s_delay_alu instid0(VALU_DEP_3) | instskip(NEXT) | instid1(VALU_DEP_2)
	v_fma_f64 v[12:13], -v[10:11], v[10:11], v[2:3]
	v_add_f64 v[4:5], v[4:5], s[6:7]
	s_mov_b32 s6, 0xd8758ef2
	s_mov_b32 s7, 0xbcc5d2a3
	s_delay_alu instid0(VALU_DEP_2) | instskip(NEXT) | instid1(VALU_DEP_2)
	v_fma_f64 v[10:11], v[12:13], v[8:9], v[10:11]
	v_fma_f64 v[6:7], v[0:1], v[4:5], -v[6:7]
	s_delay_alu instid0(VALU_DEP_1) | instskip(SKIP_2) | instid1(VALU_DEP_1)
	v_add_f64 v[6:7], v[6:7], s[6:7]
	s_mov_b32 s6, 0xefee81bd
	s_mov_b32 s7, 0x3ce25ced
	v_fma_f64 v[4:5], v[0:1], v[6:7], -v[4:5]
	s_delay_alu instid0(VALU_DEP_1) | instskip(SKIP_2) | instid1(VALU_DEP_1)
	v_add_f64 v[4:5], v[4:5], s[6:7]
	s_mov_b32 s6, 0x364185ab
	s_mov_b32 s7, 0xbcff9d52
	;; [unrolled: 5-line block ×20, first 2 shown]
	v_fma_f64 v[0:1], v[0:1], v[4:5], -v[6:7]
	v_fma_f64 v[4:5], -v[10:11], v[10:11], v[2:3]
	s_delay_alu instid0(VALU_DEP_2) | instskip(NEXT) | instid1(VALU_DEP_2)
	v_add_f64 v[0:1], v[0:1], s[6:7]
	v_fma_f64 v[4:5], v[4:5], v[8:9], v[10:11]
	s_delay_alu instid0(VALU_DEP_2) | instskip(SKIP_2) | instid1(VALU_DEP_2)
	v_add_f64 v[0:1], v[0:1], -v[6:7]
	v_cndmask_b32_e64 v6, 0, 0xffffff80, vcc_lo
	v_cmp_class_f64_e64 vcc_lo, v[2:3], 0x260
	v_ldexp_f64 v[4:5], v[4:5], v6
	s_delay_alu instid0(VALU_DEP_4) | instskip(NEXT) | instid1(VALU_DEP_2)
	v_mul_f64 v[0:1], v[0:1], 0.5
	v_dual_cndmask_b32 v3, v5, v3 :: v_dual_cndmask_b32 v2, v4, v2
	s_delay_alu instid0(VALU_DEP_1) | instskip(NEXT) | instid1(VALU_DEP_1)
	v_div_scale_f64 v[4:5], null, v[2:3], v[2:3], v[0:1]
	v_rcp_f64_e32 v[6:7], v[4:5]
	s_waitcnt_depctr 0xfff
	v_fma_f64 v[8:9], -v[4:5], v[6:7], 1.0
	s_delay_alu instid0(VALU_DEP_1) | instskip(NEXT) | instid1(VALU_DEP_1)
	v_fma_f64 v[6:7], v[6:7], v[8:9], v[6:7]
	v_fma_f64 v[8:9], -v[4:5], v[6:7], 1.0
	s_delay_alu instid0(VALU_DEP_1) | instskip(SKIP_1) | instid1(VALU_DEP_1)
	v_fma_f64 v[6:7], v[6:7], v[8:9], v[6:7]
	v_div_scale_f64 v[8:9], vcc_lo, v[0:1], v[2:3], v[0:1]
	v_mul_f64 v[10:11], v[8:9], v[6:7]
	s_delay_alu instid0(VALU_DEP_1) | instskip(NEXT) | instid1(VALU_DEP_1)
	v_fma_f64 v[4:5], -v[4:5], v[10:11], v[8:9]
	v_div_fmas_f64 v[4:5], v[4:5], v[6:7], v[10:11]
	s_delay_alu instid0(VALU_DEP_1)
	v_div_fixup_f64 v[0:1], v[4:5], v[2:3], v[0:1]
.LBB10_61:
	s_or_b32 exec_lo, exec_lo, s0
.LBB10_62:
	s_delay_alu instid0(SALU_CYCLE_1)
	s_or_b32 exec_lo, exec_lo, s4
.LBB10_63:
	s_delay_alu instid0(SALU_CYCLE_1) | instskip(NEXT) | instid1(SALU_CYCLE_1)
	s_or_b32 exec_lo, exec_lo, s3
	s_or_b32 exec_lo, exec_lo, s2
	s_setpc_b64 s[30:31]
.LBB10_64:
	s_mov_b32 s0, exec_lo
                                        ; implicit-def: $vgpr2_vgpr3
	v_cmpx_lt_i16_e32 28, v4
	s_xor_b32 s0, exec_lo, s0
	s_cbranch_execz .LBB10_80
; %bb.65:
	s_mov_b32 s7, 0
	s_mov_b32 s1, exec_lo
                                        ; implicit-def: $vgpr2_vgpr3
	v_cmpx_lt_i16_e32 43, v4
	s_xor_b32 s1, exec_lo, s1
	s_cbranch_execz .LBB10_75
; %bb.66:
	s_mov_b32 s7, exec_lo
                                        ; implicit-def: $vgpr2_vgpr3
	v_cmpx_lt_i16_e32 45, v4
	s_xor_b32 s7, exec_lo, s7
	s_cbranch_execz .LBB10_70
; %bb.67:
	s_mov_b32 s8, -1
	s_mov_b32 s6, exec_lo
                                        ; implicit-def: $vgpr2_vgpr3
	v_cmpx_eq_u16_e32 46, v4
	s_cbranch_execz .LBB10_69
; %bb.68:
	flat_load_b32 v2, v[0:1]
	s_mov_b32 s4, exec_lo
	s_xor_b32 s8, exec_lo, -1
	s_waitcnt vmcnt(0) lgkmcnt(0)
	v_lshlrev_b32_e32 v2, 16, v2
	s_delay_alu instid0(VALU_DEP_1)
	v_cvt_f64_f32_e32 v[2:3], v2
.LBB10_69:
	s_or_b32 exec_lo, exec_lo, s6
	s_delay_alu instid0(SALU_CYCLE_1)
	s_and_b32 s6, s4, exec_lo
	s_and_b32 s4, s8, exec_lo
                                        ; implicit-def: $vgpr4
.LBB10_70:
	s_and_not1_saveexec_b32 s7, s7
	s_cbranch_execz .LBB10_74
; %bb.71:
	s_mov_b32 s9, -1
	s_mov_b32 s10, s6
	s_mov_b32 s8, exec_lo
                                        ; implicit-def: $vgpr2_vgpr3
	v_cmpx_eq_u16_e32 44, v4
	s_cbranch_execz .LBB10_73
; %bb.72:
	flat_load_u8 v4, v[0:1]
	s_or_b32 s10, s6, exec_lo
	s_xor_b32 s9, exec_lo, -1
	s_waitcnt vmcnt(0) lgkmcnt(0)
	v_cmp_ne_u32_e32 vcc_lo, 0xff, v4
	v_lshlrev_b32_e32 v2, 23, v4
	s_delay_alu instid0(VALU_DEP_1) | instskip(NEXT) | instid1(VALU_DEP_1)
	v_cvt_f64_f32_e32 v[2:3], v2
	v_cndmask_b32_e32 v3, 0x7ff80000, v3, vcc_lo
	s_delay_alu instid0(VALU_DEP_2) | instskip(SKIP_1) | instid1(VALU_DEP_3)
	v_cndmask_b32_e32 v2, 0x20000000, v2, vcc_lo
	v_cmp_ne_u32_e32 vcc_lo, 0, v4
	v_cndmask_b32_e32 v3, 0x38000000, v3, vcc_lo
	s_delay_alu instid0(VALU_DEP_3)
	v_cndmask_b32_e32 v2, 0, v2, vcc_lo
.LBB10_73:
	s_or_b32 exec_lo, exec_lo, s8
	s_delay_alu instid0(SALU_CYCLE_1)
	s_and_not1_b32 s6, s6, exec_lo
	s_and_b32 s8, s10, exec_lo
	s_and_not1_b32 s4, s4, exec_lo
	s_and_b32 s9, s9, exec_lo
	s_or_b32 s6, s6, s8
	s_or_b32 s4, s4, s9
.LBB10_74:
	s_or_b32 exec_lo, exec_lo, s7
	s_delay_alu instid0(SALU_CYCLE_1)
	s_and_b32 s7, s6, exec_lo
	s_and_b32 s6, s4, exec_lo
                                        ; implicit-def: $vgpr4
.LBB10_75:
	s_and_not1_saveexec_b32 s1, s1
	s_cbranch_execz .LBB10_79
; %bb.76:
	s_mov_b32 s4, -1
	s_mov_b32 s8, s7
	s_mov_b32 s9, exec_lo
                                        ; implicit-def: $vgpr2_vgpr3
	v_cmpx_eq_u16_e32 29, v4
	s_cbranch_execz .LBB10_78
; %bb.77:
	flat_load_b64 v[2:3], v[0:1]
	s_or_b32 s8, s7, exec_lo
	s_xor_b32 s4, exec_lo, -1
	s_waitcnt vmcnt(0) lgkmcnt(0)
	v_cvt_f64_u32_e32 v[3:4], v3
	v_cvt_f64_u32_e32 v[5:6], v2
	s_delay_alu instid0(VALU_DEP_2) | instskip(NEXT) | instid1(VALU_DEP_1)
	v_ldexp_f64 v[3:4], v[3:4], 32
	v_add_f64 v[2:3], v[3:4], v[5:6]
.LBB10_78:
	s_or_b32 exec_lo, exec_lo, s9
	s_delay_alu instid0(SALU_CYCLE_1)
	s_and_not1_b32 s7, s7, exec_lo
	s_and_b32 s8, s8, exec_lo
	s_and_not1_b32 s6, s6, exec_lo
	s_and_b32 s4, s4, exec_lo
	s_or_b32 s7, s7, s8
	s_or_b32 s6, s6, s4
.LBB10_79:
	s_or_b32 exec_lo, exec_lo, s1
	s_delay_alu instid0(SALU_CYCLE_1)
	s_and_b32 s4, s7, exec_lo
	s_and_b32 s6, s6, exec_lo
                                        ; implicit-def: $vgpr4
.LBB10_80:
	s_and_not1_saveexec_b32 s7, s0
	s_cbranch_execz .LBB10_98
; %bb.81:
	s_mov_b32 s0, exec_lo
                                        ; implicit-def: $vgpr2_vgpr3
	v_cmpx_lt_i16_e32 26, v4
	s_xor_b32 s0, exec_lo, s0
	s_cbranch_execz .LBB10_87
; %bb.82:
	s_mov_b32 s1, exec_lo
                                        ; implicit-def: $vgpr2_vgpr3
	v_cmpx_lt_i16_e32 27, v4
	s_xor_b32 s1, exec_lo, s1
	s_cbranch_execz .LBB10_84
; %bb.83:
	flat_load_b32 v2, v[0:1]
	s_waitcnt vmcnt(0) lgkmcnt(0)
	v_cvt_f64_u32_e32 v[2:3], v2
.LBB10_84:
	s_and_not1_saveexec_b32 s1, s1
	s_cbranch_execz .LBB10_86
; %bb.85:
	flat_load_u16 v2, v[0:1]
	s_waitcnt vmcnt(0) lgkmcnt(0)
	v_cvt_f64_u32_e32 v[2:3], v2
.LBB10_86:
	s_or_b32 exec_lo, exec_lo, s1
.LBB10_87:
	s_and_not1_saveexec_b32 s8, s0
	s_cbranch_execz .LBB10_97
; %bb.88:
	flat_load_u8 v4, v[0:1]
	s_mov_b32 s9, 0
	s_mov_b32 s10, exec_lo
                                        ; implicit-def: $sgpr0_sgpr1
	s_waitcnt vmcnt(0) lgkmcnt(0)
	v_cmpx_lt_i16_e32 0x7f, v4
	s_xor_b32 s10, exec_lo, s10
	s_cbranch_execz .LBB10_92
; %bb.89:
	s_mov_b32 s11, -1
	s_mov_b32 s9, exec_lo
                                        ; implicit-def: $sgpr0_sgpr1
	v_cmpx_eq_u16_e32 0x80, v4
; %bb.90:
	s_mov_b32 s1, 0x7ff80000
	s_brev_b32 s0, 4
	s_xor_b32 s11, exec_lo, -1
; %bb.91:
	s_or_b32 exec_lo, exec_lo, s9
	s_delay_alu instid0(SALU_CYCLE_1)
	s_and_b32 s9, s11, exec_lo
.LBB10_92:
	s_or_saveexec_b32 s10, s10
	v_dual_mov_b32 v3, s1 :: v_dual_mov_b32 v2, s0
	s_xor_b32 exec_lo, exec_lo, s10
; %bb.93:
	v_cmp_ne_u16_e32 vcc_lo, 0, v4
	v_mov_b32_e32 v2, 0
	v_mov_b32_e32 v3, 0
	s_and_not1_b32 s0, s9, exec_lo
	s_and_b32 s1, vcc_lo, exec_lo
	s_delay_alu instid0(SALU_CYCLE_1)
	s_or_b32 s9, s0, s1
; %bb.94:
	s_or_b32 exec_lo, exec_lo, s10
	s_and_saveexec_b32 s0, s9
	s_cbranch_execz .LBB10_96
; %bb.95:
	v_and_b32_e32 v2, 0xffff, v4
	v_lshlrev_b32_e32 v4, 24, v4
	s_delay_alu instid0(VALU_DEP_2) | instskip(NEXT) | instid1(VALU_DEP_2)
	v_and_b32_e32 v3, 7, v2
	v_and_b32_e32 v4, 0x80000000, v4
	s_delay_alu instid0(VALU_DEP_2) | instskip(NEXT) | instid1(VALU_DEP_1)
	v_clz_i32_u32_e32 v5, v3
	v_min_u32_e32 v5, 32, v5
	s_delay_alu instid0(VALU_DEP_1) | instskip(SKIP_1) | instid1(VALU_DEP_2)
	v_subrev_nc_u32_e32 v6, 28, v5
	v_sub_nc_u32_e32 v5, 29, v5
	v_lshlrev_b32_e32 v6, v6, v2
	v_bfe_u32 v2, v2, 3, 4
	s_delay_alu instid0(VALU_DEP_2) | instskip(NEXT) | instid1(VALU_DEP_2)
	v_and_b32_e32 v6, 7, v6
	v_cmp_eq_u32_e32 vcc_lo, 0, v2
	s_delay_alu instid0(VALU_DEP_2) | instskip(NEXT) | instid1(VALU_DEP_1)
	v_dual_cndmask_b32 v2, v2, v5 :: v_dual_cndmask_b32 v3, v3, v6
	v_lshl_add_u32 v2, v2, 23, 0x3b800000
	s_delay_alu instid0(VALU_DEP_2) | instskip(NEXT) | instid1(VALU_DEP_1)
	v_lshlrev_b32_e32 v3, 20, v3
	v_or3_b32 v2, v4, v2, v3
	s_delay_alu instid0(VALU_DEP_1)
	v_cvt_f64_f32_e32 v[2:3], v2
.LBB10_96:
	s_or_b32 exec_lo, exec_lo, s0
.LBB10_97:
	s_delay_alu instid0(SALU_CYCLE_1) | instskip(NEXT) | instid1(SALU_CYCLE_1)
	s_or_b32 exec_lo, exec_lo, s8
	s_or_b32 s4, s4, exec_lo
.LBB10_98:
	s_or_b32 exec_lo, exec_lo, s7
	s_delay_alu instid0(SALU_CYCLE_1)
	s_and_b32 s4, s4, exec_lo
	s_and_b32 s6, s6, exec_lo
                                        ; implicit-def: $vgpr4
	s_and_not1_saveexec_b32 s5, s5
	s_cbranch_execz .LBB10_3
.LBB10_99:
	s_mov_b32 s0, s4
                                        ; implicit-def: $vgpr2_vgpr3
	s_mov_b32 s1, exec_lo
	v_cmpx_lt_i16_e32 22, v4
	s_xor_b32 s3, exec_lo, s1
	s_cbranch_execz .LBB10_117
; %bb.100:
                                        ; implicit-def: $vgpr2_vgpr3
	s_mov_b32 s0, exec_lo
	v_cmpx_lt_i16_e32 23, v4
	s_xor_b32 s7, exec_lo, s0
	s_cbranch_execz .LBB10_114
; %bb.101:
	;; [unrolled: 6-line block ×3, first 2 shown]
	flat_load_u8 v4, v[0:1]
	s_mov_b32 s9, 0
	s_mov_b32 s10, exec_lo
                                        ; implicit-def: $sgpr0_sgpr1
	s_waitcnt vmcnt(0) lgkmcnt(0)
	v_cmpx_lt_i16_e32 0x7f, v4
	s_xor_b32 s10, exec_lo, s10
	s_cbranch_execz .LBB10_106
; %bb.103:
	s_mov_b32 s11, -1
	s_mov_b32 s9, exec_lo
                                        ; implicit-def: $sgpr0_sgpr1
	v_cmpx_eq_u16_e32 0x80, v4
; %bb.104:
	s_mov_b32 s1, 0x7ff80000
	s_brev_b32 s0, 4
	s_xor_b32 s11, exec_lo, -1
; %bb.105:
	s_or_b32 exec_lo, exec_lo, s9
	s_delay_alu instid0(SALU_CYCLE_1)
	s_and_b32 s9, s11, exec_lo
.LBB10_106:
	s_or_saveexec_b32 s10, s10
	v_dual_mov_b32 v3, s1 :: v_dual_mov_b32 v2, s0
	s_xor_b32 exec_lo, exec_lo, s10
; %bb.107:
	v_cmp_ne_u16_e32 vcc_lo, 0, v4
	v_mov_b32_e32 v2, 0
	v_mov_b32_e32 v3, 0
	s_and_not1_b32 s0, s9, exec_lo
	s_and_b32 s1, vcc_lo, exec_lo
	s_delay_alu instid0(SALU_CYCLE_1)
	s_or_b32 s9, s0, s1
; %bb.108:
	s_or_b32 exec_lo, exec_lo, s10
	s_and_saveexec_b32 s0, s9
	s_cbranch_execz .LBB10_110
; %bb.109:
	v_and_b32_e32 v2, 0xffff, v4
	v_lshlrev_b32_e32 v4, 24, v4
	s_delay_alu instid0(VALU_DEP_2) | instskip(NEXT) | instid1(VALU_DEP_2)
	v_and_b32_e32 v3, 3, v2
	v_and_b32_e32 v4, 0x80000000, v4
	s_delay_alu instid0(VALU_DEP_2) | instskip(NEXT) | instid1(VALU_DEP_1)
	v_clz_i32_u32_e32 v5, v3
	v_min_u32_e32 v5, 32, v5
	s_delay_alu instid0(VALU_DEP_1) | instskip(SKIP_1) | instid1(VALU_DEP_2)
	v_subrev_nc_u32_e32 v6, 29, v5
	v_sub_nc_u32_e32 v5, 30, v5
	v_lshlrev_b32_e32 v6, v6, v2
	v_bfe_u32 v2, v2, 2, 5
	s_delay_alu instid0(VALU_DEP_2) | instskip(NEXT) | instid1(VALU_DEP_2)
	v_and_b32_e32 v6, 3, v6
	v_cmp_eq_u32_e32 vcc_lo, 0, v2
	s_delay_alu instid0(VALU_DEP_2) | instskip(NEXT) | instid1(VALU_DEP_1)
	v_dual_cndmask_b32 v2, v2, v5 :: v_dual_cndmask_b32 v3, v3, v6
	v_lshl_add_u32 v2, v2, 23, 0x37800000
	s_delay_alu instid0(VALU_DEP_2) | instskip(NEXT) | instid1(VALU_DEP_1)
	v_lshlrev_b32_e32 v3, 21, v3
	v_or3_b32 v2, v4, v2, v3
	s_delay_alu instid0(VALU_DEP_1)
	v_cvt_f64_f32_e32 v[2:3], v2
.LBB10_110:
	s_or_b32 exec_lo, exec_lo, s0
.LBB10_111:
	s_and_not1_saveexec_b32 s0, s8
	s_cbranch_execz .LBB10_113
; %bb.112:
	flat_load_u8 v2, v[0:1]
	s_waitcnt vmcnt(0) lgkmcnt(0)
	v_lshlrev_b32_e32 v2, 24, v2
	s_delay_alu instid0(VALU_DEP_1) | instskip(NEXT) | instid1(VALU_DEP_1)
	v_and_b32_e32 v3, 0x7f000000, v2
	v_clz_i32_u32_e32 v4, v3
	v_add_nc_u32_e32 v6, 0x1000000, v3
	v_cmp_ne_u32_e32 vcc_lo, 0, v3
	s_delay_alu instid0(VALU_DEP_3) | instskip(NEXT) | instid1(VALU_DEP_1)
	v_min_u32_e32 v4, 32, v4
	v_sub_nc_u32_e64 v4, v4, 4 clamp
	s_delay_alu instid0(VALU_DEP_1) | instskip(SKIP_1) | instid1(VALU_DEP_2)
	v_lshlrev_b32_e32 v5, v4, v3
	v_lshlrev_b32_e32 v4, 23, v4
	v_lshrrev_b32_e32 v5, 4, v5
	s_delay_alu instid0(VALU_DEP_1) | instskip(SKIP_1) | instid1(VALU_DEP_2)
	v_sub_nc_u32_e32 v4, v5, v4
	v_ashrrev_i32_e32 v5, 8, v6
	v_add_nc_u32_e32 v4, 0x3c000000, v4
	s_delay_alu instid0(VALU_DEP_1) | instskip(NEXT) | instid1(VALU_DEP_1)
	v_and_or_b32 v4, 0x7f800000, v5, v4
	v_cndmask_b32_e32 v3, 0, v4, vcc_lo
	s_delay_alu instid0(VALU_DEP_1) | instskip(NEXT) | instid1(VALU_DEP_1)
	v_and_or_b32 v2, 0x80000000, v2, v3
	v_cvt_f64_f32_e32 v[2:3], v2
.LBB10_113:
	s_or_b32 exec_lo, exec_lo, s0
.LBB10_114:
	s_and_not1_saveexec_b32 s0, s7
	s_cbranch_execz .LBB10_116
; %bb.115:
	flat_load_u8 v2, v[0:1]
	s_waitcnt vmcnt(0) lgkmcnt(0)
	v_lshlrev_b32_e32 v3, 25, v2
	v_lshlrev_b16 v2, 8, v2
	s_delay_alu instid0(VALU_DEP_2) | instskip(NEXT) | instid1(VALU_DEP_2)
	v_lshrrev_b32_e32 v4, 4, v3
	v_and_or_b32 v5, 0x7f00, v2, 0.5
	v_bfe_i32 v2, v2, 0, 16
	s_delay_alu instid0(VALU_DEP_3) | instskip(NEXT) | instid1(VALU_DEP_1)
	v_or_b32_e32 v4, 0x70000000, v4
	v_dual_add_f32 v5, -0.5, v5 :: v_dual_mul_f32 v4, 0x7800000, v4
	v_cmp_gt_u32_e32 vcc_lo, 0x8000000, v3
	s_delay_alu instid0(VALU_DEP_2) | instskip(NEXT) | instid1(VALU_DEP_1)
	v_cndmask_b32_e32 v3, v4, v5, vcc_lo
	v_and_or_b32 v2, 0x80000000, v2, v3
	s_delay_alu instid0(VALU_DEP_1)
	v_cvt_f64_f32_e32 v[2:3], v2
.LBB10_116:
	s_or_b32 exec_lo, exec_lo, s0
	s_delay_alu instid0(SALU_CYCLE_1)
	s_or_b32 s0, s4, exec_lo
                                        ; implicit-def: $vgpr4
.LBB10_117:
	s_or_saveexec_b32 s1, s3
	s_mov_b32 s3, 0
	s_mov_b32 s7, s6
	s_xor_b32 exec_lo, exec_lo, s1
	s_cbranch_execz .LBB10_125
; %bb.118:
	s_mov_b32 s3, s6
	s_mov_b32 s7, s0
	s_mov_b32 s8, exec_lo
                                        ; implicit-def: $vgpr2_vgpr3
	v_cmpx_lt_i16_e32 14, v4
	s_xor_b32 s8, exec_lo, s8
	s_cbranch_execz .LBB10_122
; %bb.119:
	s_mov_b32 s3, -1
	s_mov_b32 s7, s0
	s_mov_b32 s9, exec_lo
                                        ; implicit-def: $vgpr2_vgpr3
	v_cmpx_eq_u16_e32 15, v4
	s_cbranch_execz .LBB10_121
; %bb.120:
	flat_load_u16 v2, v[0:1]
	s_or_b32 s7, s0, exec_lo
	s_xor_b32 s3, exec_lo, -1
	s_waitcnt vmcnt(0) lgkmcnt(0)
	v_lshlrev_b32_e32 v2, 16, v2
	s_delay_alu instid0(VALU_DEP_1)
	v_cvt_f64_f32_e32 v[2:3], v2
.LBB10_121:
	s_or_b32 exec_lo, exec_lo, s9
	s_delay_alu instid0(SALU_CYCLE_1)
	s_and_not1_b32 s9, s0, exec_lo
	s_and_b32 s7, s7, exec_lo
	s_and_not1_b32 s10, s6, exec_lo
	s_and_b32 s3, s3, exec_lo
	s_or_b32 s7, s9, s7
	s_or_b32 s3, s10, s3
                                        ; implicit-def: $vgpr4
.LBB10_122:
	s_or_saveexec_b32 s8, s8
	s_mov_b32 s9, 0
	s_xor_b32 exec_lo, exec_lo, s8
; %bb.123:
	v_cmp_ne_u16_e32 vcc_lo, 11, v4
	s_and_not1_b32 s3, s3, exec_lo
	s_mov_b32 s9, exec_lo
                                        ; implicit-def: $vgpr2_vgpr3
	s_and_b32 s10, vcc_lo, exec_lo
	s_delay_alu instid0(SALU_CYCLE_1)
	s_or_b32 s3, s3, s10
; %bb.124:
	s_or_b32 exec_lo, exec_lo, s8
	s_delay_alu instid0(SALU_CYCLE_1)
	s_and_not1_b32 s0, s0, exec_lo
	s_and_b32 s7, s7, exec_lo
	s_and_b32 s8, s3, exec_lo
	s_or_b32 s0, s0, s7
	s_and_not1_b32 s7, s6, exec_lo
	s_and_b32 s3, s9, exec_lo
	s_or_b32 s7, s7, s8
.LBB10_125:
	s_or_b32 exec_lo, exec_lo, s1
	s_delay_alu instid0(SALU_CYCLE_1)
	s_and_not1_b32 s1, s4, exec_lo
	s_and_b32 s0, s0, exec_lo
	s_and_b32 s3, s3, exec_lo
	s_or_b32 s4, s1, s0
	s_and_not1_b32 s0, s6, exec_lo
	s_and_b32 s1, s7, exec_lo
	s_delay_alu instid0(SALU_CYCLE_1)
	s_or_b32 s6, s0, s1
	s_or_b32 exec_lo, exec_lo, s5
	s_and_saveexec_b32 s0, s6
	s_cbranch_execz .LBB10_4
.LBB10_126:
	s_cbranch_execnz .LBB10_128
; %bb.127:
	; divergent unreachable
	s_and_not1_b32 s3, s3, exec_lo
                                        ; implicit-def: $vgpr2_vgpr3
	s_or_b32 exec_lo, exec_lo, s0
	s_and_saveexec_b32 s0, s3
	s_delay_alu instid0(SALU_CYCLE_1)
	s_xor_b32 s0, exec_lo, s0
	s_cbranch_execnz .LBB10_5
	s_branch .LBB10_6
.LBB10_128:
	s_trap 2
	s_sendmsg_rtn_b32 s0, sendmsg(MSG_RTN_GET_DOORBELL)
	s_mov_b32 ttmp2, m0
	s_waitcnt lgkmcnt(0)
	s_and_b32 s0, s0, 0x3ff
	s_delay_alu instid0(SALU_CYCLE_1) | instskip(NEXT) | instid1(SALU_CYCLE_1)
	s_bitset1_b32 s0, 10
	s_mov_b32 m0, s0
	s_sendmsg sendmsg(MSG_INTERRUPT)
	s_mov_b32 m0, ttmp2
.LBB10_129:                             ; =>This Inner Loop Header: Depth=1
	s_sethalt 5
	s_branch .LBB10_129
.Lfunc_end10:
	.size	_ZN2at6native6invokeIZZZNS0_12_GLOBAL__N_137scaled_modified_bessel_k1_kernel_cudaERNS_18TensorIteratorBaseEENKUlvE_clEvENKUlvE_clEvEUldE_j15function_traitsIS7_EEENT1_11result_typeERKT_PrKPcPKT0_PKN3c1010ScalarTypeEi, .Lfunc_end10-_ZN2at6native6invokeIZZZNS0_12_GLOBAL__N_137scaled_modified_bessel_k1_kernel_cudaERNS_18TensorIteratorBaseEENKUlvE_clEvENKUlvE_clEvEUldE_j15function_traitsIS7_EEENT1_11result_typeERKT_PrKPcPKT0_PKN3c1010ScalarTypeEi
                                        ; -- End function
	.section	.AMDGPU.csdata,"",@progbits
; Function info:
; codeLenInByte = 8536
; NumSgprs: 34
; NumVgprs: 30
; ScratchSize: 0
; MemoryBound: 1
	.section	.text._ZN2at6native32elementwise_kernel_manual_unrollILi128ELi4EZNS0_15gpu_kernel_implIZZZNS0_12_GLOBAL__N_137scaled_modified_bessel_k1_kernel_cudaERNS_18TensorIteratorBaseEENKUlvE_clEvENKUlvE_clEvEUldE_EEvS5_RKT_EUlibE0_EEviT1_,"axG",@progbits,_ZN2at6native32elementwise_kernel_manual_unrollILi128ELi4EZNS0_15gpu_kernel_implIZZZNS0_12_GLOBAL__N_137scaled_modified_bessel_k1_kernel_cudaERNS_18TensorIteratorBaseEENKUlvE_clEvENKUlvE_clEvEUldE_EEvS5_RKT_EUlibE0_EEviT1_,comdat
	.globl	_ZN2at6native32elementwise_kernel_manual_unrollILi128ELi4EZNS0_15gpu_kernel_implIZZZNS0_12_GLOBAL__N_137scaled_modified_bessel_k1_kernel_cudaERNS_18TensorIteratorBaseEENKUlvE_clEvENKUlvE_clEvEUldE_EEvS5_RKT_EUlibE0_EEviT1_ ; -- Begin function _ZN2at6native32elementwise_kernel_manual_unrollILi128ELi4EZNS0_15gpu_kernel_implIZZZNS0_12_GLOBAL__N_137scaled_modified_bessel_k1_kernel_cudaERNS_18TensorIteratorBaseEENKUlvE_clEvENKUlvE_clEvEUldE_EEvS5_RKT_EUlibE0_EEviT1_
	.p2align	8
	.type	_ZN2at6native32elementwise_kernel_manual_unrollILi128ELi4EZNS0_15gpu_kernel_implIZZZNS0_12_GLOBAL__N_137scaled_modified_bessel_k1_kernel_cudaERNS_18TensorIteratorBaseEENKUlvE_clEvENKUlvE_clEvEUldE_EEvS5_RKT_EUlibE0_EEviT1_,@function
_ZN2at6native32elementwise_kernel_manual_unrollILi128ELi4EZNS0_15gpu_kernel_implIZZZNS0_12_GLOBAL__N_137scaled_modified_bessel_k1_kernel_cudaERNS_18TensorIteratorBaseEENKUlvE_clEvENKUlvE_clEvEUldE_EEvS5_RKT_EUlibE0_EEviT1_: ; @_ZN2at6native32elementwise_kernel_manual_unrollILi128ELi4EZNS0_15gpu_kernel_implIZZZNS0_12_GLOBAL__N_137scaled_modified_bessel_k1_kernel_cudaERNS_18TensorIteratorBaseEENKUlvE_clEvENKUlvE_clEvEUldE_EEvS5_RKT_EUlibE0_EEviT1_
; %bb.0:
	s_clause 0x1
	s_load_b32 s33, s[0:1], 0x8
	s_load_b32 s41, s[0:1], 0x0
	v_lshl_or_b32 v32, s15, 9, v0
	s_mov_b64 s[12:13], s[0:1]
	s_mov_b32 s0, -1
	s_or_b32 s14, s12, 8
	s_mov_b32 s37, 0
	v_or_b32_e32 v3, 0x180, v32
	s_mov_b32 s15, s13
	s_mov_b32 s16, 0
	;; [unrolled: 1-line block ×3, first 2 shown]
	s_mov_b32 s1, exec_lo
	s_waitcnt lgkmcnt(0)
	s_add_i32 s36, s33, -1
	s_delay_alu instid0(SALU_CYCLE_1)
	s_cmp_gt_u32 s36, 1
	s_cselect_b32 s38, -1, 0
	v_cmpx_le_i32_e64 s41, v3
	s_xor_b32 s39, exec_lo, s1
	s_cbranch_execz .LBB11_183
; %bb.1:
	v_mov_b32_e32 v0, 0
	s_clause 0x3
	s_load_b128 s[24:27], s[14:15], 0x4
	s_load_b64 s[28:29], s[14:15], 0x14
	s_load_b128 s[20:23], s[14:15], 0xc4
	s_load_b128 s[16:19], s[14:15], 0x148
	s_cmp_lg_u32 s33, 0
	s_mov_b32 s46, 0
	s_cselect_b32 s43, -1, 0
	global_load_u16 v33, v0, s[14:15] offset:345
	s_add_u32 s34, s14, 0xc4
	s_addc_u32 s35, s15, 0
	s_min_u32 s42, s36, 15
	s_cmp_gt_u32 s33, 1
	s_mov_b32 s44, 0
	s_cselect_b32 s40, -1, 0
	s_mov_b32 s45, exec_lo
	s_waitcnt vmcnt(0)
	v_lshrrev_b16 v30, 8, v33
	v_cmpx_gt_i32_e64 s41, v32
                                        ; implicit-def: $vgpr2_vgpr3
	s_cbranch_execz .LBB11_134
; %bb.2:
	s_and_not1_b32 vcc_lo, exec_lo, s38
	s_cbranch_vccnz .LBB11_7
; %bb.3:
	v_dual_mov_b32 v31, 0 :: v_dual_mov_b32 v2, 0
	s_and_not1_b32 vcc_lo, exec_lo, s43
	s_mov_b32 s4, 0
	s_cbranch_vccnz .LBB11_12
; %bb.4:
	v_mov_b32_e32 v31, 0
	s_add_i32 s6, s42, 1
	s_cmp_eq_u32 s36, 2
	s_mov_b32 s5, 0
	s_cbranch_scc1 .LBB11_8
; %bb.5:
	v_dual_mov_b32 v2, 0 :: v_dual_mov_b32 v31, 0
	v_mov_b32_e32 v0, v32
	s_and_b32 s5, s6, 28
	s_mov_b32 s7, 0
	s_mov_b64 s[0:1], s[34:35]
	s_mov_b64 s[2:3], s[14:15]
.LBB11_6:                               ; =>This Inner Loop Header: Depth=1
	s_clause 0x1
	s_load_b256 s[48:55], s[2:3], 0x4
	s_load_b128 s[8:11], s[2:3], 0x24
	s_load_b256 s[56:63], s[0:1], 0x0
	s_add_u32 s2, s2, 48
	s_addc_u32 s3, s3, 0
	s_add_i32 s7, s7, 4
	s_add_u32 s0, s0, 32
	s_addc_u32 s1, s1, 0
	s_cmp_lg_u32 s5, s7
	s_waitcnt lgkmcnt(0)
	v_mul_hi_u32 v1, s49, v0
	s_delay_alu instid0(VALU_DEP_1) | instskip(NEXT) | instid1(VALU_DEP_1)
	v_add_nc_u32_e32 v1, v0, v1
	v_lshrrev_b32_e32 v1, s50, v1
	s_delay_alu instid0(VALU_DEP_1) | instskip(SKIP_1) | instid1(VALU_DEP_2)
	v_mul_hi_u32 v3, s52, v1
	v_mul_lo_u32 v5, v1, s48
	v_add_nc_u32_e32 v3, v1, v3
	s_delay_alu instid0(VALU_DEP_2) | instskip(NEXT) | instid1(VALU_DEP_2)
	v_sub_nc_u32_e32 v0, v0, v5
	v_lshrrev_b32_e32 v3, s53, v3
	s_delay_alu instid0(VALU_DEP_2) | instskip(SKIP_1) | instid1(VALU_DEP_3)
	v_mul_lo_u32 v5, v0, s56
	v_mul_lo_u32 v7, v0, s57
	v_mul_hi_u32 v4, s55, v3
	s_delay_alu instid0(VALU_DEP_1) | instskip(NEXT) | instid1(VALU_DEP_1)
	v_add_nc_u32_e32 v4, v3, v4
	v_lshrrev_b32_e32 v4, s8, v4
	s_delay_alu instid0(VALU_DEP_1) | instskip(SKIP_1) | instid1(VALU_DEP_2)
	v_mul_hi_u32 v6, s10, v4
	v_mul_lo_u32 v8, v4, s54
	v_add_nc_u32_e32 v0, v4, v6
	v_mul_lo_u32 v6, v3, s51
	s_delay_alu instid0(VALU_DEP_3) | instskip(NEXT) | instid1(VALU_DEP_3)
	v_sub_nc_u32_e32 v3, v3, v8
	v_lshrrev_b32_e32 v0, s11, v0
	s_delay_alu instid0(VALU_DEP_2) | instskip(SKIP_2) | instid1(VALU_DEP_4)
	v_mul_lo_u32 v8, v3, s60
	v_mul_lo_u32 v3, v3, s61
	v_sub_nc_u32_e32 v1, v1, v6
	v_mul_lo_u32 v9, v0, s9
	s_delay_alu instid0(VALU_DEP_2) | instskip(SKIP_1) | instid1(VALU_DEP_3)
	v_mul_lo_u32 v6, v1, s58
	v_mul_lo_u32 v1, v1, s59
	v_sub_nc_u32_e32 v4, v4, v9
	s_delay_alu instid0(VALU_DEP_3) | instskip(NEXT) | instid1(VALU_DEP_2)
	v_add3_u32 v5, v5, v31, v6
	v_mul_lo_u32 v9, v4, s62
	v_mul_lo_u32 v4, v4, s63
	v_add3_u32 v1, v7, v2, v1
	s_delay_alu instid0(VALU_DEP_3) | instskip(NEXT) | instid1(VALU_DEP_2)
	v_add3_u32 v31, v8, v5, v9
	v_add3_u32 v2, v3, v1, v4
	s_cbranch_scc1 .LBB11_6
	s_branch .LBB11_9
.LBB11_7:
	s_mov_b32 s4, -1
                                        ; implicit-def: $vgpr31
                                        ; implicit-def: $vgpr2
	s_branch .LBB11_12
.LBB11_8:
	v_mov_b32_e32 v0, v32
	v_mov_b32_e32 v2, 0
.LBB11_9:
	s_and_b32 s6, s6, 3
	s_delay_alu instid0(SALU_CYCLE_1)
	s_cmp_eq_u32 s6, 0
	s_cbranch_scc1 .LBB11_12
; %bb.10:
	s_lshl_b32 s0, s5, 3
	s_mul_i32 s2, s5, 12
	s_add_u32 s0, s0, s14
	s_addc_u32 s1, s15, 0
	s_add_u32 s0, s0, 0xc4
	s_addc_u32 s1, s1, 0
	;; [unrolled: 2-line block ×3, first 2 shown]
	.p2align	6
.LBB11_11:                              ; =>This Inner Loop Header: Depth=1
	s_clause 0x1
	s_load_b64 s[8:9], s[2:3], 0x4
	s_load_b32 s5, s[2:3], 0xc
	s_load_b64 s[10:11], s[0:1], 0x0
	s_add_u32 s2, s2, 12
	s_addc_u32 s3, s3, 0
	s_add_u32 s0, s0, 8
	s_addc_u32 s1, s1, 0
	s_add_i32 s6, s6, -1
	s_delay_alu instid0(SALU_CYCLE_1) | instskip(SKIP_2) | instid1(VALU_DEP_1)
	s_cmp_lg_u32 s6, 0
	s_waitcnt lgkmcnt(0)
	v_mul_hi_u32 v1, s9, v0
	v_add_nc_u32_e32 v1, v0, v1
	s_delay_alu instid0(VALU_DEP_1) | instskip(NEXT) | instid1(VALU_DEP_1)
	v_lshrrev_b32_e32 v1, s5, v1
	v_mul_lo_u32 v3, v1, s8
	s_delay_alu instid0(VALU_DEP_1) | instskip(NEXT) | instid1(VALU_DEP_1)
	v_sub_nc_u32_e32 v0, v0, v3
	v_mad_u64_u32 v[3:4], null, v0, s10, v[31:32]
	s_delay_alu instid0(VALU_DEP_1) | instskip(SKIP_1) | instid1(VALU_DEP_2)
	v_mad_u64_u32 v[4:5], null, v0, s11, v[2:3]
	v_dual_mov_b32 v0, v1 :: v_dual_mov_b32 v31, v3
	v_mov_b32_e32 v2, v4
	s_cbranch_scc1 .LBB11_11
.LBB11_12:
	s_and_not1_b32 vcc_lo, exec_lo, s4
	s_cbranch_vccnz .LBB11_15
; %bb.13:
	s_waitcnt lgkmcnt(0)
	v_mul_hi_u32 v0, s25, v32
	s_and_not1_b32 vcc_lo, exec_lo, s40
	s_delay_alu instid0(VALU_DEP_1) | instskip(NEXT) | instid1(VALU_DEP_1)
	v_add_nc_u32_e32 v0, v32, v0
	v_lshrrev_b32_e32 v0, s26, v0
	s_delay_alu instid0(VALU_DEP_1) | instskip(NEXT) | instid1(VALU_DEP_1)
	v_mul_lo_u32 v1, v0, s24
	v_sub_nc_u32_e32 v1, v32, v1
	s_delay_alu instid0(VALU_DEP_1)
	v_mul_lo_u32 v31, v1, s20
	v_mul_lo_u32 v2, v1, s21
	s_cbranch_vccnz .LBB11_15
; %bb.14:
	v_mul_hi_u32 v1, s28, v0
	s_delay_alu instid0(VALU_DEP_1) | instskip(NEXT) | instid1(VALU_DEP_1)
	v_add_nc_u32_e32 v1, v0, v1
	v_lshrrev_b32_e32 v1, s29, v1
	s_delay_alu instid0(VALU_DEP_1) | instskip(NEXT) | instid1(VALU_DEP_1)
	v_mul_lo_u32 v1, v1, s27
	v_sub_nc_u32_e32 v5, v0, v1
	s_delay_alu instid0(VALU_DEP_1) | instskip(SKIP_1) | instid1(VALU_DEP_1)
	v_mad_u64_u32 v[0:1], null, v5, s22, v[31:32]
	v_mad_u64_u32 v[3:4], null, v5, s23, v[2:3]
	v_dual_mov_b32 v31, v0 :: v_dual_mov_b32 v2, v3
.LBB11_15:
	s_waitcnt lgkmcnt(0)
	v_dual_mov_b32 v0, s18 :: v_dual_mov_b32 v1, s19
	v_mov_b32_e32 v3, v30
	s_getpc_b64 s[0:1]
	s_add_u32 s0, s0, _ZN2at6native6invokeIZZZNS0_12_GLOBAL__N_137scaled_modified_bessel_k1_kernel_cudaERNS_18TensorIteratorBaseEENKUlvE_clEvENKUlvE_clEvEUldE_j15function_traitsIS7_EEENT1_11result_typeERKT_PrKPcPKT0_PKN3c1010ScalarTypeEi@rel32@lo+4
	s_addc_u32 s1, s1, _ZN2at6native6invokeIZZZNS0_12_GLOBAL__N_137scaled_modified_bessel_k1_kernel_cudaERNS_18TensorIteratorBaseEENKUlvE_clEvENKUlvE_clEvEUldE_j15function_traitsIS7_EEENT1_11result_typeERKT_PrKPcPKT0_PKN3c1010ScalarTypeEi@rel32@hi+12
	s_delay_alu instid0(SALU_CYCLE_1) | instskip(SKIP_2) | instid1(VALU_DEP_1)
	s_swappc_b64 s[30:31], s[0:1]
	v_and_b32_e32 v6, 0xff, v33
	v_add_co_u32 v4, s1, s16, v31
	v_add_co_ci_u32_e64 v5, null, s17, 0, s1
	s_delay_alu instid0(VALU_DEP_3)
	v_cmp_gt_i16_e32 vcc_lo, 11, v6
	s_mov_b32 s0, 0
	s_mov_b32 s2, -1
	s_mov_b32 s1, 0
	s_cbranch_vccnz .LBB11_93
; %bb.16:
	v_cmp_lt_i16_e32 vcc_lo, 25, v6
	s_cbranch_vccz .LBB11_49
; %bb.17:
	v_cmp_lt_i16_e32 vcc_lo, 28, v6
	s_cbranch_vccz .LBB11_32
	;; [unrolled: 3-line block ×4, first 2 shown]
; %bb.20:
	v_cmp_eq_u16_e32 vcc_lo, 46, v6
	s_mov_b32 s2, 0
	s_mov_b32 s0, -1
	s_cbranch_vccz .LBB11_22
; %bb.21:
	v_cvt_f32_f64_e32 v2, v[0:1]
	s_mov_b32 s1, -1
	s_mov_b32 s0, 0
	s_delay_alu instid0(VALU_DEP_1) | instskip(SKIP_1) | instid1(VALU_DEP_2)
	v_bfe_u32 v3, v2, 16, 1
	v_cmp_o_f32_e32 vcc_lo, v2, v2
	v_add3_u32 v3, v2, v3, 0x7fff
	s_delay_alu instid0(VALU_DEP_1) | instskip(NEXT) | instid1(VALU_DEP_1)
	v_lshrrev_b32_e32 v3, 16, v3
	v_cndmask_b32_e32 v2, 0x7fc0, v3, vcc_lo
	global_store_b32 v[4:5], v2, off
.LBB11_22:
	s_and_b32 vcc_lo, exec_lo, s2
	s_cbranch_vccz .LBB11_27
; %bb.23:
	v_cmp_eq_u16_e32 vcc_lo, 44, v6
	s_mov_b32 s0, -1
	s_cbranch_vccz .LBB11_27
; %bb.24:
	v_cvt_f32_f64_e32 v2, v[0:1]
	v_mov_b32_e32 v3, 0xff
	s_mov_b32 s1, exec_lo
	s_delay_alu instid0(VALU_DEP_2) | instskip(NEXT) | instid1(VALU_DEP_1)
	v_bfe_u32 v7, v2, 23, 8
	v_cmpx_ne_u32_e32 0xff, v7
; %bb.25:
	v_and_b32_e32 v3, 0x400000, v2
	v_and_or_b32 v7, 0x3fffff, v2, v7
	v_lshrrev_b32_e32 v2, 23, v2
	s_delay_alu instid0(VALU_DEP_3) | instskip(NEXT) | instid1(VALU_DEP_3)
	v_cmp_ne_u32_e32 vcc_lo, 0, v3
	v_cmp_ne_u32_e64 s0, 0, v7
	s_delay_alu instid0(VALU_DEP_1) | instskip(NEXT) | instid1(SALU_CYCLE_1)
	s_and_b32 s0, vcc_lo, s0
	v_cndmask_b32_e64 v3, 0, 1, s0
	s_delay_alu instid0(VALU_DEP_1)
	v_add_nc_u32_e32 v3, v2, v3
; %bb.26:
	s_or_b32 exec_lo, exec_lo, s1
	s_mov_b32 s1, -1
	s_mov_b32 s0, 0
	global_store_b8 v[4:5], v3, off
.LBB11_27:
	s_mov_b32 s2, 0
.LBB11_28:
	s_delay_alu instid0(SALU_CYCLE_1)
	s_and_b32 vcc_lo, exec_lo, s2
	s_cbranch_vccz .LBB11_31
; %bb.29:
	v_cmp_eq_u16_e32 vcc_lo, 29, v6
	s_mov_b32 s0, -1
	s_cbranch_vccz .LBB11_31
; %bb.30:
	v_trunc_f64_e32 v[2:3], v[0:1]
	s_mov_b32 s1, -1
	s_mov_b32 s0, 0
	s_delay_alu instid0(VALU_DEP_1) | instskip(NEXT) | instid1(VALU_DEP_1)
	v_ldexp_f64 v[7:8], v[2:3], 0xffffffe0
	v_floor_f64_e32 v[7:8], v[7:8]
	s_delay_alu instid0(VALU_DEP_1) | instskip(SKIP_1) | instid1(VALU_DEP_2)
	v_fma_f64 v[2:3], 0xc1f00000, v[7:8], v[2:3]
	v_cvt_u32_f64_e32 v8, v[7:8]
	v_cvt_u32_f64_e32 v7, v[2:3]
	global_store_b64 v[4:5], v[7:8], off
.LBB11_31:
	s_mov_b32 s2, 0
.LBB11_32:
	s_delay_alu instid0(SALU_CYCLE_1)
	s_and_b32 vcc_lo, exec_lo, s2
	s_cbranch_vccz .LBB11_48
; %bb.33:
	v_cmp_gt_i16_e32 vcc_lo, 27, v6
	s_mov_b32 s1, -1
	s_cbranch_vccnz .LBB11_39
; %bb.34:
	v_cvt_u32_f64_e32 v2, v[0:1]
	v_cmp_lt_i16_e32 vcc_lo, 27, v6
	s_cbranch_vccz .LBB11_36
; %bb.35:
	s_mov_b32 s1, 0
	global_store_b32 v[4:5], v2, off
.LBB11_36:
	s_and_not1_b32 vcc_lo, exec_lo, s1
	s_cbranch_vccnz .LBB11_38
; %bb.37:
	global_store_b16 v[4:5], v2, off
.LBB11_38:
	s_mov_b32 s1, 0
.LBB11_39:
	s_delay_alu instid0(SALU_CYCLE_1)
	s_and_not1_b32 vcc_lo, exec_lo, s1
	s_cbranch_vccnz .LBB11_47
; %bb.40:
	v_cvt_f32_f64_e32 v2, v[0:1]
	v_mov_b32_e32 v7, 0x80
	s_mov_b32 s1, exec_lo
	s_delay_alu instid0(VALU_DEP_2) | instskip(NEXT) | instid1(VALU_DEP_1)
	v_and_b32_e32 v3, 0x7fffffff, v2
	v_cmpx_gt_u32_e32 0x43800000, v3
	s_cbranch_execz .LBB11_46
; %bb.41:
	v_cmp_lt_u32_e32 vcc_lo, 0x3bffffff, v3
	s_mov_b32 s2, 0
                                        ; implicit-def: $vgpr3
	s_and_saveexec_b32 s3, vcc_lo
	s_delay_alu instid0(SALU_CYCLE_1)
	s_xor_b32 s3, exec_lo, s3
	s_cbranch_execz .LBB11_772
; %bb.42:
	v_bfe_u32 v3, v2, 20, 1
	s_mov_b32 s2, exec_lo
	s_delay_alu instid0(VALU_DEP_1) | instskip(NEXT) | instid1(VALU_DEP_1)
	v_add3_u32 v3, v2, v3, 0x487ffff
	v_lshrrev_b32_e32 v3, 20, v3
	s_or_saveexec_b32 s3, s3
                                        ; implicit-def: $sgpr4
	s_delay_alu instid0(SALU_CYCLE_1)
	s_xor_b32 exec_lo, exec_lo, s3
	s_cbranch_execnz .LBB11_773
.LBB11_43:
	s_or_b32 exec_lo, exec_lo, s3
	v_mov_b32_e32 v7, s4
	s_and_saveexec_b32 s3, s2
.LBB11_44:
	v_lshrrev_b32_e32 v2, 24, v2
	s_delay_alu instid0(VALU_DEP_1)
	v_and_or_b32 v7, 0x80, v2, v3
.LBB11_45:
	s_or_b32 exec_lo, exec_lo, s3
.LBB11_46:
	s_delay_alu instid0(SALU_CYCLE_1)
	s_or_b32 exec_lo, exec_lo, s1
	global_store_b8 v[4:5], v7, off
.LBB11_47:
	s_mov_b32 s1, -1
.LBB11_48:
	s_mov_b32 s2, 0
.LBB11_49:
	s_delay_alu instid0(SALU_CYCLE_1)
	s_and_b32 vcc_lo, exec_lo, s2
	s_cbranch_vccz .LBB11_90
; %bb.50:
	v_cmp_lt_i16_e32 vcc_lo, 22, v6
	s_mov_b32 s2, -1
	s_cbranch_vccz .LBB11_82
; %bb.51:
	v_cmp_gt_i16_e32 vcc_lo, 24, v6
	s_mov_b32 s1, -1
	s_cbranch_vccnz .LBB11_71
; %bb.52:
	v_cmp_lt_i16_e32 vcc_lo, 24, v6
	s_cbranch_vccz .LBB11_60
; %bb.53:
	v_cvt_f32_f64_e32 v2, v[0:1]
	v_mov_b32_e32 v7, 0x80
	s_mov_b32 s1, exec_lo
	s_delay_alu instid0(VALU_DEP_2) | instskip(NEXT) | instid1(VALU_DEP_1)
	v_and_b32_e32 v3, 0x7fffffff, v2
	v_cmpx_gt_u32_e32 0x47800000, v3
	s_cbranch_execz .LBB11_59
; %bb.54:
	v_cmp_lt_u32_e32 vcc_lo, 0x37ffffff, v3
	s_mov_b32 s2, 0
                                        ; implicit-def: $vgpr3
	s_and_saveexec_b32 s3, vcc_lo
	s_delay_alu instid0(SALU_CYCLE_1)
	s_xor_b32 s3, exec_lo, s3
	s_cbranch_execz .LBB11_783
; %bb.55:
	v_bfe_u32 v3, v2, 21, 1
	s_mov_b32 s2, exec_lo
	s_delay_alu instid0(VALU_DEP_1) | instskip(NEXT) | instid1(VALU_DEP_1)
	v_add3_u32 v3, v2, v3, 0x88fffff
	v_lshrrev_b32_e32 v3, 21, v3
	s_or_saveexec_b32 s3, s3
                                        ; implicit-def: $sgpr4
	s_delay_alu instid0(SALU_CYCLE_1)
	s_xor_b32 exec_lo, exec_lo, s3
	s_cbranch_execnz .LBB11_784
.LBB11_56:
	s_or_b32 exec_lo, exec_lo, s3
	v_mov_b32_e32 v7, s4
	s_and_saveexec_b32 s3, s2
.LBB11_57:
	v_lshrrev_b32_e32 v2, 24, v2
	s_delay_alu instid0(VALU_DEP_1)
	v_and_or_b32 v7, 0x80, v2, v3
.LBB11_58:
	s_or_b32 exec_lo, exec_lo, s3
.LBB11_59:
	s_delay_alu instid0(SALU_CYCLE_1)
	s_or_b32 exec_lo, exec_lo, s1
	s_mov_b32 s1, 0
	global_store_b8 v[4:5], v7, off
.LBB11_60:
	s_and_b32 vcc_lo, exec_lo, s1
	s_cbranch_vccz .LBB11_70
; %bb.61:
	v_cvt_f32_f64_e32 v2, v[0:1]
	s_mov_b32 s1, exec_lo
                                        ; implicit-def: $vgpr3
	s_delay_alu instid0(VALU_DEP_1) | instskip(NEXT) | instid1(VALU_DEP_1)
	v_and_b32_e32 v7, 0x7fffffff, v2
	v_cmpx_gt_u32_e32 0x43f00000, v7
	s_xor_b32 s1, exec_lo, s1
	s_cbranch_execz .LBB11_67
; %bb.62:
	s_mov_b32 s2, exec_lo
                                        ; implicit-def: $vgpr3
	v_cmpx_lt_u32_e32 0x3c7fffff, v7
	s_xor_b32 s2, exec_lo, s2
; %bb.63:
	v_bfe_u32 v3, v2, 20, 1
	s_delay_alu instid0(VALU_DEP_1) | instskip(NEXT) | instid1(VALU_DEP_1)
	v_add3_u32 v3, v2, v3, 0x407ffff
	v_and_b32_e32 v7, 0xff00000, v3
	v_lshrrev_b32_e32 v3, 20, v3
	s_delay_alu instid0(VALU_DEP_2) | instskip(NEXT) | instid1(VALU_DEP_2)
	v_cmp_ne_u32_e32 vcc_lo, 0x7f00000, v7
	v_cndmask_b32_e32 v3, 0x7e, v3, vcc_lo
; %bb.64:
	s_and_not1_saveexec_b32 s2, s2
; %bb.65:
	v_add_f32_e64 v3, 0x46800000, |v2|
; %bb.66:
	s_or_b32 exec_lo, exec_lo, s2
                                        ; implicit-def: $vgpr7
.LBB11_67:
	s_and_not1_saveexec_b32 s1, s1
; %bb.68:
	v_mov_b32_e32 v3, 0x7f
	v_cmp_lt_u32_e32 vcc_lo, 0x7f800000, v7
	s_delay_alu instid0(VALU_DEP_2)
	v_cndmask_b32_e32 v3, 0x7e, v3, vcc_lo
; %bb.69:
	s_or_b32 exec_lo, exec_lo, s1
	v_lshrrev_b32_e32 v2, 24, v2
	s_delay_alu instid0(VALU_DEP_1)
	v_and_or_b32 v2, 0x80, v2, v3
	global_store_b8 v[4:5], v2, off
.LBB11_70:
	s_mov_b32 s1, 0
.LBB11_71:
	s_delay_alu instid0(SALU_CYCLE_1)
	s_and_not1_b32 vcc_lo, exec_lo, s1
	s_cbranch_vccnz .LBB11_81
; %bb.72:
	v_cvt_f32_f64_e32 v2, v[0:1]
	s_mov_b32 s1, exec_lo
                                        ; implicit-def: $vgpr3
	s_delay_alu instid0(VALU_DEP_1) | instskip(NEXT) | instid1(VALU_DEP_1)
	v_and_b32_e32 v7, 0x7fffffff, v2
	v_cmpx_gt_u32_e32 0x47800000, v7
	s_xor_b32 s1, exec_lo, s1
	s_cbranch_execz .LBB11_78
; %bb.73:
	s_mov_b32 s2, exec_lo
                                        ; implicit-def: $vgpr3
	v_cmpx_lt_u32_e32 0x387fffff, v7
	s_xor_b32 s2, exec_lo, s2
; %bb.74:
	v_bfe_u32 v3, v2, 21, 1
	s_delay_alu instid0(VALU_DEP_1) | instskip(NEXT) | instid1(VALU_DEP_1)
	v_add3_u32 v3, v2, v3, 0x80fffff
	v_lshrrev_b32_e32 v3, 21, v3
; %bb.75:
	s_and_not1_saveexec_b32 s2, s2
; %bb.76:
	v_add_f32_e64 v3, 0x43000000, |v2|
; %bb.77:
	s_or_b32 exec_lo, exec_lo, s2
                                        ; implicit-def: $vgpr7
.LBB11_78:
	s_and_not1_saveexec_b32 s1, s1
; %bb.79:
	v_mov_b32_e32 v3, 0x7f
	v_cmp_lt_u32_e32 vcc_lo, 0x7f800000, v7
	s_delay_alu instid0(VALU_DEP_2)
	v_cndmask_b32_e32 v3, 0x7c, v3, vcc_lo
; %bb.80:
	s_or_b32 exec_lo, exec_lo, s1
	v_lshrrev_b32_e32 v2, 24, v2
	s_delay_alu instid0(VALU_DEP_1)
	v_and_or_b32 v2, 0x80, v2, v3
	global_store_b8 v[4:5], v2, off
.LBB11_81:
	s_mov_b32 s2, 0
	s_mov_b32 s1, -1
.LBB11_82:
	s_and_not1_b32 vcc_lo, exec_lo, s2
	s_cbranch_vccnz .LBB11_90
; %bb.83:
	v_cmp_lt_i16_e32 vcc_lo, 14, v6
	s_mov_b32 s2, -1
	s_cbranch_vccz .LBB11_87
; %bb.84:
	v_cmp_eq_u16_e32 vcc_lo, 15, v6
	s_mov_b32 s0, -1
	s_cbranch_vccz .LBB11_86
; %bb.85:
	v_cvt_f32_f64_e32 v2, v[0:1]
	s_mov_b32 s1, -1
	s_mov_b32 s0, 0
	s_delay_alu instid0(VALU_DEP_1) | instskip(SKIP_1) | instid1(VALU_DEP_2)
	v_bfe_u32 v3, v2, 16, 1
	v_cmp_o_f32_e32 vcc_lo, v2, v2
	v_add3_u32 v3, v2, v3, 0x7fff
	s_delay_alu instid0(VALU_DEP_1) | instskip(NEXT) | instid1(VALU_DEP_1)
	v_lshrrev_b32_e32 v3, 16, v3
	v_cndmask_b32_e32 v2, 0x7fc0, v3, vcc_lo
	global_store_b16 v[4:5], v2, off
.LBB11_86:
	s_mov_b32 s2, 0
.LBB11_87:
	s_delay_alu instid0(SALU_CYCLE_1)
	s_and_b32 vcc_lo, exec_lo, s2
	s_cbranch_vccz .LBB11_90
; %bb.88:
	v_cmp_eq_u16_e32 vcc_lo, 11, v6
	s_mov_b32 s0, -1
	s_cbranch_vccz .LBB11_90
; %bb.89:
	v_cmp_neq_f64_e32 vcc_lo, 0, v[0:1]
	s_mov_b32 s1, -1
	s_mov_b32 s0, 0
	v_cndmask_b32_e64 v2, 0, 1, vcc_lo
	global_store_b8 v[4:5], v2, off
.LBB11_90:
.LBB11_91:
	s_and_not1_b32 vcc_lo, exec_lo, s1
	s_cbranch_vccnz .LBB11_132
.LBB11_92:
	v_add_nc_u32_e32 v32, 0x80, v32
	s_mov_b32 s1, -1
	s_branch .LBB11_133
.LBB11_93:
	s_and_b32 vcc_lo, exec_lo, s2
	s_cbranch_vccz .LBB11_91
; %bb.94:
	v_cmp_gt_i16_e32 vcc_lo, 5, v6
	s_mov_b32 s1, -1
	s_cbranch_vccnz .LBB11_115
; %bb.95:
	v_cmp_gt_i16_e32 vcc_lo, 8, v6
	s_cbranch_vccnz .LBB11_105
; %bb.96:
	v_cmp_gt_i16_e32 vcc_lo, 9, v6
	s_cbranch_vccnz .LBB11_102
; %bb.97:
	v_cmp_lt_i16_e32 vcc_lo, 9, v6
	s_cbranch_vccz .LBB11_99
; %bb.98:
	v_mov_b32_e32 v2, 0
	s_mov_b32 s1, 0
	s_delay_alu instid0(VALU_DEP_1)
	v_mov_b32_e32 v3, v2
	global_store_b128 v[4:5], v[0:3], off
.LBB11_99:
	s_and_not1_b32 vcc_lo, exec_lo, s1
	s_cbranch_vccnz .LBB11_101
; %bb.100:
	v_cvt_f32_f64_e32 v2, v[0:1]
	v_mov_b32_e32 v3, 0
	global_store_b64 v[4:5], v[2:3], off
.LBB11_101:
	s_mov_b32 s1, 0
.LBB11_102:
	s_delay_alu instid0(SALU_CYCLE_1)
	s_and_not1_b32 vcc_lo, exec_lo, s1
	s_cbranch_vccnz .LBB11_104
; %bb.103:
	v_cvt_f32_f64_e32 v2, v[0:1]
	s_delay_alu instid0(VALU_DEP_1) | instskip(NEXT) | instid1(VALU_DEP_1)
	v_cvt_f16_f32_e32 v2, v2
	v_and_b32_e32 v2, 0xffff, v2
	global_store_b32 v[4:5], v2, off
.LBB11_104:
	s_mov_b32 s1, 0
.LBB11_105:
	s_delay_alu instid0(SALU_CYCLE_1)
	s_and_not1_b32 vcc_lo, exec_lo, s1
	s_cbranch_vccnz .LBB11_114
; %bb.106:
	v_cmp_gt_i16_e32 vcc_lo, 6, v6
	s_mov_b32 s1, -1
	s_cbranch_vccnz .LBB11_112
; %bb.107:
	v_cmp_lt_i16_e32 vcc_lo, 6, v6
	s_cbranch_vccz .LBB11_109
; %bb.108:
	s_mov_b32 s1, 0
	global_store_b64 v[4:5], v[0:1], off
.LBB11_109:
	s_and_not1_b32 vcc_lo, exec_lo, s1
	s_cbranch_vccnz .LBB11_111
; %bb.110:
	v_cvt_f32_f64_e32 v2, v[0:1]
	global_store_b32 v[4:5], v2, off
.LBB11_111:
	s_mov_b32 s1, 0
.LBB11_112:
	s_delay_alu instid0(SALU_CYCLE_1)
	s_and_not1_b32 vcc_lo, exec_lo, s1
	s_cbranch_vccnz .LBB11_114
; %bb.113:
	v_cvt_f32_f64_e32 v2, v[0:1]
	s_delay_alu instid0(VALU_DEP_1)
	v_cvt_f16_f32_e32 v2, v2
	global_store_b16 v[4:5], v2, off
.LBB11_114:
	s_mov_b32 s1, 0
.LBB11_115:
	s_delay_alu instid0(SALU_CYCLE_1)
	s_and_not1_b32 vcc_lo, exec_lo, s1
	s_cbranch_vccnz .LBB11_131
; %bb.116:
	v_cmp_gt_i16_e32 vcc_lo, 2, v6
	s_mov_b32 s1, -1
	s_cbranch_vccnz .LBB11_126
; %bb.117:
	v_cmp_gt_i16_e32 vcc_lo, 3, v6
	s_cbranch_vccnz .LBB11_123
; %bb.118:
	v_cmp_lt_i16_e32 vcc_lo, 3, v6
	s_cbranch_vccz .LBB11_120
; %bb.119:
	v_trunc_f64_e32 v[2:3], v[0:1]
	s_mov_b32 s1, 0
	s_delay_alu instid0(VALU_DEP_1) | instskip(NEXT) | instid1(VALU_DEP_1)
	v_ldexp_f64 v[7:8], v[2:3], 0xffffffe0
	v_floor_f64_e32 v[7:8], v[7:8]
	s_delay_alu instid0(VALU_DEP_1) | instskip(SKIP_1) | instid1(VALU_DEP_2)
	v_fma_f64 v[2:3], 0xc1f00000, v[7:8], v[2:3]
	v_cvt_i32_f64_e32 v8, v[7:8]
	v_cvt_u32_f64_e32 v7, v[2:3]
	global_store_b64 v[4:5], v[7:8], off
.LBB11_120:
	s_and_not1_b32 vcc_lo, exec_lo, s1
	s_cbranch_vccnz .LBB11_122
; %bb.121:
	v_cvt_i32_f64_e32 v2, v[0:1]
	global_store_b32 v[4:5], v2, off
.LBB11_122:
	s_mov_b32 s1, 0
.LBB11_123:
	s_delay_alu instid0(SALU_CYCLE_1)
	s_and_not1_b32 vcc_lo, exec_lo, s1
	s_cbranch_vccnz .LBB11_125
; %bb.124:
	v_cvt_i32_f64_e32 v2, v[0:1]
	global_store_b16 v[4:5], v2, off
.LBB11_125:
	s_mov_b32 s1, 0
.LBB11_126:
	s_delay_alu instid0(SALU_CYCLE_1)
	s_and_not1_b32 vcc_lo, exec_lo, s1
	s_cbranch_vccnz .LBB11_131
; %bb.127:
	v_cmp_lt_i16_e32 vcc_lo, 0, v6
	s_mov_b32 s1, -1
	s_cbranch_vccz .LBB11_129
; %bb.128:
	v_cvt_i32_f64_e32 v2, v[0:1]
	s_mov_b32 s1, 0
	global_store_b8 v[4:5], v2, off
.LBB11_129:
	s_and_not1_b32 vcc_lo, exec_lo, s1
	s_cbranch_vccnz .LBB11_131
; %bb.130:
	v_trunc_f64_e32 v[0:1], v[0:1]
	s_delay_alu instid0(VALU_DEP_1) | instskip(NEXT) | instid1(VALU_DEP_1)
	v_ldexp_f64 v[2:3], v[0:1], 0xffffffe0
	v_floor_f64_e32 v[2:3], v[2:3]
	s_delay_alu instid0(VALU_DEP_1) | instskip(NEXT) | instid1(VALU_DEP_1)
	v_fma_f64 v[0:1], 0xc1f00000, v[2:3], v[0:1]
	v_cvt_u32_f64_e32 v0, v[0:1]
	global_store_b8 v[4:5], v0, off
.LBB11_131:
	s_branch .LBB11_92
.LBB11_132:
	s_mov_b32 s1, 0
                                        ; implicit-def: $vgpr32
.LBB11_133:
	s_and_b32 s44, s0, exec_lo
	s_or_not1_b32 s0, s1, exec_lo
.LBB11_134:
	s_or_b32 exec_lo, exec_lo, s45
	s_mov_b32 s1, 0
                                        ; implicit-def: $vgpr6
                                        ; implicit-def: $vgpr4_vgpr5
                                        ; implicit-def: $vgpr0_vgpr1
	s_and_saveexec_b32 s45, s0
	s_cbranch_execz .LBB11_141
; %bb.135:
	s_mov_b32 s2, -1
	s_mov_b32 s46, s44
	s_mov_b32 s47, exec_lo
	v_cmpx_gt_i32_e64 s41, v32
	s_cbranch_execz .LBB11_858
; %bb.136:
	s_and_not1_b32 vcc_lo, exec_lo, s38
	s_cbranch_vccnz .LBB11_711
; %bb.137:
	v_dual_mov_b32 v31, 0 :: v_dual_mov_b32 v2, 0
	s_and_not1_b32 vcc_lo, exec_lo, s43
	s_mov_b32 s4, 0
	s_cbranch_vccnz .LBB11_716
; %bb.138:
	v_mov_b32_e32 v31, 0
	s_add_i32 s6, s42, 1
	s_cmp_eq_u32 s36, 2
	s_mov_b32 s5, 0
	s_cbranch_scc1 .LBB11_712
; %bb.139:
	v_dual_mov_b32 v2, 0 :: v_dual_mov_b32 v31, 0
	v_mov_b32_e32 v0, v32
	s_and_b32 s5, s6, 28
	s_mov_b32 s7, 0
	s_mov_b64 s[0:1], s[34:35]
	s_mov_b64 s[2:3], s[14:15]
.LBB11_140:                             ; =>This Inner Loop Header: Depth=1
	s_clause 0x1
	s_load_b256 s[48:55], s[2:3], 0x4
	s_load_b128 s[8:11], s[2:3], 0x24
	s_load_b256 s[56:63], s[0:1], 0x0
	s_add_u32 s2, s2, 48
	s_addc_u32 s3, s3, 0
	s_add_i32 s7, s7, 4
	s_add_u32 s0, s0, 32
	s_addc_u32 s1, s1, 0
	s_cmp_eq_u32 s5, s7
	s_waitcnt lgkmcnt(0)
	v_mul_hi_u32 v1, s49, v0
	s_delay_alu instid0(VALU_DEP_1) | instskip(NEXT) | instid1(VALU_DEP_1)
	v_add_nc_u32_e32 v1, v0, v1
	v_lshrrev_b32_e32 v1, s50, v1
	s_delay_alu instid0(VALU_DEP_1) | instskip(SKIP_1) | instid1(VALU_DEP_2)
	v_mul_hi_u32 v3, s52, v1
	v_mul_lo_u32 v5, v1, s48
	v_add_nc_u32_e32 v3, v1, v3
	s_delay_alu instid0(VALU_DEP_2) | instskip(NEXT) | instid1(VALU_DEP_2)
	v_sub_nc_u32_e32 v0, v0, v5
	v_lshrrev_b32_e32 v3, s53, v3
	s_delay_alu instid0(VALU_DEP_2) | instskip(SKIP_1) | instid1(VALU_DEP_3)
	v_mul_lo_u32 v5, v0, s56
	v_mul_lo_u32 v7, v0, s57
	v_mul_hi_u32 v4, s55, v3
	s_delay_alu instid0(VALU_DEP_1) | instskip(NEXT) | instid1(VALU_DEP_1)
	v_add_nc_u32_e32 v4, v3, v4
	v_lshrrev_b32_e32 v4, s8, v4
	s_delay_alu instid0(VALU_DEP_1) | instskip(SKIP_1) | instid1(VALU_DEP_2)
	v_mul_hi_u32 v6, s10, v4
	v_mul_lo_u32 v8, v4, s54
	v_add_nc_u32_e32 v0, v4, v6
	v_mul_lo_u32 v6, v3, s51
	s_delay_alu instid0(VALU_DEP_3) | instskip(NEXT) | instid1(VALU_DEP_3)
	v_sub_nc_u32_e32 v3, v3, v8
	v_lshrrev_b32_e32 v0, s11, v0
	s_delay_alu instid0(VALU_DEP_2) | instskip(SKIP_2) | instid1(VALU_DEP_4)
	v_mul_lo_u32 v8, v3, s60
	v_mul_lo_u32 v3, v3, s61
	v_sub_nc_u32_e32 v1, v1, v6
	v_mul_lo_u32 v9, v0, s9
	s_delay_alu instid0(VALU_DEP_2) | instskip(SKIP_1) | instid1(VALU_DEP_3)
	v_mul_lo_u32 v6, v1, s58
	v_mul_lo_u32 v1, v1, s59
	v_sub_nc_u32_e32 v4, v4, v9
	s_delay_alu instid0(VALU_DEP_3) | instskip(NEXT) | instid1(VALU_DEP_2)
	v_add3_u32 v5, v5, v31, v6
	v_mul_lo_u32 v9, v4, s62
	v_mul_lo_u32 v4, v4, s63
	v_add3_u32 v1, v7, v2, v1
	s_delay_alu instid0(VALU_DEP_3) | instskip(NEXT) | instid1(VALU_DEP_2)
	v_add3_u32 v31, v8, v5, v9
	v_add3_u32 v2, v3, v1, v4
	s_cbranch_scc0 .LBB11_140
	s_branch .LBB11_713
.LBB11_141:
	s_or_b32 exec_lo, exec_lo, s45
	s_mov_b32 s0, 0
	s_and_saveexec_b32 s2, s44
	s_cbranch_execnz .LBB11_1102
.LBB11_142:
	s_or_b32 exec_lo, exec_lo, s2
	s_and_saveexec_b32 s2, s46
	s_delay_alu instid0(SALU_CYCLE_1)
	s_xor_b32 s2, exec_lo, s2
	s_cbranch_execz .LBB11_144
.LBB11_143:
	v_cmp_neq_f64_e32 vcc_lo, 0, v[0:1]
	v_cndmask_b32_e64 v2, 0, 1, vcc_lo
	global_store_b8 v[4:5], v2, off
.LBB11_144:
	s_or_b32 exec_lo, exec_lo, s2
	s_and_saveexec_b32 s2, s1
	s_delay_alu instid0(SALU_CYCLE_1)
	s_xor_b32 s1, exec_lo, s2
	s_cbranch_execz .LBB11_182
; %bb.145:
	v_cmp_gt_i16_e32 vcc_lo, 5, v6
	s_mov_b32 s2, -1
	s_cbranch_vccnz .LBB11_166
; %bb.146:
	v_cmp_gt_i16_e32 vcc_lo, 8, v6
	s_cbranch_vccnz .LBB11_156
; %bb.147:
	v_cmp_gt_i16_e32 vcc_lo, 9, v6
	s_cbranch_vccnz .LBB11_153
; %bb.148:
	v_cmp_lt_i16_e32 vcc_lo, 9, v6
	s_cbranch_vccz .LBB11_150
; %bb.149:
	v_mov_b32_e32 v2, 0
	s_mov_b32 s2, 0
	s_delay_alu instid0(VALU_DEP_1)
	v_mov_b32_e32 v3, v2
	global_store_b128 v[4:5], v[0:3], off
.LBB11_150:
	s_and_not1_b32 vcc_lo, exec_lo, s2
	s_cbranch_vccnz .LBB11_152
; %bb.151:
	v_cvt_f32_f64_e32 v2, v[0:1]
	v_mov_b32_e32 v3, 0
	global_store_b64 v[4:5], v[2:3], off
.LBB11_152:
	s_mov_b32 s2, 0
.LBB11_153:
	s_delay_alu instid0(SALU_CYCLE_1)
	s_and_not1_b32 vcc_lo, exec_lo, s2
	s_cbranch_vccnz .LBB11_155
; %bb.154:
	v_cvt_f32_f64_e32 v2, v[0:1]
	s_delay_alu instid0(VALU_DEP_1) | instskip(NEXT) | instid1(VALU_DEP_1)
	v_cvt_f16_f32_e32 v2, v2
	v_and_b32_e32 v2, 0xffff, v2
	global_store_b32 v[4:5], v2, off
.LBB11_155:
	s_mov_b32 s2, 0
.LBB11_156:
	s_delay_alu instid0(SALU_CYCLE_1)
	s_and_not1_b32 vcc_lo, exec_lo, s2
	s_cbranch_vccnz .LBB11_165
; %bb.157:
	v_cmp_gt_i16_e32 vcc_lo, 6, v6
	s_mov_b32 s2, -1
	s_cbranch_vccnz .LBB11_163
; %bb.158:
	v_cmp_lt_i16_e32 vcc_lo, 6, v6
	s_cbranch_vccz .LBB11_160
; %bb.159:
	s_mov_b32 s2, 0
	global_store_b64 v[4:5], v[0:1], off
.LBB11_160:
	s_and_not1_b32 vcc_lo, exec_lo, s2
	s_cbranch_vccnz .LBB11_162
; %bb.161:
	v_cvt_f32_f64_e32 v2, v[0:1]
	global_store_b32 v[4:5], v2, off
.LBB11_162:
	s_mov_b32 s2, 0
.LBB11_163:
	s_delay_alu instid0(SALU_CYCLE_1)
	s_and_not1_b32 vcc_lo, exec_lo, s2
	s_cbranch_vccnz .LBB11_165
; %bb.164:
	v_cvt_f32_f64_e32 v2, v[0:1]
	s_delay_alu instid0(VALU_DEP_1)
	v_cvt_f16_f32_e32 v2, v2
	global_store_b16 v[4:5], v2, off
.LBB11_165:
	s_mov_b32 s2, 0
.LBB11_166:
	s_delay_alu instid0(SALU_CYCLE_1)
	s_and_not1_b32 vcc_lo, exec_lo, s2
	s_cbranch_vccnz .LBB11_182
; %bb.167:
	v_cmp_gt_i16_e32 vcc_lo, 2, v6
	s_mov_b32 s2, -1
	s_cbranch_vccnz .LBB11_177
; %bb.168:
	v_cmp_gt_i16_e32 vcc_lo, 3, v6
	s_cbranch_vccnz .LBB11_174
; %bb.169:
	v_cmp_lt_i16_e32 vcc_lo, 3, v6
	s_cbranch_vccz .LBB11_171
; %bb.170:
	v_trunc_f64_e32 v[2:3], v[0:1]
	s_mov_b32 s2, 0
	s_delay_alu instid0(VALU_DEP_1) | instskip(NEXT) | instid1(VALU_DEP_1)
	v_ldexp_f64 v[7:8], v[2:3], 0xffffffe0
	v_floor_f64_e32 v[7:8], v[7:8]
	s_delay_alu instid0(VALU_DEP_1) | instskip(SKIP_1) | instid1(VALU_DEP_2)
	v_fma_f64 v[2:3], 0xc1f00000, v[7:8], v[2:3]
	v_cvt_i32_f64_e32 v8, v[7:8]
	v_cvt_u32_f64_e32 v7, v[2:3]
	global_store_b64 v[4:5], v[7:8], off
.LBB11_171:
	s_and_not1_b32 vcc_lo, exec_lo, s2
	s_cbranch_vccnz .LBB11_173
; %bb.172:
	v_cvt_i32_f64_e32 v2, v[0:1]
	global_store_b32 v[4:5], v2, off
.LBB11_173:
	s_mov_b32 s2, 0
.LBB11_174:
	s_delay_alu instid0(SALU_CYCLE_1)
	s_and_not1_b32 vcc_lo, exec_lo, s2
	s_cbranch_vccnz .LBB11_176
; %bb.175:
	v_cvt_i32_f64_e32 v2, v[0:1]
	global_store_b16 v[4:5], v2, off
.LBB11_176:
	s_mov_b32 s2, 0
.LBB11_177:
	s_delay_alu instid0(SALU_CYCLE_1)
	s_and_not1_b32 vcc_lo, exec_lo, s2
	s_cbranch_vccnz .LBB11_182
; %bb.178:
	v_cmp_lt_i16_e32 vcc_lo, 0, v6
	s_mov_b32 s2, -1
	s_cbranch_vccz .LBB11_180
; %bb.179:
	v_cvt_i32_f64_e32 v2, v[0:1]
	s_mov_b32 s2, 0
	global_store_b8 v[4:5], v2, off
.LBB11_180:
	s_and_not1_b32 vcc_lo, exec_lo, s2
	s_cbranch_vccnz .LBB11_182
; %bb.181:
	v_trunc_f64_e32 v[0:1], v[0:1]
	s_delay_alu instid0(VALU_DEP_1) | instskip(NEXT) | instid1(VALU_DEP_1)
	v_ldexp_f64 v[2:3], v[0:1], 0xffffffe0
	v_floor_f64_e32 v[2:3], v[2:3]
	s_delay_alu instid0(VALU_DEP_1) | instskip(NEXT) | instid1(VALU_DEP_1)
	v_fma_f64 v[0:1], 0xc1f00000, v[2:3], v[0:1]
	v_cvt_u32_f64_e32 v0, v[0:1]
	global_store_b8 v[4:5], v0, off
.LBB11_182:
	s_or_b32 exec_lo, exec_lo, s1
	s_waitcnt lgkmcnt(0)
	s_and_b32 s16, s0, exec_lo
                                        ; implicit-def: $vgpr3
                                        ; implicit-def: $vgpr32
.LBB11_183:
	s_or_saveexec_b32 s17, s39
	s_mov_b32 s0, 0
                                        ; implicit-def: $vgpr6
                                        ; implicit-def: $vgpr4_vgpr5
                                        ; implicit-def: $vgpr0_vgpr1
	s_xor_b32 exec_lo, exec_lo, s17
	s_cbranch_execz .LBB11_668
; %bb.184:
	v_cndmask_b32_e64 v0, 0, 1, s38
	s_and_not1_b32 vcc_lo, exec_lo, s38
	s_cbranch_vccnz .LBB11_190
; %bb.185:
	v_dual_mov_b32 v37, 0 :: v_dual_mov_b32 v2, 0
	s_cmp_lg_u32 s33, 0
	s_mov_b32 s4, 0
	s_cbranch_scc0 .LBB11_194
; %bb.186:
	s_min_u32 s5, s36, 15
	v_mov_b32_e32 v37, 0
	s_add_i32 s5, s5, 1
	s_cmp_eq_u32 s36, 2
	s_mov_b32 s6, 0
	s_cbranch_scc1 .LBB11_191
; %bb.187:
	v_dual_mov_b32 v2, 0 :: v_dual_mov_b32 v37, 0
	v_mov_b32_e32 v1, v32
	s_add_u32 s0, s14, 0xc4
	s_addc_u32 s1, s15, 0
	s_and_b32 s6, s5, 28
	s_mov_b32 s7, 0
	s_mov_b64 s[2:3], s[14:15]
.LBB11_188:                             ; =>This Inner Loop Header: Depth=1
	s_clause 0x1
	s_load_b256 s[20:27], s[2:3], 0x4
	s_load_b128 s[8:11], s[2:3], 0x24
	s_load_b256 s[40:47], s[0:1], 0x0
	s_add_u32 s2, s2, 48
	s_addc_u32 s3, s3, 0
	s_add_i32 s7, s7, 4
	s_add_u32 s0, s0, 32
	s_addc_u32 s1, s1, 0
	s_cmp_lg_u32 s6, s7
	s_waitcnt lgkmcnt(0)
	v_mul_hi_u32 v4, s21, v1
	s_delay_alu instid0(VALU_DEP_1) | instskip(NEXT) | instid1(VALU_DEP_1)
	v_add_nc_u32_e32 v4, v1, v4
	v_lshrrev_b32_e32 v4, s22, v4
	s_delay_alu instid0(VALU_DEP_1) | instskip(SKIP_1) | instid1(VALU_DEP_2)
	v_mul_hi_u32 v5, s24, v4
	v_mul_lo_u32 v7, v4, s20
	v_add_nc_u32_e32 v5, v4, v5
	s_delay_alu instid0(VALU_DEP_2) | instskip(NEXT) | instid1(VALU_DEP_2)
	v_sub_nc_u32_e32 v1, v1, v7
	v_lshrrev_b32_e32 v5, s25, v5
	s_delay_alu instid0(VALU_DEP_2) | instskip(SKIP_1) | instid1(VALU_DEP_3)
	v_mul_lo_u32 v7, v1, s40
	v_mul_lo_u32 v9, v1, s41
	v_mul_hi_u32 v6, s27, v5
	s_delay_alu instid0(VALU_DEP_1) | instskip(NEXT) | instid1(VALU_DEP_1)
	v_add_nc_u32_e32 v6, v5, v6
	v_lshrrev_b32_e32 v6, s8, v6
	s_delay_alu instid0(VALU_DEP_1) | instskip(SKIP_1) | instid1(VALU_DEP_2)
	v_mul_hi_u32 v8, s10, v6
	v_mul_lo_u32 v10, v6, s26
	v_add_nc_u32_e32 v1, v6, v8
	v_mul_lo_u32 v8, v5, s23
	s_delay_alu instid0(VALU_DEP_3) | instskip(NEXT) | instid1(VALU_DEP_3)
	v_sub_nc_u32_e32 v5, v5, v10
	v_lshrrev_b32_e32 v1, s11, v1
	s_delay_alu instid0(VALU_DEP_2) | instskip(SKIP_2) | instid1(VALU_DEP_4)
	v_mul_lo_u32 v10, v5, s44
	v_mul_lo_u32 v5, v5, s45
	v_sub_nc_u32_e32 v4, v4, v8
	v_mul_lo_u32 v11, v1, s9
	s_delay_alu instid0(VALU_DEP_2) | instskip(SKIP_1) | instid1(VALU_DEP_3)
	v_mul_lo_u32 v8, v4, s42
	v_mul_lo_u32 v4, v4, s43
	v_sub_nc_u32_e32 v6, v6, v11
	s_delay_alu instid0(VALU_DEP_3) | instskip(NEXT) | instid1(VALU_DEP_2)
	v_add3_u32 v7, v7, v37, v8
	v_mul_lo_u32 v11, v6, s46
	v_mul_lo_u32 v6, v6, s47
	v_add3_u32 v2, v9, v2, v4
	s_delay_alu instid0(VALU_DEP_3) | instskip(NEXT) | instid1(VALU_DEP_2)
	v_add3_u32 v37, v10, v7, v11
	v_add3_u32 v2, v5, v2, v6
	s_cbranch_scc1 .LBB11_188
; %bb.189:
	s_and_b32 s5, s5, 3
	s_delay_alu instid0(SALU_CYCLE_1)
	s_cmp_eq_u32 s5, 0
	s_cbranch_scc0 .LBB11_192
	s_branch .LBB11_194
.LBB11_190:
	s_mov_b32 s4, -1
                                        ; implicit-def: $vgpr37
                                        ; implicit-def: $vgpr2
	s_branch .LBB11_194
.LBB11_191:
	v_dual_mov_b32 v1, v32 :: v_dual_mov_b32 v2, 0
	s_and_b32 s5, s5, 3
	s_delay_alu instid0(SALU_CYCLE_1)
	s_cmp_eq_u32 s5, 0
	s_cbranch_scc1 .LBB11_194
.LBB11_192:
	s_lshl_b32 s0, s6, 3
	s_mul_i32 s2, s6, 12
	s_add_u32 s0, s0, s14
	s_addc_u32 s1, 0, s15
	s_add_u32 s0, s0, 0xc4
	s_addc_u32 s1, s1, 0
	;; [unrolled: 2-line block ×3, first 2 shown]
	.p2align	6
.LBB11_193:                             ; =>This Inner Loop Header: Depth=1
	s_clause 0x1
	s_load_b64 s[6:7], s[2:3], 0x4
	s_load_b32 s10, s[2:3], 0xc
	s_load_b64 s[8:9], s[0:1], 0x0
	s_add_u32 s2, s2, 12
	s_addc_u32 s3, s3, 0
	s_add_u32 s0, s0, 8
	s_addc_u32 s1, s1, 0
	s_add_i32 s5, s5, -1
	s_delay_alu instid0(SALU_CYCLE_1) | instskip(SKIP_2) | instid1(VALU_DEP_1)
	s_cmp_lg_u32 s5, 0
	s_waitcnt lgkmcnt(0)
	v_mul_hi_u32 v4, s7, v1
	v_add_nc_u32_e32 v4, v1, v4
	s_delay_alu instid0(VALU_DEP_1) | instskip(NEXT) | instid1(VALU_DEP_1)
	v_lshrrev_b32_e32 v7, s10, v4
	v_mul_lo_u32 v4, v7, s6
	s_delay_alu instid0(VALU_DEP_1) | instskip(NEXT) | instid1(VALU_DEP_1)
	v_sub_nc_u32_e32 v1, v1, v4
	v_mad_u64_u32 v[4:5], null, v1, s8, v[37:38]
	v_mad_u64_u32 v[5:6], null, v1, s9, v[2:3]
	v_mov_b32_e32 v1, v7
	s_delay_alu instid0(VALU_DEP_2)
	v_dual_mov_b32 v37, v4 :: v_dual_mov_b32 v2, v5
	s_cbranch_scc1 .LBB11_193
.LBB11_194:
	s_and_not1_b32 vcc_lo, exec_lo, s4
	s_cbranch_vccnz .LBB11_197
; %bb.195:
	s_clause 0x1
	s_load_b128 s[0:3], s[14:15], 0x4
	s_load_b64 s[4:5], s[14:15], 0xc4
	s_cmp_lt_u32 s33, 2
	s_waitcnt lgkmcnt(0)
	v_mul_hi_u32 v1, s1, v32
	s_delay_alu instid0(VALU_DEP_1) | instskip(NEXT) | instid1(VALU_DEP_1)
	v_add_nc_u32_e32 v1, v32, v1
	v_lshrrev_b32_e32 v1, s2, v1
	s_delay_alu instid0(VALU_DEP_1) | instskip(NEXT) | instid1(VALU_DEP_1)
	v_mul_lo_u32 v2, v1, s0
	v_sub_nc_u32_e32 v2, v32, v2
	s_delay_alu instid0(VALU_DEP_1)
	v_mul_lo_u32 v37, v2, s4
	v_mul_lo_u32 v2, v2, s5
	s_cbranch_scc1 .LBB11_197
; %bb.196:
	s_clause 0x1
	s_load_b128 s[0:3], s[14:15], 0x10
	s_load_b64 s[4:5], s[14:15], 0xcc
	s_waitcnt lgkmcnt(0)
	v_mul_hi_u32 v4, s1, v1
	s_delay_alu instid0(VALU_DEP_1) | instskip(NEXT) | instid1(VALU_DEP_1)
	v_add_nc_u32_e32 v4, v1, v4
	v_lshrrev_b32_e32 v4, s2, v4
	s_delay_alu instid0(VALU_DEP_1) | instskip(NEXT) | instid1(VALU_DEP_1)
	v_mul_lo_u32 v4, v4, s0
	v_sub_nc_u32_e32 v1, v1, v4
	s_delay_alu instid0(VALU_DEP_1) | instskip(SKIP_1) | instid1(VALU_DEP_1)
	v_mad_u64_u32 v[4:5], null, v1, s4, v[37:38]
	v_mad_u64_u32 v[5:6], null, v1, s5, v[2:3]
	v_dual_mov_b32 v37, v4 :: v_dual_mov_b32 v2, v5
.LBB11_197:
	v_cmp_ne_u32_e32 vcc_lo, 1, v0
	v_add_nc_u32_e32 v1, 0x80, v32
	s_cbranch_vccnz .LBB11_203
; %bb.198:
	v_mov_b32_e32 v40, 0
	v_mov_b32_e32 v30, 0
	s_cmp_lg_u32 s33, 0
	s_mov_b32 s4, 0
	s_cbranch_scc0 .LBB11_207
; %bb.199:
	s_min_u32 s5, s36, 15
	v_mov_b32_e32 v40, 0
	s_add_i32 s5, s5, 1
	s_cmp_eq_u32 s36, 2
	s_mov_b32 s6, 0
	s_cbranch_scc1 .LBB11_204
; %bb.200:
	v_mov_b32_e32 v30, 0
	v_mov_b32_e32 v40, 0
	;; [unrolled: 1-line block ×3, first 2 shown]
	s_add_u32 s0, s14, 0xc4
	s_addc_u32 s1, s15, 0
	s_and_b32 s6, s5, 28
	s_mov_b32 s7, 0
	s_mov_b64 s[2:3], s[14:15]
.LBB11_201:                             ; =>This Inner Loop Header: Depth=1
	s_clause 0x1
	s_load_b256 s[20:27], s[2:3], 0x4
	s_load_b128 s[8:11], s[2:3], 0x24
	s_load_b256 s[40:47], s[0:1], 0x0
	s_add_u32 s2, s2, 48
	s_addc_u32 s3, s3, 0
	s_add_i32 s7, s7, 4
	s_add_u32 s0, s0, 32
	s_addc_u32 s1, s1, 0
	s_cmp_lg_u32 s6, s7
	s_waitcnt lgkmcnt(0)
	v_mul_hi_u32 v5, s21, v4
	s_delay_alu instid0(VALU_DEP_1) | instskip(NEXT) | instid1(VALU_DEP_1)
	v_add_nc_u32_e32 v5, v4, v5
	v_lshrrev_b32_e32 v5, s22, v5
	s_delay_alu instid0(VALU_DEP_1) | instskip(SKIP_1) | instid1(VALU_DEP_2)
	v_mul_hi_u32 v6, s24, v5
	v_mul_lo_u32 v8, v5, s20
	v_add_nc_u32_e32 v6, v5, v6
	s_delay_alu instid0(VALU_DEP_2) | instskip(NEXT) | instid1(VALU_DEP_2)
	v_sub_nc_u32_e32 v4, v4, v8
	v_lshrrev_b32_e32 v6, s25, v6
	s_delay_alu instid0(VALU_DEP_2) | instskip(SKIP_1) | instid1(VALU_DEP_3)
	v_mul_lo_u32 v8, v4, s40
	v_mul_lo_u32 v10, v4, s41
	v_mul_hi_u32 v7, s27, v6
	s_delay_alu instid0(VALU_DEP_1) | instskip(NEXT) | instid1(VALU_DEP_1)
	v_add_nc_u32_e32 v7, v6, v7
	v_lshrrev_b32_e32 v7, s8, v7
	s_delay_alu instid0(VALU_DEP_1) | instskip(SKIP_1) | instid1(VALU_DEP_2)
	v_mul_hi_u32 v9, s10, v7
	v_mul_lo_u32 v11, v7, s26
	v_add_nc_u32_e32 v4, v7, v9
	v_mul_lo_u32 v9, v6, s23
	s_delay_alu instid0(VALU_DEP_3) | instskip(NEXT) | instid1(VALU_DEP_3)
	v_sub_nc_u32_e32 v6, v6, v11
	v_lshrrev_b32_e32 v4, s11, v4
	s_delay_alu instid0(VALU_DEP_2) | instskip(SKIP_2) | instid1(VALU_DEP_4)
	v_mul_lo_u32 v11, v6, s44
	v_mul_lo_u32 v6, v6, s45
	v_sub_nc_u32_e32 v5, v5, v9
	v_mul_lo_u32 v12, v4, s9
	s_delay_alu instid0(VALU_DEP_2) | instskip(SKIP_1) | instid1(VALU_DEP_3)
	v_mul_lo_u32 v9, v5, s42
	v_mul_lo_u32 v5, v5, s43
	v_sub_nc_u32_e32 v7, v7, v12
	s_delay_alu instid0(VALU_DEP_3) | instskip(NEXT) | instid1(VALU_DEP_2)
	v_add3_u32 v8, v8, v40, v9
	v_mul_lo_u32 v12, v7, s46
	v_mul_lo_u32 v7, v7, s47
	v_add3_u32 v5, v10, v30, v5
	s_delay_alu instid0(VALU_DEP_3) | instskip(NEXT) | instid1(VALU_DEP_2)
	v_add3_u32 v40, v11, v8, v12
	v_add3_u32 v30, v6, v5, v7
	s_cbranch_scc1 .LBB11_201
; %bb.202:
	s_and_b32 s5, s5, 3
	s_delay_alu instid0(SALU_CYCLE_1)
	s_cmp_eq_u32 s5, 0
	s_cbranch_scc0 .LBB11_205
	s_branch .LBB11_207
.LBB11_203:
	s_mov_b32 s4, -1
                                        ; implicit-def: $vgpr40
                                        ; implicit-def: $vgpr30
	s_branch .LBB11_207
.LBB11_204:
	v_mov_b32_e32 v4, v1
	v_mov_b32_e32 v30, 0
	s_and_b32 s5, s5, 3
	s_delay_alu instid0(SALU_CYCLE_1)
	s_cmp_eq_u32 s5, 0
	s_cbranch_scc1 .LBB11_207
.LBB11_205:
	s_lshl_b32 s0, s6, 3
	s_mul_i32 s2, s6, 12
	s_add_u32 s0, s0, s14
	s_addc_u32 s1, 0, s15
	s_add_u32 s0, s0, 0xc4
	s_addc_u32 s1, s1, 0
	;; [unrolled: 2-line block ×3, first 2 shown]
	.p2align	6
.LBB11_206:                             ; =>This Inner Loop Header: Depth=1
	s_clause 0x1
	s_load_b64 s[6:7], s[2:3], 0x4
	s_load_b32 s10, s[2:3], 0xc
	s_load_b64 s[8:9], s[0:1], 0x0
	s_add_u32 s2, s2, 12
	s_addc_u32 s3, s3, 0
	s_add_u32 s0, s0, 8
	s_addc_u32 s1, s1, 0
	s_add_i32 s5, s5, -1
	s_delay_alu instid0(SALU_CYCLE_1) | instskip(SKIP_2) | instid1(VALU_DEP_1)
	s_cmp_lg_u32 s5, 0
	s_waitcnt lgkmcnt(0)
	v_mul_hi_u32 v5, s7, v4
	v_add_nc_u32_e32 v5, v4, v5
	s_delay_alu instid0(VALU_DEP_1) | instskip(NEXT) | instid1(VALU_DEP_1)
	v_lshrrev_b32_e32 v8, s10, v5
	v_mul_lo_u32 v5, v8, s6
	s_delay_alu instid0(VALU_DEP_1) | instskip(NEXT) | instid1(VALU_DEP_1)
	v_sub_nc_u32_e32 v4, v4, v5
	v_mad_u64_u32 v[5:6], null, v4, s8, v[40:41]
	v_mad_u64_u32 v[6:7], null, v4, s9, v[30:31]
	v_mov_b32_e32 v4, v8
	s_delay_alu instid0(VALU_DEP_3) | instskip(NEXT) | instid1(VALU_DEP_3)
	v_mov_b32_e32 v40, v5
	v_mov_b32_e32 v30, v6
	s_cbranch_scc1 .LBB11_206
.LBB11_207:
	s_and_not1_b32 vcc_lo, exec_lo, s4
	s_cbranch_vccnz .LBB11_210
; %bb.208:
	s_clause 0x1
	s_load_b128 s[0:3], s[14:15], 0x4
	s_load_b64 s[4:5], s[14:15], 0xc4
	s_cmp_lt_u32 s33, 2
	s_waitcnt lgkmcnt(0)
	v_mul_hi_u32 v4, s1, v1
	s_delay_alu instid0(VALU_DEP_1) | instskip(NEXT) | instid1(VALU_DEP_1)
	v_add_nc_u32_e32 v4, v1, v4
	v_lshrrev_b32_e32 v4, s2, v4
	s_delay_alu instid0(VALU_DEP_1) | instskip(NEXT) | instid1(VALU_DEP_1)
	v_mul_lo_u32 v5, v4, s0
	v_sub_nc_u32_e32 v1, v1, v5
	s_delay_alu instid0(VALU_DEP_1)
	v_mul_lo_u32 v40, v1, s4
	v_mul_lo_u32 v30, v1, s5
	s_cbranch_scc1 .LBB11_210
; %bb.209:
	s_clause 0x1
	s_load_b128 s[0:3], s[14:15], 0x10
	s_load_b64 s[4:5], s[14:15], 0xcc
	s_waitcnt lgkmcnt(0)
	v_mul_hi_u32 v1, s1, v4
	s_delay_alu instid0(VALU_DEP_1) | instskip(NEXT) | instid1(VALU_DEP_1)
	v_add_nc_u32_e32 v1, v4, v1
	v_lshrrev_b32_e32 v1, s2, v1
	s_delay_alu instid0(VALU_DEP_1) | instskip(NEXT) | instid1(VALU_DEP_1)
	v_mul_lo_u32 v1, v1, s0
	v_sub_nc_u32_e32 v1, v4, v1
	s_delay_alu instid0(VALU_DEP_1) | instskip(SKIP_1) | instid1(VALU_DEP_2)
	v_mad_u64_u32 v[4:5], null, v1, s4, v[40:41]
	v_mad_u64_u32 v[5:6], null, v1, s5, v[30:31]
	v_mov_b32_e32 v40, v4
	s_delay_alu instid0(VALU_DEP_2)
	v_mov_b32_e32 v30, v5
.LBB11_210:
	v_cmp_ne_u32_e32 vcc_lo, 1, v0
	v_add_nc_u32_e32 v1, 0x100, v32
	s_cbranch_vccnz .LBB11_216
; %bb.211:
	v_mov_b32_e32 v39, 0
	v_mov_b32_e32 v31, 0
	s_cmp_lg_u32 s33, 0
	s_mov_b32 s4, 0
	s_cbranch_scc0 .LBB11_220
; %bb.212:
	s_min_u32 s5, s36, 15
	v_mov_b32_e32 v39, 0
	s_add_i32 s5, s5, 1
	s_cmp_eq_u32 s36, 2
	s_mov_b32 s6, 0
	s_cbranch_scc1 .LBB11_217
; %bb.213:
	v_dual_mov_b32 v31, 0 :: v_dual_mov_b32 v4, v1
	v_mov_b32_e32 v39, 0
	s_add_u32 s0, s14, 0xc4
	s_addc_u32 s1, s15, 0
	s_and_b32 s6, s5, 28
	s_mov_b32 s7, 0
	s_mov_b64 s[2:3], s[14:15]
.LBB11_214:                             ; =>This Inner Loop Header: Depth=1
	s_clause 0x1
	s_load_b256 s[20:27], s[2:3], 0x4
	s_load_b128 s[8:11], s[2:3], 0x24
	s_load_b256 s[40:47], s[0:1], 0x0
	s_add_u32 s2, s2, 48
	s_addc_u32 s3, s3, 0
	s_add_i32 s7, s7, 4
	s_add_u32 s0, s0, 32
	s_addc_u32 s1, s1, 0
	s_cmp_lg_u32 s6, s7
	s_waitcnt lgkmcnt(0)
	v_mul_hi_u32 v5, s21, v4
	s_delay_alu instid0(VALU_DEP_1) | instskip(NEXT) | instid1(VALU_DEP_1)
	v_add_nc_u32_e32 v5, v4, v5
	v_lshrrev_b32_e32 v5, s22, v5
	s_delay_alu instid0(VALU_DEP_1) | instskip(SKIP_1) | instid1(VALU_DEP_2)
	v_mul_hi_u32 v6, s24, v5
	v_mul_lo_u32 v8, v5, s20
	v_add_nc_u32_e32 v6, v5, v6
	s_delay_alu instid0(VALU_DEP_2) | instskip(NEXT) | instid1(VALU_DEP_2)
	v_sub_nc_u32_e32 v4, v4, v8
	v_lshrrev_b32_e32 v6, s25, v6
	s_delay_alu instid0(VALU_DEP_2) | instskip(SKIP_1) | instid1(VALU_DEP_3)
	v_mul_lo_u32 v8, v4, s40
	v_mul_lo_u32 v10, v4, s41
	v_mul_hi_u32 v7, s27, v6
	s_delay_alu instid0(VALU_DEP_1) | instskip(NEXT) | instid1(VALU_DEP_1)
	v_add_nc_u32_e32 v7, v6, v7
	v_lshrrev_b32_e32 v7, s8, v7
	s_delay_alu instid0(VALU_DEP_1) | instskip(SKIP_1) | instid1(VALU_DEP_2)
	v_mul_hi_u32 v9, s10, v7
	v_mul_lo_u32 v11, v7, s26
	v_add_nc_u32_e32 v4, v7, v9
	v_mul_lo_u32 v9, v6, s23
	s_delay_alu instid0(VALU_DEP_3) | instskip(NEXT) | instid1(VALU_DEP_3)
	v_sub_nc_u32_e32 v6, v6, v11
	v_lshrrev_b32_e32 v4, s11, v4
	s_delay_alu instid0(VALU_DEP_2) | instskip(SKIP_2) | instid1(VALU_DEP_4)
	v_mul_lo_u32 v11, v6, s44
	v_mul_lo_u32 v6, v6, s45
	v_sub_nc_u32_e32 v5, v5, v9
	v_mul_lo_u32 v12, v4, s9
	s_delay_alu instid0(VALU_DEP_2) | instskip(SKIP_1) | instid1(VALU_DEP_3)
	v_mul_lo_u32 v9, v5, s42
	v_mul_lo_u32 v5, v5, s43
	v_sub_nc_u32_e32 v7, v7, v12
	s_delay_alu instid0(VALU_DEP_3) | instskip(NEXT) | instid1(VALU_DEP_2)
	v_add3_u32 v8, v8, v39, v9
	v_mul_lo_u32 v12, v7, s46
	v_mul_lo_u32 v7, v7, s47
	v_add3_u32 v5, v10, v31, v5
	s_delay_alu instid0(VALU_DEP_3) | instskip(NEXT) | instid1(VALU_DEP_2)
	v_add3_u32 v39, v11, v8, v12
	v_add3_u32 v31, v6, v5, v7
	s_cbranch_scc1 .LBB11_214
; %bb.215:
	s_and_b32 s5, s5, 3
	s_delay_alu instid0(SALU_CYCLE_1)
	s_cmp_eq_u32 s5, 0
	s_cbranch_scc0 .LBB11_218
	s_branch .LBB11_220
.LBB11_216:
	s_mov_b32 s4, -1
                                        ; implicit-def: $vgpr39
                                        ; implicit-def: $vgpr31
	s_branch .LBB11_220
.LBB11_217:
	v_dual_mov_b32 v4, v1 :: v_dual_mov_b32 v31, 0
	s_and_b32 s5, s5, 3
	s_delay_alu instid0(SALU_CYCLE_1)
	s_cmp_eq_u32 s5, 0
	s_cbranch_scc1 .LBB11_220
.LBB11_218:
	s_lshl_b32 s0, s6, 3
	s_mul_i32 s2, s6, 12
	s_add_u32 s0, s0, s14
	s_addc_u32 s1, 0, s15
	s_add_u32 s0, s0, 0xc4
	s_addc_u32 s1, s1, 0
	;; [unrolled: 2-line block ×3, first 2 shown]
	.p2align	6
.LBB11_219:                             ; =>This Inner Loop Header: Depth=1
	s_clause 0x1
	s_load_b64 s[6:7], s[2:3], 0x4
	s_load_b32 s10, s[2:3], 0xc
	s_load_b64 s[8:9], s[0:1], 0x0
	s_add_u32 s2, s2, 12
	s_addc_u32 s3, s3, 0
	s_add_u32 s0, s0, 8
	s_addc_u32 s1, s1, 0
	s_add_i32 s5, s5, -1
	s_delay_alu instid0(SALU_CYCLE_1) | instskip(SKIP_2) | instid1(VALU_DEP_1)
	s_cmp_lg_u32 s5, 0
	s_waitcnt lgkmcnt(0)
	v_mul_hi_u32 v5, s7, v4
	v_add_nc_u32_e32 v5, v4, v5
	s_delay_alu instid0(VALU_DEP_1) | instskip(NEXT) | instid1(VALU_DEP_1)
	v_lshrrev_b32_e32 v8, s10, v5
	v_mul_lo_u32 v5, v8, s6
	s_delay_alu instid0(VALU_DEP_1) | instskip(NEXT) | instid1(VALU_DEP_1)
	v_sub_nc_u32_e32 v4, v4, v5
	v_mad_u64_u32 v[5:6], null, v4, s8, v[39:40]
	v_mad_u64_u32 v[6:7], null, v4, s9, v[31:32]
	s_delay_alu instid0(VALU_DEP_2) | instskip(NEXT) | instid1(VALU_DEP_2)
	v_dual_mov_b32 v4, v8 :: v_dual_mov_b32 v39, v5
	v_mov_b32_e32 v31, v6
	s_cbranch_scc1 .LBB11_219
.LBB11_220:
	s_and_not1_b32 vcc_lo, exec_lo, s4
	s_cbranch_vccnz .LBB11_223
; %bb.221:
	s_clause 0x1
	s_load_b128 s[0:3], s[14:15], 0x4
	s_load_b64 s[4:5], s[14:15], 0xc4
	s_cmp_lt_u32 s33, 2
	s_waitcnt lgkmcnt(0)
	v_mul_hi_u32 v4, s1, v1
	s_delay_alu instid0(VALU_DEP_1) | instskip(NEXT) | instid1(VALU_DEP_1)
	v_add_nc_u32_e32 v4, v1, v4
	v_lshrrev_b32_e32 v4, s2, v4
	s_delay_alu instid0(VALU_DEP_1) | instskip(NEXT) | instid1(VALU_DEP_1)
	v_mul_lo_u32 v5, v4, s0
	v_sub_nc_u32_e32 v1, v1, v5
	s_delay_alu instid0(VALU_DEP_1)
	v_mul_lo_u32 v39, v1, s4
	v_mul_lo_u32 v31, v1, s5
	s_cbranch_scc1 .LBB11_223
; %bb.222:
	s_clause 0x1
	s_load_b128 s[0:3], s[14:15], 0x10
	s_load_b64 s[4:5], s[14:15], 0xcc
	s_waitcnt lgkmcnt(0)
	v_mul_hi_u32 v1, s1, v4
	s_delay_alu instid0(VALU_DEP_1) | instskip(NEXT) | instid1(VALU_DEP_1)
	v_add_nc_u32_e32 v1, v4, v1
	v_lshrrev_b32_e32 v1, s2, v1
	s_delay_alu instid0(VALU_DEP_1) | instskip(NEXT) | instid1(VALU_DEP_1)
	v_mul_lo_u32 v1, v1, s0
	v_sub_nc_u32_e32 v1, v4, v1
	s_delay_alu instid0(VALU_DEP_1) | instskip(SKIP_1) | instid1(VALU_DEP_2)
	v_mad_u64_u32 v[4:5], null, v1, s4, v[39:40]
	v_mad_u64_u32 v[5:6], null, v1, s5, v[31:32]
	v_mov_b32_e32 v39, v4
	s_delay_alu instid0(VALU_DEP_2)
	v_mov_b32_e32 v31, v5
.LBB11_223:
	v_cmp_ne_u32_e32 vcc_lo, 1, v0
	s_cbranch_vccnz .LBB11_229
; %bb.224:
	v_mov_b32_e32 v38, 0
	v_mov_b32_e32 v36, 0
	s_cmp_lg_u32 s33, 0
	s_mov_b32 s4, 0
	s_cbranch_scc0 .LBB11_233
; %bb.225:
	s_min_u32 s5, s36, 15
	v_mov_b32_e32 v38, 0
	s_add_i32 s5, s5, 1
	s_cmp_eq_u32 s36, 2
	s_mov_b32 s6, 0
	s_cbranch_scc1 .LBB11_230
; %bb.226:
	v_mov_b32_e32 v36, 0
	v_mov_b32_e32 v38, 0
	;; [unrolled: 1-line block ×3, first 2 shown]
	s_add_u32 s0, s14, 0xc4
	s_addc_u32 s1, s15, 0
	s_and_b32 s6, s5, 28
	s_mov_b32 s7, 0
	s_mov_b64 s[2:3], s[14:15]
.LBB11_227:                             ; =>This Inner Loop Header: Depth=1
	s_clause 0x1
	s_load_b256 s[20:27], s[2:3], 0x4
	s_load_b128 s[8:11], s[2:3], 0x24
	s_load_b256 s[36:43], s[0:1], 0x0
	s_add_u32 s2, s2, 48
	s_addc_u32 s3, s3, 0
	s_add_i32 s7, s7, 4
	s_add_u32 s0, s0, 32
	s_addc_u32 s1, s1, 0
	s_cmp_lg_u32 s6, s7
	s_waitcnt lgkmcnt(0)
	v_mul_hi_u32 v1, s21, v0
	s_delay_alu instid0(VALU_DEP_1) | instskip(NEXT) | instid1(VALU_DEP_1)
	v_add_nc_u32_e32 v1, v0, v1
	v_lshrrev_b32_e32 v1, s22, v1
	s_delay_alu instid0(VALU_DEP_1) | instskip(SKIP_1) | instid1(VALU_DEP_2)
	v_mul_hi_u32 v4, s24, v1
	v_mul_lo_u32 v6, v1, s20
	v_add_nc_u32_e32 v4, v1, v4
	s_delay_alu instid0(VALU_DEP_2) | instskip(NEXT) | instid1(VALU_DEP_2)
	v_sub_nc_u32_e32 v0, v0, v6
	v_lshrrev_b32_e32 v4, s25, v4
	s_delay_alu instid0(VALU_DEP_2) | instskip(SKIP_1) | instid1(VALU_DEP_3)
	v_mul_lo_u32 v6, v0, s36
	v_mul_lo_u32 v8, v0, s37
	v_mul_hi_u32 v5, s27, v4
	s_delay_alu instid0(VALU_DEP_1) | instskip(NEXT) | instid1(VALU_DEP_1)
	v_add_nc_u32_e32 v5, v4, v5
	v_lshrrev_b32_e32 v5, s8, v5
	s_delay_alu instid0(VALU_DEP_1) | instskip(SKIP_1) | instid1(VALU_DEP_2)
	v_mul_hi_u32 v7, s10, v5
	v_mul_lo_u32 v9, v5, s26
	v_add_nc_u32_e32 v0, v5, v7
	v_mul_lo_u32 v7, v4, s23
	s_delay_alu instid0(VALU_DEP_3) | instskip(NEXT) | instid1(VALU_DEP_3)
	v_sub_nc_u32_e32 v4, v4, v9
	v_lshrrev_b32_e32 v0, s11, v0
	s_delay_alu instid0(VALU_DEP_2) | instskip(SKIP_2) | instid1(VALU_DEP_4)
	v_mul_lo_u32 v9, v4, s40
	v_mul_lo_u32 v4, v4, s41
	v_sub_nc_u32_e32 v1, v1, v7
	v_mul_lo_u32 v10, v0, s9
	s_delay_alu instid0(VALU_DEP_2) | instskip(SKIP_1) | instid1(VALU_DEP_3)
	v_mul_lo_u32 v7, v1, s38
	v_mul_lo_u32 v1, v1, s39
	v_sub_nc_u32_e32 v5, v5, v10
	s_delay_alu instid0(VALU_DEP_3) | instskip(NEXT) | instid1(VALU_DEP_2)
	v_add3_u32 v6, v6, v38, v7
	v_mul_lo_u32 v10, v5, s42
	v_mul_lo_u32 v5, v5, s43
	v_add3_u32 v1, v8, v36, v1
	s_delay_alu instid0(VALU_DEP_3) | instskip(NEXT) | instid1(VALU_DEP_2)
	v_add3_u32 v38, v9, v6, v10
	v_add3_u32 v36, v4, v1, v5
	s_cbranch_scc1 .LBB11_227
; %bb.228:
	s_and_b32 s5, s5, 3
	s_delay_alu instid0(SALU_CYCLE_1)
	s_cmp_eq_u32 s5, 0
	s_cbranch_scc0 .LBB11_231
	s_branch .LBB11_233
.LBB11_229:
	s_mov_b32 s4, -1
                                        ; implicit-def: $vgpr38
                                        ; implicit-def: $vgpr36
	s_branch .LBB11_233
.LBB11_230:
	v_mov_b32_e32 v0, v3
	v_mov_b32_e32 v36, 0
	s_and_b32 s5, s5, 3
	s_delay_alu instid0(SALU_CYCLE_1)
	s_cmp_eq_u32 s5, 0
	s_cbranch_scc1 .LBB11_233
.LBB11_231:
	s_lshl_b32 s0, s6, 3
	s_mul_i32 s2, s6, 12
	s_add_u32 s0, s0, s14
	s_addc_u32 s1, 0, s15
	s_add_u32 s0, s0, 0xc4
	s_addc_u32 s1, s1, 0
	;; [unrolled: 2-line block ×3, first 2 shown]
	.p2align	6
.LBB11_232:                             ; =>This Inner Loop Header: Depth=1
	s_clause 0x1
	s_load_b64 s[6:7], s[2:3], 0x4
	s_load_b32 s10, s[2:3], 0xc
	s_load_b64 s[8:9], s[0:1], 0x0
	s_add_u32 s2, s2, 12
	s_addc_u32 s3, s3, 0
	s_add_u32 s0, s0, 8
	s_addc_u32 s1, s1, 0
	s_add_i32 s5, s5, -1
	s_delay_alu instid0(SALU_CYCLE_1) | instskip(SKIP_2) | instid1(VALU_DEP_1)
	s_cmp_lg_u32 s5, 0
	s_waitcnt lgkmcnt(0)
	v_mul_hi_u32 v1, s7, v0
	v_add_nc_u32_e32 v1, v0, v1
	s_delay_alu instid0(VALU_DEP_1) | instskip(NEXT) | instid1(VALU_DEP_1)
	v_lshrrev_b32_e32 v1, s10, v1
	v_mul_lo_u32 v4, v1, s6
	s_delay_alu instid0(VALU_DEP_1) | instskip(NEXT) | instid1(VALU_DEP_1)
	v_sub_nc_u32_e32 v0, v0, v4
	v_mad_u64_u32 v[4:5], null, v0, s8, v[38:39]
	v_mad_u64_u32 v[5:6], null, v0, s9, v[36:37]
	v_mov_b32_e32 v0, v1
	s_delay_alu instid0(VALU_DEP_3) | instskip(NEXT) | instid1(VALU_DEP_3)
	v_mov_b32_e32 v38, v4
	v_mov_b32_e32 v36, v5
	s_cbranch_scc1 .LBB11_232
.LBB11_233:
	s_and_not1_b32 vcc_lo, exec_lo, s4
	s_cbranch_vccnz .LBB11_236
; %bb.234:
	s_clause 0x1
	s_load_b128 s[0:3], s[14:15], 0x4
	s_load_b64 s[4:5], s[14:15], 0xc4
	s_cmp_lt_u32 s33, 2
	s_waitcnt lgkmcnt(0)
	v_mul_hi_u32 v0, s1, v3
	s_delay_alu instid0(VALU_DEP_1) | instskip(NEXT) | instid1(VALU_DEP_1)
	v_add_nc_u32_e32 v0, v3, v0
	v_lshrrev_b32_e32 v0, s2, v0
	s_delay_alu instid0(VALU_DEP_1) | instskip(NEXT) | instid1(VALU_DEP_1)
	v_mul_lo_u32 v1, v0, s0
	v_sub_nc_u32_e32 v1, v3, v1
	s_delay_alu instid0(VALU_DEP_1)
	v_mul_lo_u32 v38, v1, s4
	v_mul_lo_u32 v36, v1, s5
	s_cbranch_scc1 .LBB11_236
; %bb.235:
	s_clause 0x1
	s_load_b128 s[0:3], s[14:15], 0x10
	s_load_b64 s[4:5], s[14:15], 0xcc
	s_waitcnt lgkmcnt(0)
	v_mul_hi_u32 v1, s1, v0
	s_delay_alu instid0(VALU_DEP_1) | instskip(NEXT) | instid1(VALU_DEP_1)
	v_add_nc_u32_e32 v1, v0, v1
	v_lshrrev_b32_e32 v1, s2, v1
	s_delay_alu instid0(VALU_DEP_1) | instskip(NEXT) | instid1(VALU_DEP_1)
	v_mul_lo_u32 v1, v1, s0
	v_sub_nc_u32_e32 v5, v0, v1
	s_delay_alu instid0(VALU_DEP_1) | instskip(SKIP_1) | instid1(VALU_DEP_2)
	v_mad_u64_u32 v[0:1], null, v5, s4, v[38:39]
	v_mad_u64_u32 v[3:4], null, v5, s5, v[36:37]
	v_mov_b32_e32 v38, v0
	s_delay_alu instid0(VALU_DEP_2)
	v_mov_b32_e32 v36, v3
.LBB11_236:
	s_clause 0x1
	s_load_b32 s18, s[12:13], 0x160
	s_load_b128 s[12:15], s[14:15], 0x148
	s_getpc_b64 s[20:21]
	s_add_u32 s20, s20, _ZN2at6native6invokeIZZZNS0_12_GLOBAL__N_137scaled_modified_bessel_k1_kernel_cudaERNS_18TensorIteratorBaseEENKUlvE_clEvENKUlvE_clEvEUldE_j15function_traitsIS7_EEENT1_11result_typeERKT_PrKPcPKT0_PKN3c1010ScalarTypeEi@rel32@lo+4
	s_addc_u32 s21, s21, _ZN2at6native6invokeIZZZNS0_12_GLOBAL__N_137scaled_modified_bessel_k1_kernel_cudaERNS_18TensorIteratorBaseEENKUlvE_clEvENKUlvE_clEvEUldE_j15function_traitsIS7_EEENT1_11result_typeERKT_PrKPcPKT0_PKN3c1010ScalarTypeEi@rel32@hi+12
	s_waitcnt lgkmcnt(0)
	s_lshr_b32 s19, s18, 16
	v_dual_mov_b32 v0, s14 :: v_dual_mov_b32 v1, s15
	v_mov_b32_e32 v3, s19
	s_swappc_b64 s[30:31], s[20:21]
	s_delay_alu instid0(VALU_DEP_2) | instskip(SKIP_3) | instid1(VALU_DEP_2)
	v_dual_mov_b32 v34, v0 :: v_dual_mov_b32 v35, v1
	v_dual_mov_b32 v0, s14 :: v_dual_mov_b32 v1, s15
	;; [unrolled: 1-line block ×3, first 2 shown]
	s_swappc_b64 s[30:31], s[20:21]
	v_dual_mov_b32 v32, v0 :: v_dual_mov_b32 v33, v1
	v_dual_mov_b32 v0, s14 :: v_dual_mov_b32 v1, s15
	;; [unrolled: 1-line block ×3, first 2 shown]
	s_swappc_b64 s[30:31], s[20:21]
	s_delay_alu instid0(VALU_DEP_2)
	v_dual_mov_b32 v30, v0 :: v_dual_mov_b32 v31, v1
	v_dual_mov_b32 v0, s14 :: v_dual_mov_b32 v1, s15
	;; [unrolled: 1-line block ×3, first 2 shown]
	s_swappc_b64 s[30:31], s[20:21]
	s_lshr_b32 s0, s18, 8
	s_mov_b32 s3, 0
	v_and_b32_e64 v6, 0xff, s0
	v_add_co_u32 v2, s0, s12, v37
	s_delay_alu instid0(VALU_DEP_1) | instskip(NEXT) | instid1(VALU_DEP_3)
	v_add_co_ci_u32_e64 v3, null, s13, 0, s0
	v_cmp_gt_i16_e32 vcc_lo, 11, v6
	s_mov_b32 s0, -1
	s_mov_b32 s1, s16
	s_cbranch_vccnz .LBB11_314
; %bb.237:
	v_cmp_lt_i16_e32 vcc_lo, 25, v6
	s_mov_b32 s1, -1
	s_mov_b32 s2, 0
	s_mov_b32 s0, 0
	s_cbranch_vccz .LBB11_270
; %bb.238:
	v_cmp_lt_i16_e32 vcc_lo, 28, v6
	s_cbranch_vccz .LBB11_253
; %bb.239:
	v_cmp_lt_i16_e32 vcc_lo, 43, v6
	;; [unrolled: 3-line block ×3, first 2 shown]
	s_cbranch_vccz .LBB11_243
; %bb.241:
	v_cmp_eq_u16_e32 vcc_lo, 46, v6
	s_mov_b32 s0, -1
	s_mov_b32 s1, 0
	s_cbranch_vccz .LBB11_243
; %bb.242:
	v_cvt_f32_f64_e32 v4, v[34:35]
	s_mov_b32 s0, 0
	s_mov_b32 s3, -1
	s_delay_alu instid0(VALU_DEP_1) | instskip(SKIP_1) | instid1(VALU_DEP_2)
	v_bfe_u32 v5, v4, 16, 1
	v_cmp_o_f32_e32 vcc_lo, v4, v4
	v_add3_u32 v5, v4, v5, 0x7fff
	s_delay_alu instid0(VALU_DEP_1) | instskip(NEXT) | instid1(VALU_DEP_1)
	v_lshrrev_b32_e32 v5, 16, v5
	v_cndmask_b32_e32 v4, 0x7fc0, v5, vcc_lo
	global_store_b32 v[2:3], v4, off
.LBB11_243:
	s_and_b32 vcc_lo, exec_lo, s1
	s_cbranch_vccz .LBB11_248
; %bb.244:
	v_cmp_eq_u16_e32 vcc_lo, 44, v6
	s_mov_b32 s0, -1
	s_cbranch_vccz .LBB11_248
; %bb.245:
	v_cvt_f32_f64_e32 v4, v[34:35]
	v_mov_b32_e32 v5, 0xff
	s_mov_b32 s1, exec_lo
	s_delay_alu instid0(VALU_DEP_2) | instskip(NEXT) | instid1(VALU_DEP_1)
	v_bfe_u32 v7, v4, 23, 8
	v_cmpx_ne_u32_e32 0xff, v7
; %bb.246:
	v_and_b32_e32 v5, 0x400000, v4
	v_and_or_b32 v7, 0x3fffff, v4, v7
	v_lshrrev_b32_e32 v4, 23, v4
	s_delay_alu instid0(VALU_DEP_3) | instskip(NEXT) | instid1(VALU_DEP_3)
	v_cmp_ne_u32_e32 vcc_lo, 0, v5
	v_cmp_ne_u32_e64 s0, 0, v7
	s_delay_alu instid0(VALU_DEP_1) | instskip(NEXT) | instid1(SALU_CYCLE_1)
	s_and_b32 s0, vcc_lo, s0
	v_cndmask_b32_e64 v5, 0, 1, s0
	s_delay_alu instid0(VALU_DEP_1)
	v_add_nc_u32_e32 v5, v4, v5
; %bb.247:
	s_or_b32 exec_lo, exec_lo, s1
	s_mov_b32 s0, 0
	s_mov_b32 s3, -1
	global_store_b8 v[2:3], v5, off
.LBB11_248:
	s_mov_b32 s1, 0
.LBB11_249:
	s_delay_alu instid0(SALU_CYCLE_1)
	s_and_b32 vcc_lo, exec_lo, s1
	s_cbranch_vccz .LBB11_252
; %bb.250:
	v_cmp_eq_u16_e32 vcc_lo, 29, v6
	s_mov_b32 s0, -1
	s_cbranch_vccz .LBB11_252
; %bb.251:
	v_trunc_f64_e32 v[4:5], v[34:35]
	s_mov_b32 s0, 0
	s_mov_b32 s3, -1
	s_delay_alu instid0(VALU_DEP_1) | instskip(NEXT) | instid1(VALU_DEP_1)
	v_ldexp_f64 v[7:8], v[4:5], 0xffffffe0
	v_floor_f64_e32 v[7:8], v[7:8]
	s_delay_alu instid0(VALU_DEP_1) | instskip(SKIP_1) | instid1(VALU_DEP_2)
	v_fma_f64 v[4:5], 0xc1f00000, v[7:8], v[4:5]
	v_cvt_u32_f64_e32 v8, v[7:8]
	v_cvt_u32_f64_e32 v7, v[4:5]
	global_store_b64 v[2:3], v[7:8], off
.LBB11_252:
	s_mov_b32 s1, 0
.LBB11_253:
	s_delay_alu instid0(SALU_CYCLE_1)
	s_and_b32 vcc_lo, exec_lo, s1
	s_cbranch_vccz .LBB11_269
; %bb.254:
	v_cmp_gt_i16_e32 vcc_lo, 27, v6
	s_mov_b32 s1, -1
	s_cbranch_vccnz .LBB11_260
; %bb.255:
	v_cmp_lt_i16_e32 vcc_lo, 27, v6
	s_cbranch_vccz .LBB11_257
; %bb.256:
	v_cvt_u32_f64_e32 v4, v[34:35]
	s_mov_b32 s1, 0
	global_store_b32 v[2:3], v4, off
.LBB11_257:
	s_and_not1_b32 vcc_lo, exec_lo, s1
	s_cbranch_vccnz .LBB11_259
; %bb.258:
	v_cvt_u32_f64_e32 v4, v[34:35]
	global_store_b16 v[2:3], v4, off
.LBB11_259:
	s_mov_b32 s1, 0
.LBB11_260:
	s_delay_alu instid0(SALU_CYCLE_1)
	s_and_not1_b32 vcc_lo, exec_lo, s1
	s_cbranch_vccnz .LBB11_268
; %bb.261:
	v_cvt_f32_f64_e32 v4, v[34:35]
	v_mov_b32_e32 v7, 0x80
	s_mov_b32 s1, exec_lo
	s_delay_alu instid0(VALU_DEP_2) | instskip(NEXT) | instid1(VALU_DEP_1)
	v_and_b32_e32 v5, 0x7fffffff, v4
	v_cmpx_gt_u32_e32 0x43800000, v5
	s_cbranch_execz .LBB11_267
; %bb.262:
	v_cmp_lt_u32_e32 vcc_lo, 0x3bffffff, v5
	s_mov_b32 s3, 0
                                        ; implicit-def: $vgpr5
	s_and_saveexec_b32 s4, vcc_lo
	s_delay_alu instid0(SALU_CYCLE_1)
	s_xor_b32 s4, exec_lo, s4
	s_cbranch_execz .LBB11_768
; %bb.263:
	v_bfe_u32 v5, v4, 20, 1
	s_mov_b32 s3, exec_lo
	s_delay_alu instid0(VALU_DEP_1) | instskip(NEXT) | instid1(VALU_DEP_1)
	v_add3_u32 v5, v4, v5, 0x487ffff
	v_lshrrev_b32_e32 v5, 20, v5
	s_or_saveexec_b32 s4, s4
                                        ; implicit-def: $sgpr5
	s_delay_alu instid0(SALU_CYCLE_1)
	s_xor_b32 exec_lo, exec_lo, s4
	s_cbranch_execnz .LBB11_769
.LBB11_264:
	s_or_b32 exec_lo, exec_lo, s4
	v_mov_b32_e32 v7, s5
	s_and_saveexec_b32 s4, s3
.LBB11_265:
	v_lshrrev_b32_e32 v4, 24, v4
	s_delay_alu instid0(VALU_DEP_1)
	v_and_or_b32 v7, 0x80, v4, v5
.LBB11_266:
	s_or_b32 exec_lo, exec_lo, s4
.LBB11_267:
	s_delay_alu instid0(SALU_CYCLE_1)
	s_or_b32 exec_lo, exec_lo, s1
	global_store_b8 v[2:3], v7, off
.LBB11_268:
	s_mov_b32 s3, -1
.LBB11_269:
	s_mov_b32 s1, 0
.LBB11_270:
	s_delay_alu instid0(SALU_CYCLE_1)
	s_and_b32 vcc_lo, exec_lo, s1
	s_cbranch_vccz .LBB11_310
; %bb.271:
	v_cmp_lt_i16_e32 vcc_lo, 22, v6
	s_mov_b32 s1, -1
	s_cbranch_vccz .LBB11_303
; %bb.272:
	v_cmp_gt_i16_e32 vcc_lo, 24, v6
	s_cbranch_vccnz .LBB11_292
; %bb.273:
	v_cmp_lt_i16_e32 vcc_lo, 24, v6
	s_cbranch_vccz .LBB11_281
; %bb.274:
	v_cvt_f32_f64_e32 v4, v[34:35]
	v_mov_b32_e32 v7, 0x80
	s_mov_b32 s1, exec_lo
	s_delay_alu instid0(VALU_DEP_2) | instskip(NEXT) | instid1(VALU_DEP_1)
	v_and_b32_e32 v5, 0x7fffffff, v4
	v_cmpx_gt_u32_e32 0x47800000, v5
	s_cbranch_execz .LBB11_280
; %bb.275:
	v_cmp_lt_u32_e32 vcc_lo, 0x37ffffff, v5
                                        ; implicit-def: $vgpr5
	s_and_saveexec_b32 s3, vcc_lo
	s_delay_alu instid0(SALU_CYCLE_1)
	s_xor_b32 s3, exec_lo, s3
	s_cbranch_execz .LBB11_775
; %bb.276:
	v_bfe_u32 v5, v4, 21, 1
	s_mov_b32 s2, exec_lo
	s_delay_alu instid0(VALU_DEP_1) | instskip(NEXT) | instid1(VALU_DEP_1)
	v_add3_u32 v5, v4, v5, 0x88fffff
	v_lshrrev_b32_e32 v5, 21, v5
	s_or_saveexec_b32 s3, s3
                                        ; implicit-def: $sgpr4
	s_delay_alu instid0(SALU_CYCLE_1)
	s_xor_b32 exec_lo, exec_lo, s3
	s_cbranch_execnz .LBB11_776
.LBB11_277:
	s_or_b32 exec_lo, exec_lo, s3
	v_mov_b32_e32 v7, s4
	s_and_saveexec_b32 s3, s2
.LBB11_278:
	v_lshrrev_b32_e32 v4, 24, v4
	s_delay_alu instid0(VALU_DEP_1)
	v_and_or_b32 v7, 0x80, v4, v5
.LBB11_279:
	s_or_b32 exec_lo, exec_lo, s3
.LBB11_280:
	s_delay_alu instid0(SALU_CYCLE_1)
	s_or_b32 exec_lo, exec_lo, s1
	s_mov_b32 s1, 0
	global_store_b8 v[2:3], v7, off
.LBB11_281:
	s_and_b32 vcc_lo, exec_lo, s1
	s_cbranch_vccz .LBB11_291
; %bb.282:
	v_cvt_f32_f64_e32 v4, v[34:35]
	s_mov_b32 s1, exec_lo
                                        ; implicit-def: $vgpr5
	s_delay_alu instid0(VALU_DEP_1) | instskip(NEXT) | instid1(VALU_DEP_1)
	v_and_b32_e32 v7, 0x7fffffff, v4
	v_cmpx_gt_u32_e32 0x43f00000, v7
	s_xor_b32 s1, exec_lo, s1
	s_cbranch_execz .LBB11_288
; %bb.283:
	s_mov_b32 s2, exec_lo
                                        ; implicit-def: $vgpr5
	v_cmpx_lt_u32_e32 0x3c7fffff, v7
	s_xor_b32 s2, exec_lo, s2
; %bb.284:
	v_bfe_u32 v5, v4, 20, 1
	s_delay_alu instid0(VALU_DEP_1) | instskip(NEXT) | instid1(VALU_DEP_1)
	v_add3_u32 v5, v4, v5, 0x407ffff
	v_and_b32_e32 v7, 0xff00000, v5
	v_lshrrev_b32_e32 v5, 20, v5
	s_delay_alu instid0(VALU_DEP_2) | instskip(NEXT) | instid1(VALU_DEP_2)
	v_cmp_ne_u32_e32 vcc_lo, 0x7f00000, v7
	v_cndmask_b32_e32 v5, 0x7e, v5, vcc_lo
; %bb.285:
	s_and_not1_saveexec_b32 s2, s2
; %bb.286:
	v_add_f32_e64 v5, 0x46800000, |v4|
; %bb.287:
	s_or_b32 exec_lo, exec_lo, s2
                                        ; implicit-def: $vgpr7
.LBB11_288:
	s_and_not1_saveexec_b32 s1, s1
; %bb.289:
	v_mov_b32_e32 v5, 0x7f
	v_cmp_lt_u32_e32 vcc_lo, 0x7f800000, v7
	s_delay_alu instid0(VALU_DEP_2)
	v_cndmask_b32_e32 v5, 0x7e, v5, vcc_lo
; %bb.290:
	s_or_b32 exec_lo, exec_lo, s1
	v_lshrrev_b32_e32 v4, 24, v4
	s_delay_alu instid0(VALU_DEP_1)
	v_and_or_b32 v4, 0x80, v4, v5
	global_store_b8 v[2:3], v4, off
.LBB11_291:
	s_mov_b32 s1, 0
.LBB11_292:
	s_delay_alu instid0(SALU_CYCLE_1)
	s_and_not1_b32 vcc_lo, exec_lo, s1
	s_cbranch_vccnz .LBB11_302
; %bb.293:
	v_cvt_f32_f64_e32 v4, v[34:35]
	s_mov_b32 s1, exec_lo
                                        ; implicit-def: $vgpr5
	s_delay_alu instid0(VALU_DEP_1) | instskip(NEXT) | instid1(VALU_DEP_1)
	v_and_b32_e32 v7, 0x7fffffff, v4
	v_cmpx_gt_u32_e32 0x47800000, v7
	s_xor_b32 s1, exec_lo, s1
	s_cbranch_execz .LBB11_299
; %bb.294:
	s_mov_b32 s2, exec_lo
                                        ; implicit-def: $vgpr5
	v_cmpx_lt_u32_e32 0x387fffff, v7
	s_xor_b32 s2, exec_lo, s2
; %bb.295:
	v_bfe_u32 v5, v4, 21, 1
	s_delay_alu instid0(VALU_DEP_1) | instskip(NEXT) | instid1(VALU_DEP_1)
	v_add3_u32 v5, v4, v5, 0x80fffff
	v_lshrrev_b32_e32 v5, 21, v5
; %bb.296:
	s_and_not1_saveexec_b32 s2, s2
; %bb.297:
	v_add_f32_e64 v5, 0x43000000, |v4|
; %bb.298:
	s_or_b32 exec_lo, exec_lo, s2
                                        ; implicit-def: $vgpr7
.LBB11_299:
	s_and_not1_saveexec_b32 s1, s1
; %bb.300:
	v_mov_b32_e32 v5, 0x7f
	v_cmp_lt_u32_e32 vcc_lo, 0x7f800000, v7
	s_delay_alu instid0(VALU_DEP_2)
	v_cndmask_b32_e32 v5, 0x7c, v5, vcc_lo
; %bb.301:
	s_or_b32 exec_lo, exec_lo, s1
	v_lshrrev_b32_e32 v4, 24, v4
	s_delay_alu instid0(VALU_DEP_1)
	v_and_or_b32 v4, 0x80, v4, v5
	global_store_b8 v[2:3], v4, off
.LBB11_302:
	s_mov_b32 s1, 0
	s_mov_b32 s3, -1
.LBB11_303:
	s_and_not1_b32 vcc_lo, exec_lo, s1
	s_mov_b32 s2, 0
	s_cbranch_vccnz .LBB11_310
; %bb.304:
	v_cmp_lt_i16_e32 vcc_lo, 14, v6
	s_mov_b32 s1, -1
	s_cbranch_vccz .LBB11_308
; %bb.305:
	v_cmp_eq_u16_e32 vcc_lo, 15, v6
	s_mov_b32 s0, -1
	s_cbranch_vccz .LBB11_307
; %bb.306:
	v_cvt_f32_f64_e32 v4, v[34:35]
	s_mov_b32 s0, 0
	s_mov_b32 s3, -1
	s_delay_alu instid0(VALU_DEP_1) | instskip(SKIP_1) | instid1(VALU_DEP_2)
	v_bfe_u32 v5, v4, 16, 1
	v_cmp_o_f32_e32 vcc_lo, v4, v4
	v_add3_u32 v5, v4, v5, 0x7fff
	s_delay_alu instid0(VALU_DEP_1) | instskip(NEXT) | instid1(VALU_DEP_1)
	v_lshrrev_b32_e32 v5, 16, v5
	v_cndmask_b32_e32 v4, 0x7fc0, v5, vcc_lo
	global_store_b16 v[2:3], v4, off
.LBB11_307:
	s_mov_b32 s1, 0
.LBB11_308:
	s_delay_alu instid0(SALU_CYCLE_1)
	s_and_b32 vcc_lo, exec_lo, s1
	s_cbranch_vccz .LBB11_310
; %bb.309:
	v_cmp_ne_u16_e64 s0, 11, v6
	s_mov_b32 s2, -1
.LBB11_310:
	s_delay_alu instid0(VALU_DEP_1)
	s_and_b32 vcc_lo, exec_lo, s0
	s_mov_b32 s1, s16
	s_cbranch_vccnz .LBB11_770
; %bb.311:
	s_and_not1_b32 vcc_lo, exec_lo, s2
	s_cbranch_vccnz .LBB11_313
.LBB11_312:
	v_cmp_neq_f64_e32 vcc_lo, 0, v[34:35]
	s_mov_b32 s3, -1
	v_cndmask_b32_e64 v4, 0, 1, vcc_lo
	global_store_b8 v[2:3], v4, off
.LBB11_313:
	s_mov_b32 s0, 0
.LBB11_314:
	s_delay_alu instid0(SALU_CYCLE_1)
	s_and_b32 vcc_lo, exec_lo, s0
	s_cbranch_vccz .LBB11_353
; %bb.315:
	v_cmp_gt_i16_e32 vcc_lo, 5, v6
	s_mov_b32 s0, -1
	s_cbranch_vccnz .LBB11_336
; %bb.316:
	v_cmp_gt_i16_e32 vcc_lo, 8, v6
	s_cbranch_vccnz .LBB11_326
; %bb.317:
	v_cmp_gt_i16_e32 vcc_lo, 9, v6
	s_cbranch_vccnz .LBB11_323
; %bb.318:
	v_cmp_lt_i16_e32 vcc_lo, 9, v6
	s_cbranch_vccz .LBB11_320
; %bb.319:
	v_mov_b32_e32 v36, 0
	s_mov_b32 s0, 0
	s_delay_alu instid0(VALU_DEP_1)
	v_mov_b32_e32 v37, v36
	global_store_b128 v[2:3], v[34:37], off
.LBB11_320:
	s_and_not1_b32 vcc_lo, exec_lo, s0
	s_cbranch_vccnz .LBB11_322
; %bb.321:
	v_cvt_f32_f64_e32 v4, v[34:35]
	v_mov_b32_e32 v5, 0
	global_store_b64 v[2:3], v[4:5], off
.LBB11_322:
	s_mov_b32 s0, 0
.LBB11_323:
	s_delay_alu instid0(SALU_CYCLE_1)
	s_and_not1_b32 vcc_lo, exec_lo, s0
	s_cbranch_vccnz .LBB11_325
; %bb.324:
	v_cvt_f32_f64_e32 v4, v[34:35]
	s_delay_alu instid0(VALU_DEP_1) | instskip(NEXT) | instid1(VALU_DEP_1)
	v_cvt_f16_f32_e32 v4, v4
	v_and_b32_e32 v4, 0xffff, v4
	global_store_b32 v[2:3], v4, off
.LBB11_325:
	s_mov_b32 s0, 0
.LBB11_326:
	s_delay_alu instid0(SALU_CYCLE_1)
	s_and_not1_b32 vcc_lo, exec_lo, s0
	s_cbranch_vccnz .LBB11_335
; %bb.327:
	v_cmp_gt_i16_e32 vcc_lo, 6, v6
	s_mov_b32 s0, -1
	s_cbranch_vccnz .LBB11_333
; %bb.328:
	v_cmp_lt_i16_e32 vcc_lo, 6, v6
	s_cbranch_vccz .LBB11_330
; %bb.329:
	s_mov_b32 s0, 0
	global_store_b64 v[2:3], v[34:35], off
.LBB11_330:
	s_and_not1_b32 vcc_lo, exec_lo, s0
	s_cbranch_vccnz .LBB11_332
; %bb.331:
	v_cvt_f32_f64_e32 v4, v[34:35]
	global_store_b32 v[2:3], v4, off
.LBB11_332:
	s_mov_b32 s0, 0
.LBB11_333:
	s_delay_alu instid0(SALU_CYCLE_1)
	s_and_not1_b32 vcc_lo, exec_lo, s0
	s_cbranch_vccnz .LBB11_335
; %bb.334:
	v_cvt_f32_f64_e32 v4, v[34:35]
	s_delay_alu instid0(VALU_DEP_1)
	v_cvt_f16_f32_e32 v4, v4
	global_store_b16 v[2:3], v4, off
.LBB11_335:
	s_mov_b32 s0, 0
.LBB11_336:
	s_delay_alu instid0(SALU_CYCLE_1)
	s_and_not1_b32 vcc_lo, exec_lo, s0
	s_cbranch_vccnz .LBB11_352
; %bb.337:
	v_cmp_gt_i16_e32 vcc_lo, 2, v6
	s_mov_b32 s0, -1
	s_cbranch_vccnz .LBB11_347
; %bb.338:
	v_cmp_gt_i16_e32 vcc_lo, 3, v6
	s_cbranch_vccnz .LBB11_344
; %bb.339:
	v_cmp_lt_i16_e32 vcc_lo, 3, v6
	s_cbranch_vccz .LBB11_341
; %bb.340:
	v_trunc_f64_e32 v[4:5], v[34:35]
	s_mov_b32 s0, 0
	s_delay_alu instid0(VALU_DEP_1) | instskip(NEXT) | instid1(VALU_DEP_1)
	v_ldexp_f64 v[7:8], v[4:5], 0xffffffe0
	v_floor_f64_e32 v[7:8], v[7:8]
	s_delay_alu instid0(VALU_DEP_1) | instskip(SKIP_1) | instid1(VALU_DEP_2)
	v_fma_f64 v[4:5], 0xc1f00000, v[7:8], v[4:5]
	v_cvt_i32_f64_e32 v8, v[7:8]
	v_cvt_u32_f64_e32 v7, v[4:5]
	global_store_b64 v[2:3], v[7:8], off
.LBB11_341:
	s_and_not1_b32 vcc_lo, exec_lo, s0
	s_cbranch_vccnz .LBB11_343
; %bb.342:
	v_cvt_i32_f64_e32 v4, v[34:35]
	global_store_b32 v[2:3], v4, off
.LBB11_343:
	s_mov_b32 s0, 0
.LBB11_344:
	s_delay_alu instid0(SALU_CYCLE_1)
	s_and_not1_b32 vcc_lo, exec_lo, s0
	s_cbranch_vccnz .LBB11_346
; %bb.345:
	v_cvt_i32_f64_e32 v4, v[34:35]
	global_store_b16 v[2:3], v4, off
.LBB11_346:
	s_mov_b32 s0, 0
.LBB11_347:
	s_delay_alu instid0(SALU_CYCLE_1)
	s_and_not1_b32 vcc_lo, exec_lo, s0
	s_cbranch_vccnz .LBB11_352
; %bb.348:
	v_cmp_lt_i16_e32 vcc_lo, 0, v6
	s_mov_b32 s0, -1
	s_cbranch_vccz .LBB11_350
; %bb.349:
	v_cvt_i32_f64_e32 v4, v[34:35]
	s_mov_b32 s0, 0
	global_store_b8 v[2:3], v4, off
.LBB11_350:
	s_and_not1_b32 vcc_lo, exec_lo, s0
	s_cbranch_vccnz .LBB11_352
; %bb.351:
	v_trunc_f64_e32 v[4:5], v[34:35]
	s_delay_alu instid0(VALU_DEP_1) | instskip(NEXT) | instid1(VALU_DEP_1)
	v_ldexp_f64 v[7:8], v[4:5], 0xffffffe0
	v_floor_f64_e32 v[7:8], v[7:8]
	s_delay_alu instid0(VALU_DEP_1) | instskip(NEXT) | instid1(VALU_DEP_1)
	v_fma_f64 v[4:5], 0xc1f00000, v[7:8], v[4:5]
	v_cvt_u32_f64_e32 v4, v[4:5]
	global_store_b8 v[2:3], v4, off
.LBB11_352:
	s_mov_b32 s3, -1
.LBB11_353:
	s_delay_alu instid0(SALU_CYCLE_1)
	s_and_not1_b32 vcc_lo, exec_lo, s3
	s_cbranch_vccnz .LBB11_666
; %bb.354:
	v_cmp_gt_i16_e32 vcc_lo, 11, v6
	v_add_co_u32 v2, s0, s12, v40
	s_delay_alu instid0(VALU_DEP_1)
	v_add_co_ci_u32_e64 v3, null, s13, 0, s0
	s_mov_b32 s3, 0
	s_mov_b32 s0, -1
	s_cbranch_vccnz .LBB11_432
; %bb.355:
	v_cmp_lt_i16_e32 vcc_lo, 25, v6
	s_mov_b32 s4, -1
	s_mov_b32 s2, 0
	s_mov_b32 s0, 0
	s_cbranch_vccz .LBB11_388
; %bb.356:
	v_cmp_lt_i16_e32 vcc_lo, 28, v6
	s_cbranch_vccz .LBB11_371
; %bb.357:
	v_cmp_lt_i16_e32 vcc_lo, 43, v6
	;; [unrolled: 3-line block ×3, first 2 shown]
	s_cbranch_vccz .LBB11_361
; %bb.359:
	v_cmp_eq_u16_e32 vcc_lo, 46, v6
	s_mov_b32 s0, -1
	s_mov_b32 s4, 0
	s_cbranch_vccz .LBB11_361
; %bb.360:
	v_cvt_f32_f64_e32 v4, v[32:33]
	s_mov_b32 s0, 0
	s_mov_b32 s3, -1
	s_delay_alu instid0(VALU_DEP_1) | instskip(SKIP_1) | instid1(VALU_DEP_2)
	v_bfe_u32 v5, v4, 16, 1
	v_cmp_o_f32_e32 vcc_lo, v4, v4
	v_add3_u32 v5, v4, v5, 0x7fff
	s_delay_alu instid0(VALU_DEP_1) | instskip(NEXT) | instid1(VALU_DEP_1)
	v_lshrrev_b32_e32 v5, 16, v5
	v_cndmask_b32_e32 v4, 0x7fc0, v5, vcc_lo
	global_store_b32 v[2:3], v4, off
.LBB11_361:
	s_and_b32 vcc_lo, exec_lo, s4
	s_cbranch_vccz .LBB11_366
; %bb.362:
	v_cmp_eq_u16_e32 vcc_lo, 44, v6
	s_mov_b32 s0, -1
	s_cbranch_vccz .LBB11_366
; %bb.363:
	v_cvt_f32_f64_e32 v4, v[32:33]
	v_mov_b32_e32 v5, 0xff
	s_mov_b32 s3, exec_lo
	s_delay_alu instid0(VALU_DEP_2) | instskip(NEXT) | instid1(VALU_DEP_1)
	v_bfe_u32 v7, v4, 23, 8
	v_cmpx_ne_u32_e32 0xff, v7
; %bb.364:
	v_and_b32_e32 v5, 0x400000, v4
	v_and_or_b32 v7, 0x3fffff, v4, v7
	v_lshrrev_b32_e32 v4, 23, v4
	s_delay_alu instid0(VALU_DEP_3) | instskip(NEXT) | instid1(VALU_DEP_3)
	v_cmp_ne_u32_e32 vcc_lo, 0, v5
	v_cmp_ne_u32_e64 s0, 0, v7
	s_delay_alu instid0(VALU_DEP_1) | instskip(NEXT) | instid1(SALU_CYCLE_1)
	s_and_b32 s0, vcc_lo, s0
	v_cndmask_b32_e64 v5, 0, 1, s0
	s_delay_alu instid0(VALU_DEP_1)
	v_add_nc_u32_e32 v5, v4, v5
; %bb.365:
	s_or_b32 exec_lo, exec_lo, s3
	s_mov_b32 s0, 0
	s_mov_b32 s3, -1
	global_store_b8 v[2:3], v5, off
.LBB11_366:
	s_mov_b32 s4, 0
.LBB11_367:
	s_delay_alu instid0(SALU_CYCLE_1)
	s_and_b32 vcc_lo, exec_lo, s4
	s_cbranch_vccz .LBB11_370
; %bb.368:
	v_cmp_eq_u16_e32 vcc_lo, 29, v6
	s_mov_b32 s0, -1
	s_cbranch_vccz .LBB11_370
; %bb.369:
	v_trunc_f64_e32 v[4:5], v[32:33]
	s_mov_b32 s0, 0
	s_mov_b32 s3, -1
	s_delay_alu instid0(VALU_DEP_1) | instskip(NEXT) | instid1(VALU_DEP_1)
	v_ldexp_f64 v[7:8], v[4:5], 0xffffffe0
	v_floor_f64_e32 v[7:8], v[7:8]
	s_delay_alu instid0(VALU_DEP_1) | instskip(SKIP_1) | instid1(VALU_DEP_2)
	v_fma_f64 v[4:5], 0xc1f00000, v[7:8], v[4:5]
	v_cvt_u32_f64_e32 v8, v[7:8]
	v_cvt_u32_f64_e32 v7, v[4:5]
	global_store_b64 v[2:3], v[7:8], off
.LBB11_370:
	s_mov_b32 s4, 0
.LBB11_371:
	s_delay_alu instid0(SALU_CYCLE_1)
	s_and_b32 vcc_lo, exec_lo, s4
	s_cbranch_vccz .LBB11_387
; %bb.372:
	v_cmp_gt_i16_e32 vcc_lo, 27, v6
	s_mov_b32 s3, -1
	s_cbranch_vccnz .LBB11_378
; %bb.373:
	v_cvt_u32_f64_e32 v4, v[32:33]
	v_cmp_lt_i16_e32 vcc_lo, 27, v6
	s_cbranch_vccz .LBB11_375
; %bb.374:
	s_mov_b32 s3, 0
	global_store_b32 v[2:3], v4, off
.LBB11_375:
	s_and_not1_b32 vcc_lo, exec_lo, s3
	s_cbranch_vccnz .LBB11_377
; %bb.376:
	global_store_b16 v[2:3], v4, off
.LBB11_377:
	s_mov_b32 s3, 0
.LBB11_378:
	s_delay_alu instid0(SALU_CYCLE_1)
	s_and_not1_b32 vcc_lo, exec_lo, s3
	s_cbranch_vccnz .LBB11_386
; %bb.379:
	v_cvt_f32_f64_e32 v4, v[32:33]
	v_mov_b32_e32 v7, 0x80
	s_mov_b32 s3, exec_lo
	s_delay_alu instid0(VALU_DEP_2) | instskip(NEXT) | instid1(VALU_DEP_1)
	v_and_b32_e32 v5, 0x7fffffff, v4
	v_cmpx_gt_u32_e32 0x43800000, v5
	s_cbranch_execz .LBB11_385
; %bb.380:
	v_cmp_lt_u32_e32 vcc_lo, 0x3bffffff, v5
	s_mov_b32 s4, 0
                                        ; implicit-def: $vgpr5
	s_and_saveexec_b32 s5, vcc_lo
	s_delay_alu instid0(SALU_CYCLE_1)
	s_xor_b32 s5, exec_lo, s5
	s_cbranch_execz .LBB11_777
; %bb.381:
	v_bfe_u32 v5, v4, 20, 1
	s_mov_b32 s4, exec_lo
	s_delay_alu instid0(VALU_DEP_1) | instskip(NEXT) | instid1(VALU_DEP_1)
	v_add3_u32 v5, v4, v5, 0x487ffff
	v_lshrrev_b32_e32 v5, 20, v5
	s_or_saveexec_b32 s5, s5
                                        ; implicit-def: $sgpr6
	s_delay_alu instid0(SALU_CYCLE_1)
	s_xor_b32 exec_lo, exec_lo, s5
	s_cbranch_execnz .LBB11_778
.LBB11_382:
	s_or_b32 exec_lo, exec_lo, s5
	v_mov_b32_e32 v7, s6
	s_and_saveexec_b32 s5, s4
.LBB11_383:
	v_lshrrev_b32_e32 v4, 24, v4
	s_delay_alu instid0(VALU_DEP_1)
	v_and_or_b32 v7, 0x80, v4, v5
.LBB11_384:
	s_or_b32 exec_lo, exec_lo, s5
.LBB11_385:
	s_delay_alu instid0(SALU_CYCLE_1)
	s_or_b32 exec_lo, exec_lo, s3
	global_store_b8 v[2:3], v7, off
.LBB11_386:
	s_mov_b32 s3, -1
.LBB11_387:
	s_mov_b32 s4, 0
.LBB11_388:
	s_delay_alu instid0(SALU_CYCLE_1)
	s_and_b32 vcc_lo, exec_lo, s4
	s_cbranch_vccz .LBB11_428
; %bb.389:
	v_cmp_lt_i16_e32 vcc_lo, 22, v6
	s_mov_b32 s2, -1
	s_cbranch_vccz .LBB11_421
; %bb.390:
	v_cmp_gt_i16_e32 vcc_lo, 24, v6
	s_cbranch_vccnz .LBB11_410
; %bb.391:
	v_cmp_lt_i16_e32 vcc_lo, 24, v6
	s_cbranch_vccz .LBB11_399
; %bb.392:
	v_cvt_f32_f64_e32 v4, v[32:33]
	v_mov_b32_e32 v7, 0x80
	s_mov_b32 s2, exec_lo
	s_delay_alu instid0(VALU_DEP_2) | instskip(NEXT) | instid1(VALU_DEP_1)
	v_and_b32_e32 v5, 0x7fffffff, v4
	v_cmpx_gt_u32_e32 0x47800000, v5
	s_cbranch_execz .LBB11_398
; %bb.393:
	v_cmp_lt_u32_e32 vcc_lo, 0x37ffffff, v5
	s_mov_b32 s3, 0
                                        ; implicit-def: $vgpr5
	s_and_saveexec_b32 s4, vcc_lo
	s_delay_alu instid0(SALU_CYCLE_1)
	s_xor_b32 s4, exec_lo, s4
	s_cbranch_execz .LBB11_925
; %bb.394:
	v_bfe_u32 v5, v4, 21, 1
	s_mov_b32 s3, exec_lo
	s_delay_alu instid0(VALU_DEP_1) | instskip(NEXT) | instid1(VALU_DEP_1)
	v_add3_u32 v5, v4, v5, 0x88fffff
	v_lshrrev_b32_e32 v5, 21, v5
	s_or_saveexec_b32 s4, s4
                                        ; implicit-def: $sgpr5
	s_delay_alu instid0(SALU_CYCLE_1)
	s_xor_b32 exec_lo, exec_lo, s4
	s_cbranch_execnz .LBB11_926
.LBB11_395:
	s_or_b32 exec_lo, exec_lo, s4
	v_mov_b32_e32 v7, s5
	s_and_saveexec_b32 s4, s3
.LBB11_396:
	v_lshrrev_b32_e32 v4, 24, v4
	s_delay_alu instid0(VALU_DEP_1)
	v_and_or_b32 v7, 0x80, v4, v5
.LBB11_397:
	s_or_b32 exec_lo, exec_lo, s4
.LBB11_398:
	s_delay_alu instid0(SALU_CYCLE_1)
	s_or_b32 exec_lo, exec_lo, s2
	s_mov_b32 s2, 0
	global_store_b8 v[2:3], v7, off
.LBB11_399:
	s_and_b32 vcc_lo, exec_lo, s2
	s_cbranch_vccz .LBB11_409
; %bb.400:
	v_cvt_f32_f64_e32 v4, v[32:33]
	s_mov_b32 s2, exec_lo
                                        ; implicit-def: $vgpr5
	s_delay_alu instid0(VALU_DEP_1) | instskip(NEXT) | instid1(VALU_DEP_1)
	v_and_b32_e32 v7, 0x7fffffff, v4
	v_cmpx_gt_u32_e32 0x43f00000, v7
	s_xor_b32 s2, exec_lo, s2
	s_cbranch_execz .LBB11_406
; %bb.401:
	s_mov_b32 s3, exec_lo
                                        ; implicit-def: $vgpr5
	v_cmpx_lt_u32_e32 0x3c7fffff, v7
	s_xor_b32 s3, exec_lo, s3
; %bb.402:
	v_bfe_u32 v5, v4, 20, 1
	s_delay_alu instid0(VALU_DEP_1) | instskip(NEXT) | instid1(VALU_DEP_1)
	v_add3_u32 v5, v4, v5, 0x407ffff
	v_and_b32_e32 v7, 0xff00000, v5
	v_lshrrev_b32_e32 v5, 20, v5
	s_delay_alu instid0(VALU_DEP_2) | instskip(NEXT) | instid1(VALU_DEP_2)
	v_cmp_ne_u32_e32 vcc_lo, 0x7f00000, v7
	v_cndmask_b32_e32 v5, 0x7e, v5, vcc_lo
; %bb.403:
	s_and_not1_saveexec_b32 s3, s3
; %bb.404:
	v_add_f32_e64 v5, 0x46800000, |v4|
; %bb.405:
	s_or_b32 exec_lo, exec_lo, s3
                                        ; implicit-def: $vgpr7
.LBB11_406:
	s_and_not1_saveexec_b32 s2, s2
; %bb.407:
	v_mov_b32_e32 v5, 0x7f
	v_cmp_lt_u32_e32 vcc_lo, 0x7f800000, v7
	s_delay_alu instid0(VALU_DEP_2)
	v_cndmask_b32_e32 v5, 0x7e, v5, vcc_lo
; %bb.408:
	s_or_b32 exec_lo, exec_lo, s2
	v_lshrrev_b32_e32 v4, 24, v4
	s_delay_alu instid0(VALU_DEP_1)
	v_and_or_b32 v4, 0x80, v4, v5
	global_store_b8 v[2:3], v4, off
.LBB11_409:
	s_mov_b32 s2, 0
.LBB11_410:
	s_delay_alu instid0(SALU_CYCLE_1)
	s_and_not1_b32 vcc_lo, exec_lo, s2
	s_cbranch_vccnz .LBB11_420
; %bb.411:
	v_cvt_f32_f64_e32 v4, v[32:33]
	s_mov_b32 s2, exec_lo
                                        ; implicit-def: $vgpr5
	s_delay_alu instid0(VALU_DEP_1) | instskip(NEXT) | instid1(VALU_DEP_1)
	v_and_b32_e32 v7, 0x7fffffff, v4
	v_cmpx_gt_u32_e32 0x47800000, v7
	s_xor_b32 s2, exec_lo, s2
	s_cbranch_execz .LBB11_417
; %bb.412:
	s_mov_b32 s3, exec_lo
                                        ; implicit-def: $vgpr5
	v_cmpx_lt_u32_e32 0x387fffff, v7
	s_xor_b32 s3, exec_lo, s3
; %bb.413:
	v_bfe_u32 v5, v4, 21, 1
	s_delay_alu instid0(VALU_DEP_1) | instskip(NEXT) | instid1(VALU_DEP_1)
	v_add3_u32 v5, v4, v5, 0x80fffff
	v_lshrrev_b32_e32 v5, 21, v5
; %bb.414:
	s_and_not1_saveexec_b32 s3, s3
; %bb.415:
	v_add_f32_e64 v5, 0x43000000, |v4|
; %bb.416:
	s_or_b32 exec_lo, exec_lo, s3
                                        ; implicit-def: $vgpr7
.LBB11_417:
	s_and_not1_saveexec_b32 s2, s2
; %bb.418:
	v_mov_b32_e32 v5, 0x7f
	v_cmp_lt_u32_e32 vcc_lo, 0x7f800000, v7
	s_delay_alu instid0(VALU_DEP_2)
	v_cndmask_b32_e32 v5, 0x7c, v5, vcc_lo
; %bb.419:
	s_or_b32 exec_lo, exec_lo, s2
	v_lshrrev_b32_e32 v4, 24, v4
	s_delay_alu instid0(VALU_DEP_1)
	v_and_or_b32 v4, 0x80, v4, v5
	global_store_b8 v[2:3], v4, off
.LBB11_420:
	s_mov_b32 s2, 0
	s_mov_b32 s3, -1
.LBB11_421:
	s_and_not1_b32 vcc_lo, exec_lo, s2
	s_mov_b32 s2, 0
	s_cbranch_vccnz .LBB11_428
; %bb.422:
	v_cmp_lt_i16_e32 vcc_lo, 14, v6
	s_mov_b32 s2, -1
	s_cbranch_vccz .LBB11_426
; %bb.423:
	v_cmp_eq_u16_e32 vcc_lo, 15, v6
	s_mov_b32 s0, -1
	s_cbranch_vccz .LBB11_425
; %bb.424:
	v_cvt_f32_f64_e32 v4, v[32:33]
	s_mov_b32 s0, 0
	s_mov_b32 s3, -1
	s_delay_alu instid0(VALU_DEP_1) | instskip(SKIP_1) | instid1(VALU_DEP_2)
	v_bfe_u32 v5, v4, 16, 1
	v_cmp_o_f32_e32 vcc_lo, v4, v4
	v_add3_u32 v5, v4, v5, 0x7fff
	s_delay_alu instid0(VALU_DEP_1) | instskip(NEXT) | instid1(VALU_DEP_1)
	v_lshrrev_b32_e32 v5, 16, v5
	v_cndmask_b32_e32 v4, 0x7fc0, v5, vcc_lo
	global_store_b16 v[2:3], v4, off
.LBB11_425:
	s_mov_b32 s2, 0
.LBB11_426:
	s_delay_alu instid0(SALU_CYCLE_1)
	s_and_b32 vcc_lo, exec_lo, s2
	s_mov_b32 s2, 0
	s_cbranch_vccz .LBB11_428
; %bb.427:
	v_cmp_ne_u16_e64 s0, 11, v6
	s_mov_b32 s2, -1
.LBB11_428:
	s_delay_alu instid0(VALU_DEP_1)
	s_and_b32 vcc_lo, exec_lo, s0
	s_cbranch_vccnz .LBB11_781
; %bb.429:
	s_and_not1_b32 vcc_lo, exec_lo, s2
	s_cbranch_vccnz .LBB11_431
.LBB11_430:
	v_cmp_neq_f64_e32 vcc_lo, 0, v[32:33]
	s_mov_b32 s3, -1
	v_cndmask_b32_e64 v4, 0, 1, vcc_lo
	global_store_b8 v[2:3], v4, off
.LBB11_431:
	s_mov_b32 s0, 0
.LBB11_432:
	s_delay_alu instid0(SALU_CYCLE_1)
	s_and_b32 vcc_lo, exec_lo, s0
	s_cbranch_vccz .LBB11_471
; %bb.433:
	v_cmp_gt_i16_e32 vcc_lo, 5, v6
	s_mov_b32 s0, -1
	s_cbranch_vccnz .LBB11_454
; %bb.434:
	v_cmp_gt_i16_e32 vcc_lo, 8, v6
	s_cbranch_vccnz .LBB11_444
; %bb.435:
	v_cmp_gt_i16_e32 vcc_lo, 9, v6
	s_cbranch_vccnz .LBB11_441
; %bb.436:
	v_cmp_lt_i16_e32 vcc_lo, 9, v6
	s_cbranch_vccz .LBB11_438
; %bb.437:
	v_mov_b32_e32 v34, 0
	s_mov_b32 s0, 0
	s_delay_alu instid0(VALU_DEP_1)
	v_mov_b32_e32 v35, v34
	global_store_b128 v[2:3], v[32:35], off
.LBB11_438:
	s_and_not1_b32 vcc_lo, exec_lo, s0
	s_cbranch_vccnz .LBB11_440
; %bb.439:
	v_cvt_f32_f64_e32 v4, v[32:33]
	v_mov_b32_e32 v5, 0
	global_store_b64 v[2:3], v[4:5], off
.LBB11_440:
	s_mov_b32 s0, 0
.LBB11_441:
	s_delay_alu instid0(SALU_CYCLE_1)
	s_and_not1_b32 vcc_lo, exec_lo, s0
	s_cbranch_vccnz .LBB11_443
; %bb.442:
	v_cvt_f32_f64_e32 v4, v[32:33]
	s_delay_alu instid0(VALU_DEP_1) | instskip(NEXT) | instid1(VALU_DEP_1)
	v_cvt_f16_f32_e32 v4, v4
	v_and_b32_e32 v4, 0xffff, v4
	global_store_b32 v[2:3], v4, off
.LBB11_443:
	s_mov_b32 s0, 0
.LBB11_444:
	s_delay_alu instid0(SALU_CYCLE_1)
	s_and_not1_b32 vcc_lo, exec_lo, s0
	s_cbranch_vccnz .LBB11_453
; %bb.445:
	v_cmp_gt_i16_e32 vcc_lo, 6, v6
	s_mov_b32 s0, -1
	s_cbranch_vccnz .LBB11_451
; %bb.446:
	v_cmp_lt_i16_e32 vcc_lo, 6, v6
	s_cbranch_vccz .LBB11_448
; %bb.447:
	s_mov_b32 s0, 0
	global_store_b64 v[2:3], v[32:33], off
.LBB11_448:
	s_and_not1_b32 vcc_lo, exec_lo, s0
	s_cbranch_vccnz .LBB11_450
; %bb.449:
	v_cvt_f32_f64_e32 v4, v[32:33]
	global_store_b32 v[2:3], v4, off
.LBB11_450:
	s_mov_b32 s0, 0
.LBB11_451:
	s_delay_alu instid0(SALU_CYCLE_1)
	s_and_not1_b32 vcc_lo, exec_lo, s0
	s_cbranch_vccnz .LBB11_453
; %bb.452:
	v_cvt_f32_f64_e32 v4, v[32:33]
	s_delay_alu instid0(VALU_DEP_1)
	v_cvt_f16_f32_e32 v4, v4
	global_store_b16 v[2:3], v4, off
.LBB11_453:
	s_mov_b32 s0, 0
.LBB11_454:
	s_delay_alu instid0(SALU_CYCLE_1)
	s_and_not1_b32 vcc_lo, exec_lo, s0
	s_cbranch_vccnz .LBB11_470
; %bb.455:
	v_cmp_gt_i16_e32 vcc_lo, 2, v6
	s_mov_b32 s0, -1
	s_cbranch_vccnz .LBB11_465
; %bb.456:
	v_cmp_gt_i16_e32 vcc_lo, 3, v6
	s_cbranch_vccnz .LBB11_462
; %bb.457:
	v_cmp_lt_i16_e32 vcc_lo, 3, v6
	s_cbranch_vccz .LBB11_459
; %bb.458:
	v_trunc_f64_e32 v[4:5], v[32:33]
	s_mov_b32 s0, 0
	s_delay_alu instid0(VALU_DEP_1) | instskip(NEXT) | instid1(VALU_DEP_1)
	v_ldexp_f64 v[7:8], v[4:5], 0xffffffe0
	v_floor_f64_e32 v[7:8], v[7:8]
	s_delay_alu instid0(VALU_DEP_1) | instskip(SKIP_1) | instid1(VALU_DEP_2)
	v_fma_f64 v[4:5], 0xc1f00000, v[7:8], v[4:5]
	v_cvt_i32_f64_e32 v8, v[7:8]
	v_cvt_u32_f64_e32 v7, v[4:5]
	global_store_b64 v[2:3], v[7:8], off
.LBB11_459:
	s_and_not1_b32 vcc_lo, exec_lo, s0
	s_cbranch_vccnz .LBB11_461
; %bb.460:
	v_cvt_i32_f64_e32 v4, v[32:33]
	global_store_b32 v[2:3], v4, off
.LBB11_461:
	s_mov_b32 s0, 0
.LBB11_462:
	s_delay_alu instid0(SALU_CYCLE_1)
	s_and_not1_b32 vcc_lo, exec_lo, s0
	s_cbranch_vccnz .LBB11_464
; %bb.463:
	v_cvt_i32_f64_e32 v4, v[32:33]
	global_store_b16 v[2:3], v4, off
.LBB11_464:
	s_mov_b32 s0, 0
.LBB11_465:
	s_delay_alu instid0(SALU_CYCLE_1)
	s_and_not1_b32 vcc_lo, exec_lo, s0
	s_cbranch_vccnz .LBB11_470
; %bb.466:
	v_cmp_lt_i16_e32 vcc_lo, 0, v6
	s_mov_b32 s0, -1
	s_cbranch_vccz .LBB11_468
; %bb.467:
	v_cvt_i32_f64_e32 v4, v[32:33]
	s_mov_b32 s0, 0
	global_store_b8 v[2:3], v4, off
.LBB11_468:
	s_and_not1_b32 vcc_lo, exec_lo, s0
	s_cbranch_vccnz .LBB11_470
; %bb.469:
	v_trunc_f64_e32 v[4:5], v[32:33]
	s_delay_alu instid0(VALU_DEP_1) | instskip(NEXT) | instid1(VALU_DEP_1)
	v_ldexp_f64 v[7:8], v[4:5], 0xffffffe0
	v_floor_f64_e32 v[7:8], v[7:8]
	s_delay_alu instid0(VALU_DEP_1) | instskip(NEXT) | instid1(VALU_DEP_1)
	v_fma_f64 v[4:5], 0xc1f00000, v[7:8], v[4:5]
	v_cvt_u32_f64_e32 v4, v[4:5]
	global_store_b8 v[2:3], v4, off
.LBB11_470:
	s_mov_b32 s3, -1
.LBB11_471:
	s_delay_alu instid0(SALU_CYCLE_1)
	s_and_not1_b32 vcc_lo, exec_lo, s3
	s_cbranch_vccnz .LBB11_666
; %bb.472:
	v_cmp_gt_i16_e32 vcc_lo, 11, v6
	v_add_co_u32 v2, s0, s12, v39
	s_delay_alu instid0(VALU_DEP_1)
	v_add_co_ci_u32_e64 v3, null, s13, 0, s0
	s_mov_b32 s3, 0
	s_mov_b32 s0, -1
	s_cbranch_vccnz .LBB11_550
; %bb.473:
	v_cmp_lt_i16_e32 vcc_lo, 25, v6
	s_mov_b32 s4, -1
	s_mov_b32 s2, 0
	s_mov_b32 s0, 0
	s_cbranch_vccz .LBB11_506
; %bb.474:
	v_cmp_lt_i16_e32 vcc_lo, 28, v6
	s_cbranch_vccz .LBB11_489
; %bb.475:
	v_cmp_lt_i16_e32 vcc_lo, 43, v6
	;; [unrolled: 3-line block ×3, first 2 shown]
	s_cbranch_vccz .LBB11_479
; %bb.477:
	v_cmp_eq_u16_e32 vcc_lo, 46, v6
	s_mov_b32 s0, -1
	s_mov_b32 s4, 0
	s_cbranch_vccz .LBB11_479
; %bb.478:
	v_cvt_f32_f64_e32 v4, v[30:31]
	s_mov_b32 s0, 0
	s_mov_b32 s3, -1
	s_delay_alu instid0(VALU_DEP_1) | instskip(SKIP_1) | instid1(VALU_DEP_2)
	v_bfe_u32 v5, v4, 16, 1
	v_cmp_o_f32_e32 vcc_lo, v4, v4
	v_add3_u32 v5, v4, v5, 0x7fff
	s_delay_alu instid0(VALU_DEP_1) | instskip(NEXT) | instid1(VALU_DEP_1)
	v_lshrrev_b32_e32 v5, 16, v5
	v_cndmask_b32_e32 v4, 0x7fc0, v5, vcc_lo
	global_store_b32 v[2:3], v4, off
.LBB11_479:
	s_and_b32 vcc_lo, exec_lo, s4
	s_cbranch_vccz .LBB11_484
; %bb.480:
	v_cmp_eq_u16_e32 vcc_lo, 44, v6
	s_mov_b32 s0, -1
	s_cbranch_vccz .LBB11_484
; %bb.481:
	v_cvt_f32_f64_e32 v4, v[30:31]
	v_mov_b32_e32 v5, 0xff
	s_mov_b32 s3, exec_lo
	s_delay_alu instid0(VALU_DEP_2) | instskip(NEXT) | instid1(VALU_DEP_1)
	v_bfe_u32 v7, v4, 23, 8
	v_cmpx_ne_u32_e32 0xff, v7
; %bb.482:
	v_and_b32_e32 v5, 0x400000, v4
	v_and_or_b32 v7, 0x3fffff, v4, v7
	v_lshrrev_b32_e32 v4, 23, v4
	s_delay_alu instid0(VALU_DEP_3) | instskip(NEXT) | instid1(VALU_DEP_3)
	v_cmp_ne_u32_e32 vcc_lo, 0, v5
	v_cmp_ne_u32_e64 s0, 0, v7
	s_delay_alu instid0(VALU_DEP_1) | instskip(NEXT) | instid1(SALU_CYCLE_1)
	s_and_b32 s0, vcc_lo, s0
	v_cndmask_b32_e64 v5, 0, 1, s0
	s_delay_alu instid0(VALU_DEP_1)
	v_add_nc_u32_e32 v5, v4, v5
; %bb.483:
	s_or_b32 exec_lo, exec_lo, s3
	s_mov_b32 s0, 0
	s_mov_b32 s3, -1
	global_store_b8 v[2:3], v5, off
.LBB11_484:
	s_mov_b32 s4, 0
.LBB11_485:
	s_delay_alu instid0(SALU_CYCLE_1)
	s_and_b32 vcc_lo, exec_lo, s4
	s_cbranch_vccz .LBB11_488
; %bb.486:
	v_cmp_eq_u16_e32 vcc_lo, 29, v6
	s_mov_b32 s0, -1
	s_cbranch_vccz .LBB11_488
; %bb.487:
	v_trunc_f64_e32 v[4:5], v[30:31]
	s_mov_b32 s0, 0
	s_mov_b32 s3, -1
	s_delay_alu instid0(VALU_DEP_1) | instskip(NEXT) | instid1(VALU_DEP_1)
	v_ldexp_f64 v[7:8], v[4:5], 0xffffffe0
	v_floor_f64_e32 v[7:8], v[7:8]
	s_delay_alu instid0(VALU_DEP_1) | instskip(SKIP_1) | instid1(VALU_DEP_2)
	v_fma_f64 v[4:5], 0xc1f00000, v[7:8], v[4:5]
	v_cvt_u32_f64_e32 v8, v[7:8]
	v_cvt_u32_f64_e32 v7, v[4:5]
	global_store_b64 v[2:3], v[7:8], off
.LBB11_488:
	s_mov_b32 s4, 0
.LBB11_489:
	s_delay_alu instid0(SALU_CYCLE_1)
	s_and_b32 vcc_lo, exec_lo, s4
	s_cbranch_vccz .LBB11_505
; %bb.490:
	v_cmp_gt_i16_e32 vcc_lo, 27, v6
	s_mov_b32 s3, -1
	s_cbranch_vccnz .LBB11_496
; %bb.491:
	v_cvt_u32_f64_e32 v4, v[30:31]
	v_cmp_lt_i16_e32 vcc_lo, 27, v6
	s_cbranch_vccz .LBB11_493
; %bb.492:
	s_mov_b32 s3, 0
	global_store_b32 v[2:3], v4, off
.LBB11_493:
	s_and_not1_b32 vcc_lo, exec_lo, s3
	s_cbranch_vccnz .LBB11_495
; %bb.494:
	global_store_b16 v[2:3], v4, off
.LBB11_495:
	s_mov_b32 s3, 0
.LBB11_496:
	s_delay_alu instid0(SALU_CYCLE_1)
	s_and_not1_b32 vcc_lo, exec_lo, s3
	s_cbranch_vccnz .LBB11_504
; %bb.497:
	v_cvt_f32_f64_e32 v4, v[30:31]
	v_mov_b32_e32 v7, 0x80
	s_mov_b32 s3, exec_lo
	s_delay_alu instid0(VALU_DEP_2) | instskip(NEXT) | instid1(VALU_DEP_1)
	v_and_b32_e32 v5, 0x7fffffff, v4
	v_cmpx_gt_u32_e32 0x43800000, v5
	s_cbranch_execz .LBB11_503
; %bb.498:
	v_cmp_lt_u32_e32 vcc_lo, 0x3bffffff, v5
	s_mov_b32 s4, 0
                                        ; implicit-def: $vgpr5
	s_and_saveexec_b32 s5, vcc_lo
	s_delay_alu instid0(SALU_CYCLE_1)
	s_xor_b32 s5, exec_lo, s5
	s_cbranch_execz .LBB11_927
; %bb.499:
	v_bfe_u32 v5, v4, 20, 1
	s_mov_b32 s4, exec_lo
	s_delay_alu instid0(VALU_DEP_1) | instskip(NEXT) | instid1(VALU_DEP_1)
	v_add3_u32 v5, v4, v5, 0x487ffff
	v_lshrrev_b32_e32 v5, 20, v5
	s_or_saveexec_b32 s5, s5
                                        ; implicit-def: $sgpr6
	s_delay_alu instid0(SALU_CYCLE_1)
	s_xor_b32 exec_lo, exec_lo, s5
	s_cbranch_execnz .LBB11_928
.LBB11_500:
	s_or_b32 exec_lo, exec_lo, s5
	v_mov_b32_e32 v7, s6
	s_and_saveexec_b32 s5, s4
.LBB11_501:
	v_lshrrev_b32_e32 v4, 24, v4
	s_delay_alu instid0(VALU_DEP_1)
	v_and_or_b32 v7, 0x80, v4, v5
.LBB11_502:
	s_or_b32 exec_lo, exec_lo, s5
.LBB11_503:
	s_delay_alu instid0(SALU_CYCLE_1)
	s_or_b32 exec_lo, exec_lo, s3
	global_store_b8 v[2:3], v7, off
.LBB11_504:
	s_mov_b32 s3, -1
.LBB11_505:
	s_mov_b32 s4, 0
.LBB11_506:
	s_delay_alu instid0(SALU_CYCLE_1)
	s_and_b32 vcc_lo, exec_lo, s4
	s_cbranch_vccz .LBB11_546
; %bb.507:
	v_cmp_lt_i16_e32 vcc_lo, 22, v6
	s_mov_b32 s2, -1
	s_cbranch_vccz .LBB11_539
; %bb.508:
	v_cmp_gt_i16_e32 vcc_lo, 24, v6
	s_cbranch_vccnz .LBB11_528
; %bb.509:
	v_cmp_lt_i16_e32 vcc_lo, 24, v6
	s_cbranch_vccz .LBB11_517
; %bb.510:
	v_cvt_f32_f64_e32 v4, v[30:31]
	v_mov_b32_e32 v7, 0x80
	s_mov_b32 s2, exec_lo
	s_delay_alu instid0(VALU_DEP_2) | instskip(NEXT) | instid1(VALU_DEP_1)
	v_and_b32_e32 v5, 0x7fffffff, v4
	v_cmpx_gt_u32_e32 0x47800000, v5
	s_cbranch_execz .LBB11_516
; %bb.511:
	v_cmp_lt_u32_e32 vcc_lo, 0x37ffffff, v5
	s_mov_b32 s3, 0
                                        ; implicit-def: $vgpr5
	s_and_saveexec_b32 s4, vcc_lo
	s_delay_alu instid0(SALU_CYCLE_1)
	s_xor_b32 s4, exec_lo, s4
	s_cbranch_execz .LBB11_1108
; %bb.512:
	v_bfe_u32 v5, v4, 21, 1
	s_mov_b32 s3, exec_lo
	s_delay_alu instid0(VALU_DEP_1) | instskip(NEXT) | instid1(VALU_DEP_1)
	v_add3_u32 v5, v4, v5, 0x88fffff
	v_lshrrev_b32_e32 v5, 21, v5
	s_or_saveexec_b32 s4, s4
                                        ; implicit-def: $sgpr5
	s_delay_alu instid0(SALU_CYCLE_1)
	s_xor_b32 exec_lo, exec_lo, s4
	s_cbranch_execnz .LBB11_1109
.LBB11_513:
	s_or_b32 exec_lo, exec_lo, s4
	v_mov_b32_e32 v7, s5
	s_and_saveexec_b32 s4, s3
.LBB11_514:
	v_lshrrev_b32_e32 v4, 24, v4
	s_delay_alu instid0(VALU_DEP_1)
	v_and_or_b32 v7, 0x80, v4, v5
.LBB11_515:
	s_or_b32 exec_lo, exec_lo, s4
.LBB11_516:
	s_delay_alu instid0(SALU_CYCLE_1)
	s_or_b32 exec_lo, exec_lo, s2
	s_mov_b32 s2, 0
	global_store_b8 v[2:3], v7, off
.LBB11_517:
	s_and_b32 vcc_lo, exec_lo, s2
	s_cbranch_vccz .LBB11_527
; %bb.518:
	v_cvt_f32_f64_e32 v4, v[30:31]
	s_mov_b32 s2, exec_lo
                                        ; implicit-def: $vgpr5
	s_delay_alu instid0(VALU_DEP_1) | instskip(NEXT) | instid1(VALU_DEP_1)
	v_and_b32_e32 v7, 0x7fffffff, v4
	v_cmpx_gt_u32_e32 0x43f00000, v7
	s_xor_b32 s2, exec_lo, s2
	s_cbranch_execz .LBB11_524
; %bb.519:
	s_mov_b32 s3, exec_lo
                                        ; implicit-def: $vgpr5
	v_cmpx_lt_u32_e32 0x3c7fffff, v7
	s_xor_b32 s3, exec_lo, s3
; %bb.520:
	v_bfe_u32 v5, v4, 20, 1
	s_delay_alu instid0(VALU_DEP_1) | instskip(NEXT) | instid1(VALU_DEP_1)
	v_add3_u32 v5, v4, v5, 0x407ffff
	v_and_b32_e32 v7, 0xff00000, v5
	v_lshrrev_b32_e32 v5, 20, v5
	s_delay_alu instid0(VALU_DEP_2) | instskip(NEXT) | instid1(VALU_DEP_2)
	v_cmp_ne_u32_e32 vcc_lo, 0x7f00000, v7
	v_cndmask_b32_e32 v5, 0x7e, v5, vcc_lo
; %bb.521:
	s_and_not1_saveexec_b32 s3, s3
; %bb.522:
	v_add_f32_e64 v5, 0x46800000, |v4|
; %bb.523:
	s_or_b32 exec_lo, exec_lo, s3
                                        ; implicit-def: $vgpr7
.LBB11_524:
	s_and_not1_saveexec_b32 s2, s2
; %bb.525:
	v_mov_b32_e32 v5, 0x7f
	v_cmp_lt_u32_e32 vcc_lo, 0x7f800000, v7
	s_delay_alu instid0(VALU_DEP_2)
	v_cndmask_b32_e32 v5, 0x7e, v5, vcc_lo
; %bb.526:
	s_or_b32 exec_lo, exec_lo, s2
	v_lshrrev_b32_e32 v4, 24, v4
	s_delay_alu instid0(VALU_DEP_1)
	v_and_or_b32 v4, 0x80, v4, v5
	global_store_b8 v[2:3], v4, off
.LBB11_527:
	s_mov_b32 s2, 0
.LBB11_528:
	s_delay_alu instid0(SALU_CYCLE_1)
	s_and_not1_b32 vcc_lo, exec_lo, s2
	s_cbranch_vccnz .LBB11_538
; %bb.529:
	v_cvt_f32_f64_e32 v4, v[30:31]
	s_mov_b32 s2, exec_lo
                                        ; implicit-def: $vgpr5
	s_delay_alu instid0(VALU_DEP_1) | instskip(NEXT) | instid1(VALU_DEP_1)
	v_and_b32_e32 v7, 0x7fffffff, v4
	v_cmpx_gt_u32_e32 0x47800000, v7
	s_xor_b32 s2, exec_lo, s2
	s_cbranch_execz .LBB11_535
; %bb.530:
	s_mov_b32 s3, exec_lo
                                        ; implicit-def: $vgpr5
	v_cmpx_lt_u32_e32 0x387fffff, v7
	s_xor_b32 s3, exec_lo, s3
; %bb.531:
	v_bfe_u32 v5, v4, 21, 1
	s_delay_alu instid0(VALU_DEP_1) | instskip(NEXT) | instid1(VALU_DEP_1)
	v_add3_u32 v5, v4, v5, 0x80fffff
	v_lshrrev_b32_e32 v5, 21, v5
; %bb.532:
	s_and_not1_saveexec_b32 s3, s3
; %bb.533:
	v_add_f32_e64 v5, 0x43000000, |v4|
; %bb.534:
	s_or_b32 exec_lo, exec_lo, s3
                                        ; implicit-def: $vgpr7
.LBB11_535:
	s_and_not1_saveexec_b32 s2, s2
; %bb.536:
	v_mov_b32_e32 v5, 0x7f
	v_cmp_lt_u32_e32 vcc_lo, 0x7f800000, v7
	s_delay_alu instid0(VALU_DEP_2)
	v_cndmask_b32_e32 v5, 0x7c, v5, vcc_lo
; %bb.537:
	s_or_b32 exec_lo, exec_lo, s2
	v_lshrrev_b32_e32 v4, 24, v4
	s_delay_alu instid0(VALU_DEP_1)
	v_and_or_b32 v4, 0x80, v4, v5
	global_store_b8 v[2:3], v4, off
.LBB11_538:
	s_mov_b32 s2, 0
	s_mov_b32 s3, -1
.LBB11_539:
	s_and_not1_b32 vcc_lo, exec_lo, s2
	s_mov_b32 s2, 0
	s_cbranch_vccnz .LBB11_546
; %bb.540:
	v_cmp_lt_i16_e32 vcc_lo, 14, v6
	s_mov_b32 s2, -1
	s_cbranch_vccz .LBB11_544
; %bb.541:
	v_cmp_eq_u16_e32 vcc_lo, 15, v6
	s_mov_b32 s0, -1
	s_cbranch_vccz .LBB11_543
; %bb.542:
	v_cvt_f32_f64_e32 v4, v[30:31]
	s_mov_b32 s0, 0
	s_mov_b32 s3, -1
	s_delay_alu instid0(VALU_DEP_1) | instskip(SKIP_1) | instid1(VALU_DEP_2)
	v_bfe_u32 v5, v4, 16, 1
	v_cmp_o_f32_e32 vcc_lo, v4, v4
	v_add3_u32 v5, v4, v5, 0x7fff
	s_delay_alu instid0(VALU_DEP_1) | instskip(NEXT) | instid1(VALU_DEP_1)
	v_lshrrev_b32_e32 v5, 16, v5
	v_cndmask_b32_e32 v4, 0x7fc0, v5, vcc_lo
	global_store_b16 v[2:3], v4, off
.LBB11_543:
	s_mov_b32 s2, 0
.LBB11_544:
	s_delay_alu instid0(SALU_CYCLE_1)
	s_and_b32 vcc_lo, exec_lo, s2
	s_mov_b32 s2, 0
	s_cbranch_vccz .LBB11_546
; %bb.545:
	v_cmp_ne_u16_e64 s0, 11, v6
	s_mov_b32 s2, -1
.LBB11_546:
	s_delay_alu instid0(VALU_DEP_1)
	s_and_b32 vcc_lo, exec_lo, s0
	s_cbranch_vccnz .LBB11_931
; %bb.547:
	s_and_not1_b32 vcc_lo, exec_lo, s2
	s_cbranch_vccnz .LBB11_549
.LBB11_548:
	v_cmp_neq_f64_e32 vcc_lo, 0, v[30:31]
	s_mov_b32 s3, -1
	v_cndmask_b32_e64 v4, 0, 1, vcc_lo
	global_store_b8 v[2:3], v4, off
.LBB11_549:
	s_mov_b32 s0, 0
.LBB11_550:
	s_delay_alu instid0(SALU_CYCLE_1)
	s_and_b32 vcc_lo, exec_lo, s0
	s_cbranch_vccz .LBB11_589
; %bb.551:
	v_cmp_gt_i16_e32 vcc_lo, 5, v6
	s_mov_b32 s0, -1
	s_cbranch_vccnz .LBB11_572
; %bb.552:
	v_cmp_gt_i16_e32 vcc_lo, 8, v6
	s_cbranch_vccnz .LBB11_562
; %bb.553:
	v_cmp_gt_i16_e32 vcc_lo, 9, v6
	s_cbranch_vccnz .LBB11_559
; %bb.554:
	v_cmp_lt_i16_e32 vcc_lo, 9, v6
	s_cbranch_vccz .LBB11_556
; %bb.555:
	v_mov_b32_e32 v32, 0
	s_mov_b32 s0, 0
	s_delay_alu instid0(VALU_DEP_1)
	v_mov_b32_e32 v33, v32
	global_store_b128 v[2:3], v[30:33], off
.LBB11_556:
	s_and_not1_b32 vcc_lo, exec_lo, s0
	s_cbranch_vccnz .LBB11_558
; %bb.557:
	v_cvt_f32_f64_e32 v4, v[30:31]
	v_mov_b32_e32 v5, 0
	global_store_b64 v[2:3], v[4:5], off
.LBB11_558:
	s_mov_b32 s0, 0
.LBB11_559:
	s_delay_alu instid0(SALU_CYCLE_1)
	s_and_not1_b32 vcc_lo, exec_lo, s0
	s_cbranch_vccnz .LBB11_561
; %bb.560:
	v_cvt_f32_f64_e32 v4, v[30:31]
	s_delay_alu instid0(VALU_DEP_1) | instskip(NEXT) | instid1(VALU_DEP_1)
	v_cvt_f16_f32_e32 v4, v4
	v_and_b32_e32 v4, 0xffff, v4
	global_store_b32 v[2:3], v4, off
.LBB11_561:
	s_mov_b32 s0, 0
.LBB11_562:
	s_delay_alu instid0(SALU_CYCLE_1)
	s_and_not1_b32 vcc_lo, exec_lo, s0
	s_cbranch_vccnz .LBB11_571
; %bb.563:
	v_cmp_gt_i16_e32 vcc_lo, 6, v6
	s_mov_b32 s0, -1
	s_cbranch_vccnz .LBB11_569
; %bb.564:
	v_cmp_lt_i16_e32 vcc_lo, 6, v6
	s_cbranch_vccz .LBB11_566
; %bb.565:
	s_mov_b32 s0, 0
	global_store_b64 v[2:3], v[30:31], off
.LBB11_566:
	s_and_not1_b32 vcc_lo, exec_lo, s0
	s_cbranch_vccnz .LBB11_568
; %bb.567:
	v_cvt_f32_f64_e32 v4, v[30:31]
	global_store_b32 v[2:3], v4, off
.LBB11_568:
	s_mov_b32 s0, 0
.LBB11_569:
	s_delay_alu instid0(SALU_CYCLE_1)
	s_and_not1_b32 vcc_lo, exec_lo, s0
	s_cbranch_vccnz .LBB11_571
; %bb.570:
	v_cvt_f32_f64_e32 v4, v[30:31]
	s_delay_alu instid0(VALU_DEP_1)
	v_cvt_f16_f32_e32 v4, v4
	global_store_b16 v[2:3], v4, off
.LBB11_571:
	s_mov_b32 s0, 0
.LBB11_572:
	s_delay_alu instid0(SALU_CYCLE_1)
	s_and_not1_b32 vcc_lo, exec_lo, s0
	s_cbranch_vccnz .LBB11_588
; %bb.573:
	v_cmp_gt_i16_e32 vcc_lo, 2, v6
	s_mov_b32 s0, -1
	s_cbranch_vccnz .LBB11_583
; %bb.574:
	v_cmp_gt_i16_e32 vcc_lo, 3, v6
	s_cbranch_vccnz .LBB11_580
; %bb.575:
	v_cmp_lt_i16_e32 vcc_lo, 3, v6
	s_cbranch_vccz .LBB11_577
; %bb.576:
	v_trunc_f64_e32 v[4:5], v[30:31]
	s_mov_b32 s0, 0
	s_delay_alu instid0(VALU_DEP_1) | instskip(NEXT) | instid1(VALU_DEP_1)
	v_ldexp_f64 v[7:8], v[4:5], 0xffffffe0
	v_floor_f64_e32 v[7:8], v[7:8]
	s_delay_alu instid0(VALU_DEP_1) | instskip(SKIP_1) | instid1(VALU_DEP_2)
	v_fma_f64 v[4:5], 0xc1f00000, v[7:8], v[4:5]
	v_cvt_i32_f64_e32 v8, v[7:8]
	v_cvt_u32_f64_e32 v7, v[4:5]
	global_store_b64 v[2:3], v[7:8], off
.LBB11_577:
	s_and_not1_b32 vcc_lo, exec_lo, s0
	s_cbranch_vccnz .LBB11_579
; %bb.578:
	v_cvt_i32_f64_e32 v4, v[30:31]
	global_store_b32 v[2:3], v4, off
.LBB11_579:
	s_mov_b32 s0, 0
.LBB11_580:
	s_delay_alu instid0(SALU_CYCLE_1)
	s_and_not1_b32 vcc_lo, exec_lo, s0
	s_cbranch_vccnz .LBB11_582
; %bb.581:
	v_cvt_i32_f64_e32 v4, v[30:31]
	global_store_b16 v[2:3], v4, off
.LBB11_582:
	s_mov_b32 s0, 0
.LBB11_583:
	s_delay_alu instid0(SALU_CYCLE_1)
	s_and_not1_b32 vcc_lo, exec_lo, s0
	s_cbranch_vccnz .LBB11_588
; %bb.584:
	v_cmp_lt_i16_e32 vcc_lo, 0, v6
	s_mov_b32 s0, -1
	s_cbranch_vccz .LBB11_586
; %bb.585:
	v_cvt_i32_f64_e32 v4, v[30:31]
	s_mov_b32 s0, 0
	global_store_b8 v[2:3], v4, off
.LBB11_586:
	s_and_not1_b32 vcc_lo, exec_lo, s0
	s_cbranch_vccnz .LBB11_588
; %bb.587:
	v_trunc_f64_e32 v[4:5], v[30:31]
	s_delay_alu instid0(VALU_DEP_1) | instskip(NEXT) | instid1(VALU_DEP_1)
	v_ldexp_f64 v[7:8], v[4:5], 0xffffffe0
	v_floor_f64_e32 v[7:8], v[7:8]
	s_delay_alu instid0(VALU_DEP_1) | instskip(NEXT) | instid1(VALU_DEP_1)
	v_fma_f64 v[4:5], 0xc1f00000, v[7:8], v[4:5]
	v_cvt_u32_f64_e32 v4, v[4:5]
	global_store_b8 v[2:3], v4, off
.LBB11_588:
	s_mov_b32 s3, -1
.LBB11_589:
	s_delay_alu instid0(SALU_CYCLE_1)
	s_and_not1_b32 vcc_lo, exec_lo, s3
	s_cbranch_vccnz .LBB11_666
; %bb.590:
	v_cmp_gt_i16_e32 vcc_lo, 11, v6
	v_add_co_u32 v4, s0, s12, v38
	s_delay_alu instid0(VALU_DEP_1)
	v_add_co_ci_u32_e64 v5, null, s13, 0, s0
	s_mov_b32 s2, 0
	s_mov_b32 s0, -1
	s_cbranch_vccnz .LBB11_667
; %bb.591:
	v_cmp_lt_i16_e32 vcc_lo, 25, v6
	s_mov_b32 s3, -1
	s_mov_b32 s0, 0
	s_cbranch_vccz .LBB11_624
; %bb.592:
	v_cmp_lt_i16_e32 vcc_lo, 28, v6
	s_cbranch_vccz .LBB11_608
; %bb.593:
	v_cmp_lt_i16_e32 vcc_lo, 43, v6
	s_cbranch_vccz .LBB11_604
; %bb.594:
	v_cmp_lt_i16_e32 vcc_lo, 45, v6
	s_cbranch_vccz .LBB11_598
; %bb.595:
	v_cmp_eq_u16_e32 vcc_lo, 46, v6
	s_mov_b32 s0, -1
	s_cbranch_vccz .LBB11_597
; %bb.596:
	v_cvt_f32_f64_e32 v2, v[0:1]
	s_mov_b32 s0, 0
	s_delay_alu instid0(VALU_DEP_1) | instskip(SKIP_1) | instid1(VALU_DEP_2)
	v_bfe_u32 v3, v2, 16, 1
	v_cmp_o_f32_e32 vcc_lo, v2, v2
	v_add3_u32 v3, v2, v3, 0x7fff
	s_delay_alu instid0(VALU_DEP_1) | instskip(NEXT) | instid1(VALU_DEP_1)
	v_lshrrev_b32_e32 v3, 16, v3
	v_cndmask_b32_e32 v2, 0x7fc0, v3, vcc_lo
	global_store_b32 v[4:5], v2, off
.LBB11_597:
	s_mov_b32 s3, 0
.LBB11_598:
	s_delay_alu instid0(SALU_CYCLE_1)
	s_and_b32 vcc_lo, exec_lo, s3
	s_cbranch_vccz .LBB11_603
; %bb.599:
	v_cmp_eq_u16_e32 vcc_lo, 44, v6
	s_mov_b32 s0, -1
	s_cbranch_vccz .LBB11_603
; %bb.600:
	v_cvt_f32_f64_e32 v2, v[0:1]
	v_mov_b32_e32 v3, 0xff
	s_mov_b32 s3, exec_lo
	s_delay_alu instid0(VALU_DEP_2) | instskip(NEXT) | instid1(VALU_DEP_1)
	v_bfe_u32 v7, v2, 23, 8
	v_cmpx_ne_u32_e32 0xff, v7
; %bb.601:
	v_and_b32_e32 v3, 0x400000, v2
	v_and_or_b32 v7, 0x3fffff, v2, v7
	v_lshrrev_b32_e32 v2, 23, v2
	s_delay_alu instid0(VALU_DEP_3) | instskip(NEXT) | instid1(VALU_DEP_3)
	v_cmp_ne_u32_e32 vcc_lo, 0, v3
	v_cmp_ne_u32_e64 s0, 0, v7
	s_delay_alu instid0(VALU_DEP_1) | instskip(NEXT) | instid1(SALU_CYCLE_1)
	s_and_b32 s0, vcc_lo, s0
	v_cndmask_b32_e64 v3, 0, 1, s0
	s_delay_alu instid0(VALU_DEP_1)
	v_add_nc_u32_e32 v3, v2, v3
; %bb.602:
	s_or_b32 exec_lo, exec_lo, s3
	s_mov_b32 s0, 0
	global_store_b8 v[4:5], v3, off
.LBB11_603:
	s_mov_b32 s3, 0
.LBB11_604:
	s_delay_alu instid0(SALU_CYCLE_1)
	s_and_b32 vcc_lo, exec_lo, s3
	s_cbranch_vccz .LBB11_607
; %bb.605:
	v_cmp_eq_u16_e32 vcc_lo, 29, v6
	s_mov_b32 s0, -1
	s_cbranch_vccz .LBB11_607
; %bb.606:
	v_trunc_f64_e32 v[2:3], v[0:1]
	s_mov_b32 s0, 0
	s_delay_alu instid0(VALU_DEP_1) | instskip(NEXT) | instid1(VALU_DEP_1)
	v_ldexp_f64 v[7:8], v[2:3], 0xffffffe0
	v_floor_f64_e32 v[7:8], v[7:8]
	s_delay_alu instid0(VALU_DEP_1) | instskip(SKIP_1) | instid1(VALU_DEP_2)
	v_fma_f64 v[2:3], 0xc1f00000, v[7:8], v[2:3]
	v_cvt_u32_f64_e32 v8, v[7:8]
	v_cvt_u32_f64_e32 v7, v[2:3]
	global_store_b64 v[4:5], v[7:8], off
.LBB11_607:
	s_mov_b32 s3, 0
.LBB11_608:
	s_delay_alu instid0(SALU_CYCLE_1)
	s_and_b32 vcc_lo, exec_lo, s3
	s_cbranch_vccz .LBB11_623
; %bb.609:
	v_cmp_gt_i16_e32 vcc_lo, 27, v6
	s_mov_b32 s3, -1
	s_cbranch_vccnz .LBB11_615
; %bb.610:
	v_cvt_u32_f64_e32 v2, v[0:1]
	v_cmp_lt_i16_e32 vcc_lo, 27, v6
	s_cbranch_vccz .LBB11_612
; %bb.611:
	s_mov_b32 s3, 0
	global_store_b32 v[4:5], v2, off
.LBB11_612:
	s_and_not1_b32 vcc_lo, exec_lo, s3
	s_cbranch_vccnz .LBB11_614
; %bb.613:
	global_store_b16 v[4:5], v2, off
.LBB11_614:
	s_mov_b32 s3, 0
.LBB11_615:
	s_delay_alu instid0(SALU_CYCLE_1)
	s_and_not1_b32 vcc_lo, exec_lo, s3
	s_cbranch_vccnz .LBB11_623
; %bb.616:
	v_cvt_f32_f64_e32 v2, v[0:1]
	v_mov_b32_e32 v7, 0x80
	s_mov_b32 s3, exec_lo
	s_delay_alu instid0(VALU_DEP_2) | instskip(NEXT) | instid1(VALU_DEP_1)
	v_and_b32_e32 v3, 0x7fffffff, v2
	v_cmpx_gt_u32_e32 0x43800000, v3
	s_cbranch_execz .LBB11_622
; %bb.617:
	v_cmp_lt_u32_e32 vcc_lo, 0x3bffffff, v3
	s_mov_b32 s4, 0
                                        ; implicit-def: $vgpr3
	s_and_saveexec_b32 s5, vcc_lo
	s_delay_alu instid0(SALU_CYCLE_1)
	s_xor_b32 s5, exec_lo, s5
	s_cbranch_execz .LBB11_1110
; %bb.618:
	v_bfe_u32 v3, v2, 20, 1
	s_mov_b32 s4, exec_lo
	s_delay_alu instid0(VALU_DEP_1) | instskip(NEXT) | instid1(VALU_DEP_1)
	v_add3_u32 v3, v2, v3, 0x487ffff
	v_lshrrev_b32_e32 v3, 20, v3
	s_or_saveexec_b32 s5, s5
                                        ; implicit-def: $sgpr6
	s_delay_alu instid0(SALU_CYCLE_1)
	s_xor_b32 exec_lo, exec_lo, s5
	s_cbranch_execnz .LBB11_1111
.LBB11_619:
	s_or_b32 exec_lo, exec_lo, s5
	v_mov_b32_e32 v7, s6
	s_and_saveexec_b32 s5, s4
.LBB11_620:
	v_lshrrev_b32_e32 v2, 24, v2
	s_delay_alu instid0(VALU_DEP_1)
	v_and_or_b32 v7, 0x80, v2, v3
.LBB11_621:
	s_or_b32 exec_lo, exec_lo, s5
.LBB11_622:
	s_delay_alu instid0(SALU_CYCLE_1)
	s_or_b32 exec_lo, exec_lo, s3
	global_store_b8 v[4:5], v7, off
.LBB11_623:
	s_mov_b32 s3, 0
.LBB11_624:
	s_delay_alu instid0(SALU_CYCLE_1)
	s_and_b32 vcc_lo, exec_lo, s3
	s_cbranch_vccz .LBB11_664
; %bb.625:
	v_cmp_lt_i16_e32 vcc_lo, 22, v6
	s_mov_b32 s2, -1
	s_cbranch_vccz .LBB11_657
; %bb.626:
	v_cmp_gt_i16_e32 vcc_lo, 24, v6
	s_cbranch_vccnz .LBB11_646
; %bb.627:
	v_cmp_lt_i16_e32 vcc_lo, 24, v6
	s_cbranch_vccz .LBB11_635
; %bb.628:
	v_cvt_f32_f64_e32 v2, v[0:1]
	v_mov_b32_e32 v7, 0x80
	s_mov_b32 s2, exec_lo
	s_delay_alu instid0(VALU_DEP_2) | instskip(NEXT) | instid1(VALU_DEP_1)
	v_and_b32_e32 v3, 0x7fffffff, v2
	v_cmpx_gt_u32_e32 0x47800000, v3
	s_cbranch_execz .LBB11_634
; %bb.629:
	v_cmp_lt_u32_e32 vcc_lo, 0x37ffffff, v3
	s_mov_b32 s3, 0
                                        ; implicit-def: $vgpr3
	s_and_saveexec_b32 s4, vcc_lo
	s_delay_alu instid0(SALU_CYCLE_1)
	s_xor_b32 s4, exec_lo, s4
	s_cbranch_execz .LBB11_1120
; %bb.630:
	v_bfe_u32 v3, v2, 21, 1
	s_mov_b32 s3, exec_lo
	s_delay_alu instid0(VALU_DEP_1) | instskip(NEXT) | instid1(VALU_DEP_1)
	v_add3_u32 v3, v2, v3, 0x88fffff
	v_lshrrev_b32_e32 v3, 21, v3
	s_or_saveexec_b32 s4, s4
                                        ; implicit-def: $sgpr5
	s_delay_alu instid0(SALU_CYCLE_1)
	s_xor_b32 exec_lo, exec_lo, s4
	s_cbranch_execnz .LBB11_1121
.LBB11_631:
	s_or_b32 exec_lo, exec_lo, s4
	v_mov_b32_e32 v7, s5
	s_and_saveexec_b32 s4, s3
.LBB11_632:
	v_lshrrev_b32_e32 v2, 24, v2
	s_delay_alu instid0(VALU_DEP_1)
	v_and_or_b32 v7, 0x80, v2, v3
.LBB11_633:
	s_or_b32 exec_lo, exec_lo, s4
.LBB11_634:
	s_delay_alu instid0(SALU_CYCLE_1)
	s_or_b32 exec_lo, exec_lo, s2
	s_mov_b32 s2, 0
	global_store_b8 v[4:5], v7, off
.LBB11_635:
	s_and_b32 vcc_lo, exec_lo, s2
	s_cbranch_vccz .LBB11_645
; %bb.636:
	v_cvt_f32_f64_e32 v2, v[0:1]
	s_mov_b32 s2, exec_lo
                                        ; implicit-def: $vgpr3
	s_delay_alu instid0(VALU_DEP_1) | instskip(NEXT) | instid1(VALU_DEP_1)
	v_and_b32_e32 v7, 0x7fffffff, v2
	v_cmpx_gt_u32_e32 0x43f00000, v7
	s_xor_b32 s2, exec_lo, s2
	s_cbranch_execz .LBB11_642
; %bb.637:
	s_mov_b32 s3, exec_lo
                                        ; implicit-def: $vgpr3
	v_cmpx_lt_u32_e32 0x3c7fffff, v7
	s_xor_b32 s3, exec_lo, s3
; %bb.638:
	v_bfe_u32 v3, v2, 20, 1
	s_delay_alu instid0(VALU_DEP_1) | instskip(NEXT) | instid1(VALU_DEP_1)
	v_add3_u32 v3, v2, v3, 0x407ffff
	v_and_b32_e32 v7, 0xff00000, v3
	v_lshrrev_b32_e32 v3, 20, v3
	s_delay_alu instid0(VALU_DEP_2) | instskip(NEXT) | instid1(VALU_DEP_2)
	v_cmp_ne_u32_e32 vcc_lo, 0x7f00000, v7
	v_cndmask_b32_e32 v3, 0x7e, v3, vcc_lo
; %bb.639:
	s_and_not1_saveexec_b32 s3, s3
; %bb.640:
	v_add_f32_e64 v3, 0x46800000, |v2|
; %bb.641:
	s_or_b32 exec_lo, exec_lo, s3
                                        ; implicit-def: $vgpr7
.LBB11_642:
	s_and_not1_saveexec_b32 s2, s2
; %bb.643:
	v_mov_b32_e32 v3, 0x7f
	v_cmp_lt_u32_e32 vcc_lo, 0x7f800000, v7
	s_delay_alu instid0(VALU_DEP_2)
	v_cndmask_b32_e32 v3, 0x7e, v3, vcc_lo
; %bb.644:
	s_or_b32 exec_lo, exec_lo, s2
	v_lshrrev_b32_e32 v2, 24, v2
	s_delay_alu instid0(VALU_DEP_1)
	v_and_or_b32 v2, 0x80, v2, v3
	global_store_b8 v[4:5], v2, off
.LBB11_645:
	s_mov_b32 s2, 0
.LBB11_646:
	s_delay_alu instid0(SALU_CYCLE_1)
	s_and_not1_b32 vcc_lo, exec_lo, s2
	s_cbranch_vccnz .LBB11_656
; %bb.647:
	v_cvt_f32_f64_e32 v2, v[0:1]
	s_mov_b32 s2, exec_lo
                                        ; implicit-def: $vgpr3
	s_delay_alu instid0(VALU_DEP_1) | instskip(NEXT) | instid1(VALU_DEP_1)
	v_and_b32_e32 v7, 0x7fffffff, v2
	v_cmpx_gt_u32_e32 0x47800000, v7
	s_xor_b32 s2, exec_lo, s2
	s_cbranch_execz .LBB11_653
; %bb.648:
	s_mov_b32 s3, exec_lo
                                        ; implicit-def: $vgpr3
	v_cmpx_lt_u32_e32 0x387fffff, v7
	s_xor_b32 s3, exec_lo, s3
; %bb.649:
	v_bfe_u32 v3, v2, 21, 1
	s_delay_alu instid0(VALU_DEP_1) | instskip(NEXT) | instid1(VALU_DEP_1)
	v_add3_u32 v3, v2, v3, 0x80fffff
	v_lshrrev_b32_e32 v3, 21, v3
; %bb.650:
	s_and_not1_saveexec_b32 s3, s3
; %bb.651:
	v_add_f32_e64 v3, 0x43000000, |v2|
; %bb.652:
	s_or_b32 exec_lo, exec_lo, s3
                                        ; implicit-def: $vgpr7
.LBB11_653:
	s_and_not1_saveexec_b32 s2, s2
; %bb.654:
	v_mov_b32_e32 v3, 0x7f
	v_cmp_lt_u32_e32 vcc_lo, 0x7f800000, v7
	s_delay_alu instid0(VALU_DEP_2)
	v_cndmask_b32_e32 v3, 0x7c, v3, vcc_lo
; %bb.655:
	s_or_b32 exec_lo, exec_lo, s2
	v_lshrrev_b32_e32 v2, 24, v2
	s_delay_alu instid0(VALU_DEP_1)
	v_and_or_b32 v2, 0x80, v2, v3
	global_store_b8 v[4:5], v2, off
.LBB11_656:
	s_mov_b32 s2, 0
.LBB11_657:
	s_delay_alu instid0(SALU_CYCLE_1)
	s_and_not1_b32 vcc_lo, exec_lo, s2
	s_mov_b32 s2, 0
	s_cbranch_vccnz .LBB11_664
; %bb.658:
	v_cmp_lt_i16_e32 vcc_lo, 14, v6
	s_mov_b32 s2, -1
	s_cbranch_vccz .LBB11_662
; %bb.659:
	v_cmp_eq_u16_e32 vcc_lo, 15, v6
	s_mov_b32 s0, -1
	s_cbranch_vccz .LBB11_661
; %bb.660:
	v_cvt_f32_f64_e32 v2, v[0:1]
	s_mov_b32 s0, 0
	s_delay_alu instid0(VALU_DEP_1) | instskip(SKIP_1) | instid1(VALU_DEP_2)
	v_bfe_u32 v3, v2, 16, 1
	v_cmp_o_f32_e32 vcc_lo, v2, v2
	v_add3_u32 v3, v2, v3, 0x7fff
	s_delay_alu instid0(VALU_DEP_1) | instskip(NEXT) | instid1(VALU_DEP_1)
	v_lshrrev_b32_e32 v3, 16, v3
	v_cndmask_b32_e32 v2, 0x7fc0, v3, vcc_lo
	global_store_b16 v[4:5], v2, off
.LBB11_661:
	s_mov_b32 s2, 0
.LBB11_662:
	s_delay_alu instid0(SALU_CYCLE_1)
	s_and_b32 vcc_lo, exec_lo, s2
	s_mov_b32 s2, 0
	s_cbranch_vccz .LBB11_664
; %bb.663:
	v_cmp_ne_u16_e64 s0, 11, v6
	s_mov_b32 s2, -1
.LBB11_664:
	s_delay_alu instid0(VALU_DEP_1)
	s_and_b32 vcc_lo, exec_lo, s0
	s_cbranch_vccnz .LBB11_1114
.LBB11_665:
	s_mov_b32 s0, 0
	s_branch .LBB11_667
.LBB11_666:
	s_mov_b32 s0, 0
	s_mov_b32 s2, 0
                                        ; implicit-def: $vgpr6
                                        ; implicit-def: $vgpr4_vgpr5
.LBB11_667:
	s_and_not1_b32 s3, s16, exec_lo
	s_and_b32 s1, s1, exec_lo
	s_and_b32 s0, s0, exec_lo
	;; [unrolled: 1-line block ×3, first 2 shown]
	s_or_b32 s16, s3, s1
.LBB11_668:
	s_or_b32 exec_lo, exec_lo, s17
	s_and_saveexec_b32 s1, s16
	s_cbranch_execz .LBB11_671
; %bb.669:
	; divergent unreachable
	s_or_b32 exec_lo, exec_lo, s1
	s_and_saveexec_b32 s1, s37
	s_delay_alu instid0(SALU_CYCLE_1)
	s_xor_b32 s1, exec_lo, s1
	s_cbranch_execnz .LBB11_672
.LBB11_670:
	s_or_b32 exec_lo, exec_lo, s1
	s_and_saveexec_b32 s1, s0
	s_cbranch_execnz .LBB11_673
	s_branch .LBB11_710
.LBB11_671:
	s_or_b32 exec_lo, exec_lo, s1
	s_and_saveexec_b32 s1, s37
	s_delay_alu instid0(SALU_CYCLE_1)
	s_xor_b32 s1, exec_lo, s1
	s_cbranch_execz .LBB11_670
.LBB11_672:
	v_cmp_neq_f64_e32 vcc_lo, 0, v[0:1]
	v_cndmask_b32_e64 v2, 0, 1, vcc_lo
	global_store_b8 v[4:5], v2, off
	s_or_b32 exec_lo, exec_lo, s1
	s_and_saveexec_b32 s1, s0
	s_cbranch_execz .LBB11_710
.LBB11_673:
	v_cmp_gt_i16_e32 vcc_lo, 5, v6
	s_mov_b32 s0, -1
	s_cbranch_vccnz .LBB11_694
; %bb.674:
	v_cmp_gt_i16_e32 vcc_lo, 8, v6
	s_cbranch_vccnz .LBB11_684
; %bb.675:
	v_cmp_gt_i16_e32 vcc_lo, 9, v6
	s_cbranch_vccnz .LBB11_681
; %bb.676:
	v_cmp_lt_i16_e32 vcc_lo, 9, v6
	s_cbranch_vccz .LBB11_678
; %bb.677:
	v_mov_b32_e32 v2, 0
	s_mov_b32 s0, 0
	s_delay_alu instid0(VALU_DEP_1)
	v_mov_b32_e32 v3, v2
	global_store_b128 v[4:5], v[0:3], off
.LBB11_678:
	s_and_not1_b32 vcc_lo, exec_lo, s0
	s_cbranch_vccnz .LBB11_680
; %bb.679:
	v_cvt_f32_f64_e32 v2, v[0:1]
	v_mov_b32_e32 v3, 0
	global_store_b64 v[4:5], v[2:3], off
.LBB11_680:
	s_mov_b32 s0, 0
.LBB11_681:
	s_delay_alu instid0(SALU_CYCLE_1)
	s_and_not1_b32 vcc_lo, exec_lo, s0
	s_cbranch_vccnz .LBB11_683
; %bb.682:
	v_cvt_f32_f64_e32 v2, v[0:1]
	s_delay_alu instid0(VALU_DEP_1) | instskip(NEXT) | instid1(VALU_DEP_1)
	v_cvt_f16_f32_e32 v2, v2
	v_and_b32_e32 v2, 0xffff, v2
	global_store_b32 v[4:5], v2, off
.LBB11_683:
	s_mov_b32 s0, 0
.LBB11_684:
	s_delay_alu instid0(SALU_CYCLE_1)
	s_and_not1_b32 vcc_lo, exec_lo, s0
	s_cbranch_vccnz .LBB11_693
; %bb.685:
	v_cmp_gt_i16_e32 vcc_lo, 6, v6
	s_mov_b32 s0, -1
	s_cbranch_vccnz .LBB11_691
; %bb.686:
	v_cmp_lt_i16_e32 vcc_lo, 6, v6
	s_cbranch_vccz .LBB11_688
; %bb.687:
	s_mov_b32 s0, 0
	global_store_b64 v[4:5], v[0:1], off
.LBB11_688:
	s_and_not1_b32 vcc_lo, exec_lo, s0
	s_cbranch_vccnz .LBB11_690
; %bb.689:
	v_cvt_f32_f64_e32 v2, v[0:1]
	global_store_b32 v[4:5], v2, off
.LBB11_690:
	s_mov_b32 s0, 0
.LBB11_691:
	s_delay_alu instid0(SALU_CYCLE_1)
	s_and_not1_b32 vcc_lo, exec_lo, s0
	s_cbranch_vccnz .LBB11_693
; %bb.692:
	v_cvt_f32_f64_e32 v2, v[0:1]
	s_delay_alu instid0(VALU_DEP_1)
	v_cvt_f16_f32_e32 v2, v2
	global_store_b16 v[4:5], v2, off
.LBB11_693:
	s_mov_b32 s0, 0
.LBB11_694:
	s_delay_alu instid0(SALU_CYCLE_1)
	s_and_not1_b32 vcc_lo, exec_lo, s0
	s_cbranch_vccnz .LBB11_710
; %bb.695:
	v_cmp_gt_i16_e32 vcc_lo, 2, v6
	s_mov_b32 s0, -1
	s_cbranch_vccnz .LBB11_705
; %bb.696:
	v_cmp_gt_i16_e32 vcc_lo, 3, v6
	s_cbranch_vccnz .LBB11_702
; %bb.697:
	v_cmp_lt_i16_e32 vcc_lo, 3, v6
	s_cbranch_vccz .LBB11_699
; %bb.698:
	v_trunc_f64_e32 v[2:3], v[0:1]
	s_mov_b32 s0, 0
	s_delay_alu instid0(VALU_DEP_1) | instskip(NEXT) | instid1(VALU_DEP_1)
	v_ldexp_f64 v[7:8], v[2:3], 0xffffffe0
	v_floor_f64_e32 v[7:8], v[7:8]
	s_delay_alu instid0(VALU_DEP_1) | instskip(SKIP_1) | instid1(VALU_DEP_2)
	v_fma_f64 v[2:3], 0xc1f00000, v[7:8], v[2:3]
	v_cvt_i32_f64_e32 v8, v[7:8]
	v_cvt_u32_f64_e32 v7, v[2:3]
	global_store_b64 v[4:5], v[7:8], off
.LBB11_699:
	s_and_not1_b32 vcc_lo, exec_lo, s0
	s_cbranch_vccnz .LBB11_701
; %bb.700:
	v_cvt_i32_f64_e32 v2, v[0:1]
	global_store_b32 v[4:5], v2, off
.LBB11_701:
	s_mov_b32 s0, 0
.LBB11_702:
	s_delay_alu instid0(SALU_CYCLE_1)
	s_and_not1_b32 vcc_lo, exec_lo, s0
	s_cbranch_vccnz .LBB11_704
; %bb.703:
	v_cvt_i32_f64_e32 v2, v[0:1]
	global_store_b16 v[4:5], v2, off
.LBB11_704:
	s_mov_b32 s0, 0
.LBB11_705:
	s_delay_alu instid0(SALU_CYCLE_1)
	s_and_not1_b32 vcc_lo, exec_lo, s0
	s_cbranch_vccnz .LBB11_710
; %bb.706:
	v_cmp_lt_i16_e32 vcc_lo, 0, v6
	s_mov_b32 s0, -1
	s_cbranch_vccz .LBB11_708
; %bb.707:
	v_cvt_i32_f64_e32 v2, v[0:1]
	s_mov_b32 s0, 0
	global_store_b8 v[4:5], v2, off
.LBB11_708:
	s_and_not1_b32 vcc_lo, exec_lo, s0
	s_cbranch_vccnz .LBB11_710
; %bb.709:
	v_trunc_f64_e32 v[0:1], v[0:1]
	s_delay_alu instid0(VALU_DEP_1) | instskip(NEXT) | instid1(VALU_DEP_1)
	v_ldexp_f64 v[2:3], v[0:1], 0xffffffe0
	v_floor_f64_e32 v[2:3], v[2:3]
	s_delay_alu instid0(VALU_DEP_1) | instskip(NEXT) | instid1(VALU_DEP_1)
	v_fma_f64 v[0:1], 0xc1f00000, v[2:3], v[0:1]
	v_cvt_u32_f64_e32 v0, v[0:1]
	global_store_b8 v[4:5], v0, off
	s_endpgm
.LBB11_710:
	s_endpgm
.LBB11_711:
	s_mov_b32 s4, -1
                                        ; implicit-def: $vgpr31
                                        ; implicit-def: $vgpr2
	s_branch .LBB11_716
.LBB11_712:
	v_mov_b32_e32 v0, v32
	v_mov_b32_e32 v2, 0
.LBB11_713:
	s_and_b32 s6, s6, 3
	s_delay_alu instid0(SALU_CYCLE_1)
	s_cmp_eq_u32 s6, 0
	s_cbranch_scc1 .LBB11_716
; %bb.714:
	s_lshl_b32 s0, s5, 3
	s_mul_i32 s2, s5, 12
	s_add_u32 s0, s0, s14
	s_addc_u32 s1, s15, 0
	s_add_u32 s0, s0, 0xc4
	s_addc_u32 s1, s1, 0
	;; [unrolled: 2-line block ×3, first 2 shown]
	.p2align	6
.LBB11_715:                             ; =>This Inner Loop Header: Depth=1
	s_clause 0x1
	s_load_b64 s[8:9], s[2:3], 0x4
	s_load_b32 s5, s[2:3], 0xc
	s_load_b64 s[10:11], s[0:1], 0x0
	s_add_u32 s2, s2, 12
	s_addc_u32 s3, s3, 0
	s_add_u32 s0, s0, 8
	s_addc_u32 s1, s1, 0
	s_add_i32 s6, s6, -1
	s_delay_alu instid0(SALU_CYCLE_1) | instskip(SKIP_2) | instid1(VALU_DEP_1)
	s_cmp_lg_u32 s6, 0
	s_waitcnt lgkmcnt(0)
	v_mul_hi_u32 v1, s9, v0
	v_add_nc_u32_e32 v1, v0, v1
	s_delay_alu instid0(VALU_DEP_1) | instskip(NEXT) | instid1(VALU_DEP_1)
	v_lshrrev_b32_e32 v1, s5, v1
	v_mul_lo_u32 v3, v1, s8
	s_delay_alu instid0(VALU_DEP_1) | instskip(NEXT) | instid1(VALU_DEP_1)
	v_sub_nc_u32_e32 v0, v0, v3
	v_mad_u64_u32 v[3:4], null, v0, s10, v[31:32]
	s_delay_alu instid0(VALU_DEP_1) | instskip(SKIP_1) | instid1(VALU_DEP_2)
	v_mad_u64_u32 v[4:5], null, v0, s11, v[2:3]
	v_dual_mov_b32 v0, v1 :: v_dual_mov_b32 v31, v3
	v_mov_b32_e32 v2, v4
	s_cbranch_scc1 .LBB11_715
.LBB11_716:
	s_and_not1_b32 vcc_lo, exec_lo, s4
	s_cbranch_vccnz .LBB11_719
; %bb.717:
	s_waitcnt lgkmcnt(0)
	v_mul_hi_u32 v0, s25, v32
	s_and_not1_b32 vcc_lo, exec_lo, s40
	s_delay_alu instid0(VALU_DEP_1) | instskip(NEXT) | instid1(VALU_DEP_1)
	v_add_nc_u32_e32 v0, v32, v0
	v_lshrrev_b32_e32 v0, s26, v0
	s_delay_alu instid0(VALU_DEP_1) | instskip(NEXT) | instid1(VALU_DEP_1)
	v_mul_lo_u32 v1, v0, s24
	v_sub_nc_u32_e32 v1, v32, v1
	s_delay_alu instid0(VALU_DEP_1)
	v_mul_lo_u32 v31, v1, s20
	v_mul_lo_u32 v2, v1, s21
	s_cbranch_vccnz .LBB11_719
; %bb.718:
	v_mul_hi_u32 v1, s28, v0
	s_delay_alu instid0(VALU_DEP_1) | instskip(NEXT) | instid1(VALU_DEP_1)
	v_add_nc_u32_e32 v1, v0, v1
	v_lshrrev_b32_e32 v1, s29, v1
	s_delay_alu instid0(VALU_DEP_1) | instskip(NEXT) | instid1(VALU_DEP_1)
	v_mul_lo_u32 v1, v1, s27
	v_sub_nc_u32_e32 v5, v0, v1
	s_delay_alu instid0(VALU_DEP_1) | instskip(SKIP_1) | instid1(VALU_DEP_1)
	v_mad_u64_u32 v[0:1], null, v5, s22, v[31:32]
	v_mad_u64_u32 v[3:4], null, v5, s23, v[2:3]
	v_dual_mov_b32 v31, v0 :: v_dual_mov_b32 v2, v3
.LBB11_719:
	s_waitcnt lgkmcnt(0)
	v_dual_mov_b32 v0, s18 :: v_dual_mov_b32 v1, s19
	v_mov_b32_e32 v3, v30
	s_getpc_b64 s[0:1]
	s_add_u32 s0, s0, _ZN2at6native6invokeIZZZNS0_12_GLOBAL__N_137scaled_modified_bessel_k1_kernel_cudaERNS_18TensorIteratorBaseEENKUlvE_clEvENKUlvE_clEvEUldE_j15function_traitsIS7_EEENT1_11result_typeERKT_PrKPcPKT0_PKN3c1010ScalarTypeEi@rel32@lo+4
	s_addc_u32 s1, s1, _ZN2at6native6invokeIZZZNS0_12_GLOBAL__N_137scaled_modified_bessel_k1_kernel_cudaERNS_18TensorIteratorBaseEENKUlvE_clEvENKUlvE_clEvEUldE_j15function_traitsIS7_EEENT1_11result_typeERKT_PrKPcPKT0_PKN3c1010ScalarTypeEi@rel32@hi+12
	s_delay_alu instid0(SALU_CYCLE_1) | instskip(SKIP_2) | instid1(VALU_DEP_1)
	s_swappc_b64 s[30:31], s[0:1]
	v_and_b32_e32 v6, 0xff, v33
	v_add_co_u32 v4, s0, s16, v31
	v_add_co_ci_u32_e64 v5, null, s17, 0, s0
	s_delay_alu instid0(VALU_DEP_3)
	v_cmp_gt_i16_e32 vcc_lo, 11, v6
	s_mov_b32 s1, 0
	s_mov_b32 s2, -1
	s_mov_b32 s0, s44
	s_cbranch_vccnz .LBB11_726
; %bb.720:
	v_cmp_lt_i16_e32 vcc_lo, 25, v6
	s_cbranch_vccz .LBB11_766
; %bb.721:
	v_cmp_lt_i16_e32 vcc_lo, 28, v6
	s_cbranch_vccz .LBB11_767
	;; [unrolled: 3-line block ×4, first 2 shown]
; %bb.724:
	v_cmp_eq_u16_e32 vcc_lo, 46, v6
	s_mov_b32 s2, 0
	s_mov_b32 s0, -1
	s_cbranch_vccz .LBB11_786
; %bb.725:
	v_cvt_f32_f64_e32 v2, v[0:1]
	s_mov_b32 s1, -1
	s_mov_b32 s0, 0
	s_delay_alu instid0(VALU_DEP_1) | instskip(SKIP_1) | instid1(VALU_DEP_2)
	v_bfe_u32 v3, v2, 16, 1
	v_cmp_o_f32_e32 vcc_lo, v2, v2
	v_add3_u32 v3, v2, v3, 0x7fff
	s_delay_alu instid0(VALU_DEP_1) | instskip(NEXT) | instid1(VALU_DEP_1)
	v_lshrrev_b32_e32 v3, 16, v3
	v_cndmask_b32_e32 v2, 0x7fc0, v3, vcc_lo
	global_store_b32 v[4:5], v2, off
	s_branch .LBB11_786
.LBB11_726:
	s_and_b32 vcc_lo, exec_lo, s2
	s_cbranch_vccz .LBB11_855
; %bb.727:
	v_cmp_gt_i16_e32 vcc_lo, 5, v6
	s_mov_b32 s1, -1
	s_cbranch_vccnz .LBB11_748
; %bb.728:
	v_cmp_gt_i16_e32 vcc_lo, 8, v6
	s_cbranch_vccnz .LBB11_738
; %bb.729:
	v_cmp_gt_i16_e32 vcc_lo, 9, v6
	s_cbranch_vccnz .LBB11_735
; %bb.730:
	v_cmp_lt_i16_e32 vcc_lo, 9, v6
	s_cbranch_vccz .LBB11_732
; %bb.731:
	v_mov_b32_e32 v2, 0
	s_mov_b32 s1, 0
	s_delay_alu instid0(VALU_DEP_1)
	v_mov_b32_e32 v3, v2
	global_store_b128 v[4:5], v[0:3], off
.LBB11_732:
	s_and_not1_b32 vcc_lo, exec_lo, s1
	s_cbranch_vccnz .LBB11_734
; %bb.733:
	v_cvt_f32_f64_e32 v2, v[0:1]
	v_mov_b32_e32 v3, 0
	global_store_b64 v[4:5], v[2:3], off
.LBB11_734:
	s_mov_b32 s1, 0
.LBB11_735:
	s_delay_alu instid0(SALU_CYCLE_1)
	s_and_not1_b32 vcc_lo, exec_lo, s1
	s_cbranch_vccnz .LBB11_737
; %bb.736:
	v_cvt_f32_f64_e32 v2, v[0:1]
	s_delay_alu instid0(VALU_DEP_1) | instskip(NEXT) | instid1(VALU_DEP_1)
	v_cvt_f16_f32_e32 v2, v2
	v_and_b32_e32 v2, 0xffff, v2
	global_store_b32 v[4:5], v2, off
.LBB11_737:
	s_mov_b32 s1, 0
.LBB11_738:
	s_delay_alu instid0(SALU_CYCLE_1)
	s_and_not1_b32 vcc_lo, exec_lo, s1
	s_cbranch_vccnz .LBB11_747
; %bb.739:
	v_cmp_gt_i16_e32 vcc_lo, 6, v6
	s_mov_b32 s1, -1
	s_cbranch_vccnz .LBB11_745
; %bb.740:
	v_cmp_lt_i16_e32 vcc_lo, 6, v6
	s_cbranch_vccz .LBB11_742
; %bb.741:
	s_mov_b32 s1, 0
	global_store_b64 v[4:5], v[0:1], off
.LBB11_742:
	s_and_not1_b32 vcc_lo, exec_lo, s1
	s_cbranch_vccnz .LBB11_744
; %bb.743:
	v_cvt_f32_f64_e32 v2, v[0:1]
	global_store_b32 v[4:5], v2, off
.LBB11_744:
	s_mov_b32 s1, 0
.LBB11_745:
	s_delay_alu instid0(SALU_CYCLE_1)
	s_and_not1_b32 vcc_lo, exec_lo, s1
	s_cbranch_vccnz .LBB11_747
; %bb.746:
	v_cvt_f32_f64_e32 v2, v[0:1]
	s_delay_alu instid0(VALU_DEP_1)
	v_cvt_f16_f32_e32 v2, v2
	global_store_b16 v[4:5], v2, off
.LBB11_747:
	s_mov_b32 s1, 0
.LBB11_748:
	s_delay_alu instid0(SALU_CYCLE_1)
	s_and_not1_b32 vcc_lo, exec_lo, s1
	s_cbranch_vccnz .LBB11_764
; %bb.749:
	v_cmp_gt_i16_e32 vcc_lo, 2, v6
	s_mov_b32 s1, -1
	s_cbranch_vccnz .LBB11_759
; %bb.750:
	v_cmp_gt_i16_e32 vcc_lo, 3, v6
	s_cbranch_vccnz .LBB11_756
; %bb.751:
	v_cmp_lt_i16_e32 vcc_lo, 3, v6
	s_cbranch_vccz .LBB11_753
; %bb.752:
	v_trunc_f64_e32 v[2:3], v[0:1]
	s_mov_b32 s1, 0
	s_delay_alu instid0(VALU_DEP_1) | instskip(NEXT) | instid1(VALU_DEP_1)
	v_ldexp_f64 v[7:8], v[2:3], 0xffffffe0
	v_floor_f64_e32 v[7:8], v[7:8]
	s_delay_alu instid0(VALU_DEP_1) | instskip(SKIP_1) | instid1(VALU_DEP_2)
	v_fma_f64 v[2:3], 0xc1f00000, v[7:8], v[2:3]
	v_cvt_i32_f64_e32 v8, v[7:8]
	v_cvt_u32_f64_e32 v7, v[2:3]
	global_store_b64 v[4:5], v[7:8], off
.LBB11_753:
	s_and_not1_b32 vcc_lo, exec_lo, s1
	s_cbranch_vccnz .LBB11_755
; %bb.754:
	v_cvt_i32_f64_e32 v2, v[0:1]
	global_store_b32 v[4:5], v2, off
.LBB11_755:
	s_mov_b32 s1, 0
.LBB11_756:
	s_delay_alu instid0(SALU_CYCLE_1)
	s_and_not1_b32 vcc_lo, exec_lo, s1
	s_cbranch_vccnz .LBB11_758
; %bb.757:
	v_cvt_i32_f64_e32 v2, v[0:1]
	global_store_b16 v[4:5], v2, off
.LBB11_758:
	s_mov_b32 s1, 0
.LBB11_759:
	s_delay_alu instid0(SALU_CYCLE_1)
	s_and_not1_b32 vcc_lo, exec_lo, s1
	s_cbranch_vccnz .LBB11_764
; %bb.760:
	v_cmp_lt_i16_e32 vcc_lo, 0, v6
	s_mov_b32 s1, -1
	s_cbranch_vccz .LBB11_762
; %bb.761:
	v_cvt_i32_f64_e32 v2, v[0:1]
	s_mov_b32 s1, 0
	global_store_b8 v[4:5], v2, off
.LBB11_762:
	s_and_not1_b32 vcc_lo, exec_lo, s1
	s_cbranch_vccnz .LBB11_764
; %bb.763:
	v_trunc_f64_e32 v[0:1], v[0:1]
	s_delay_alu instid0(VALU_DEP_1) | instskip(NEXT) | instid1(VALU_DEP_1)
	v_ldexp_f64 v[2:3], v[0:1], 0xffffffe0
	v_floor_f64_e32 v[2:3], v[2:3]
	s_delay_alu instid0(VALU_DEP_1) | instskip(NEXT) | instid1(VALU_DEP_1)
	v_fma_f64 v[0:1], 0xc1f00000, v[2:3], v[0:1]
	v_cvt_u32_f64_e32 v0, v[0:1]
	global_store_b8 v[4:5], v0, off
.LBB11_764:
	s_branch .LBB11_856
.LBB11_765:
	s_mov_b32 s1, 0
                                        ; implicit-def: $vgpr32
	s_branch .LBB11_857
.LBB11_766:
	s_mov_b32 s0, s44
	s_branch .LBB11_813
.LBB11_767:
	s_mov_b32 s0, s44
	s_branch .LBB11_796
.LBB11_768:
	s_or_saveexec_b32 s4, s4
                                        ; implicit-def: $sgpr5
	s_delay_alu instid0(SALU_CYCLE_1)
	s_xor_b32 exec_lo, exec_lo, s4
	s_cbranch_execz .LBB11_264
.LBB11_769:
	v_add_f32_e64 v5, 0x46000000, |v4|
	s_and_not1_b32 s3, s3, exec_lo
	s_mov_b32 s5, 0
	s_delay_alu instid0(VALU_DEP_1) | instskip(NEXT) | instid1(VALU_DEP_1)
	v_and_b32_e32 v5, 0xff, v5
	v_cmp_ne_u32_e32 vcc_lo, 0, v5
	s_and_b32 s6, vcc_lo, exec_lo
	s_delay_alu instid0(SALU_CYCLE_1)
	s_or_b32 s3, s3, s6
	s_or_b32 exec_lo, exec_lo, s4
	v_mov_b32_e32 v7, s5
	s_and_saveexec_b32 s4, s3
	s_cbranch_execnz .LBB11_265
	s_branch .LBB11_266
.LBB11_770:
	s_cbranch_execnz .LBB11_779
; %bb.771:
	s_or_b32 s1, s16, exec_lo
	s_cbranch_execz .LBB11_312
	s_branch .LBB11_313
.LBB11_772:
	s_or_saveexec_b32 s3, s3
                                        ; implicit-def: $sgpr4
	s_delay_alu instid0(SALU_CYCLE_1)
	s_xor_b32 exec_lo, exec_lo, s3
	s_cbranch_execz .LBB11_43
.LBB11_773:
	v_add_f32_e64 v3, 0x46000000, |v2|
	s_and_not1_b32 s2, s2, exec_lo
	s_mov_b32 s4, 0
	s_delay_alu instid0(VALU_DEP_1) | instskip(NEXT) | instid1(VALU_DEP_1)
	v_and_b32_e32 v3, 0xff, v3
	v_cmp_ne_u32_e32 vcc_lo, 0, v3
	s_and_b32 s5, vcc_lo, exec_lo
	s_delay_alu instid0(SALU_CYCLE_1)
	s_or_b32 s2, s2, s5
	s_or_b32 exec_lo, exec_lo, s3
	v_mov_b32_e32 v7, s4
	s_and_saveexec_b32 s3, s2
	s_cbranch_execnz .LBB11_44
	s_branch .LBB11_45
.LBB11_774:
	s_mov_b32 s0, s44
	s_branch .LBB11_792
.LBB11_775:
	s_or_saveexec_b32 s3, s3
                                        ; implicit-def: $sgpr4
	s_delay_alu instid0(SALU_CYCLE_1)
	s_xor_b32 exec_lo, exec_lo, s3
	s_cbranch_execz .LBB11_277
.LBB11_776:
	v_add_f32_e64 v5, 0x42800000, |v4|
	s_and_not1_b32 s2, s2, exec_lo
	s_mov_b32 s4, 0
	s_delay_alu instid0(VALU_DEP_1) | instskip(NEXT) | instid1(VALU_DEP_1)
	v_and_b32_e32 v5, 0xff, v5
	v_cmp_ne_u32_e32 vcc_lo, 0, v5
	s_and_b32 s5, vcc_lo, exec_lo
	s_delay_alu instid0(SALU_CYCLE_1)
	s_or_b32 s2, s2, s5
	s_or_b32 exec_lo, exec_lo, s3
	v_mov_b32_e32 v7, s4
	s_and_saveexec_b32 s3, s2
	s_cbranch_execnz .LBB11_278
	s_branch .LBB11_279
.LBB11_777:
	s_or_saveexec_b32 s5, s5
                                        ; implicit-def: $sgpr6
	s_delay_alu instid0(SALU_CYCLE_1)
	s_xor_b32 exec_lo, exec_lo, s5
	s_cbranch_execz .LBB11_382
.LBB11_778:
	v_add_f32_e64 v5, 0x46000000, |v4|
	s_and_not1_b32 s4, s4, exec_lo
	s_mov_b32 s6, 0
	s_delay_alu instid0(VALU_DEP_1) | instskip(NEXT) | instid1(VALU_DEP_1)
	v_and_b32_e32 v5, 0xff, v5
	v_cmp_ne_u32_e32 vcc_lo, 0, v5
	s_and_b32 s7, vcc_lo, exec_lo
	s_delay_alu instid0(SALU_CYCLE_1)
	s_or_b32 s4, s4, s7
	s_or_b32 exec_lo, exec_lo, s5
	v_mov_b32_e32 v7, s6
	s_and_saveexec_b32 s5, s4
	s_cbranch_execnz .LBB11_383
	s_branch .LBB11_384
.LBB11_779:
	s_trap 2
	s_sendmsg_rtn_b32 s0, sendmsg(MSG_RTN_GET_DOORBELL)
	s_mov_b32 ttmp2, m0
	s_waitcnt lgkmcnt(0)
	s_and_b32 s0, s0, 0x3ff
	s_delay_alu instid0(SALU_CYCLE_1) | instskip(NEXT) | instid1(SALU_CYCLE_1)
	s_bitset1_b32 s0, 10
	s_mov_b32 m0, s0
	s_sendmsg sendmsg(MSG_INTERRUPT)
	s_mov_b32 m0, ttmp2
.LBB11_780:                             ; =>This Inner Loop Header: Depth=1
	s_sethalt 5
	s_branch .LBB11_780
.LBB11_781:
	s_cbranch_execnz .LBB11_929
; %bb.782:
	s_or_b32 s1, s1, exec_lo
	s_cbranch_execz .LBB11_430
	s_branch .LBB11_431
.LBB11_783:
	s_or_saveexec_b32 s3, s3
                                        ; implicit-def: $sgpr4
	s_delay_alu instid0(SALU_CYCLE_1)
	s_xor_b32 exec_lo, exec_lo, s3
	s_cbranch_execz .LBB11_56
.LBB11_784:
	v_add_f32_e64 v3, 0x42800000, |v2|
	s_and_not1_b32 s2, s2, exec_lo
	s_mov_b32 s4, 0
	s_delay_alu instid0(VALU_DEP_1) | instskip(NEXT) | instid1(VALU_DEP_1)
	v_and_b32_e32 v3, 0xff, v3
	v_cmp_ne_u32_e32 vcc_lo, 0, v3
	s_and_b32 s5, vcc_lo, exec_lo
	s_delay_alu instid0(SALU_CYCLE_1)
	s_or_b32 s2, s2, s5
	s_or_b32 exec_lo, exec_lo, s3
	v_mov_b32_e32 v7, s4
	s_and_saveexec_b32 s3, s2
	s_cbranch_execnz .LBB11_57
	s_branch .LBB11_58
.LBB11_785:
	s_mov_b32 s0, s44
.LBB11_786:
	s_and_b32 vcc_lo, exec_lo, s2
	s_cbranch_vccz .LBB11_791
; %bb.787:
	v_cmp_eq_u16_e32 vcc_lo, 44, v6
	s_mov_b32 s0, -1
	s_cbranch_vccz .LBB11_791
; %bb.788:
	v_cvt_f32_f64_e32 v2, v[0:1]
	v_mov_b32_e32 v3, 0xff
	s_mov_b32 s1, exec_lo
	s_delay_alu instid0(VALU_DEP_2) | instskip(NEXT) | instid1(VALU_DEP_1)
	v_bfe_u32 v7, v2, 23, 8
	v_cmpx_ne_u32_e32 0xff, v7
; %bb.789:
	v_and_b32_e32 v3, 0x400000, v2
	v_and_or_b32 v7, 0x3fffff, v2, v7
	v_lshrrev_b32_e32 v2, 23, v2
	s_delay_alu instid0(VALU_DEP_3) | instskip(NEXT) | instid1(VALU_DEP_3)
	v_cmp_ne_u32_e32 vcc_lo, 0, v3
	v_cmp_ne_u32_e64 s0, 0, v7
	s_delay_alu instid0(VALU_DEP_1) | instskip(NEXT) | instid1(SALU_CYCLE_1)
	s_and_b32 s0, vcc_lo, s0
	v_cndmask_b32_e64 v3, 0, 1, s0
	s_delay_alu instid0(VALU_DEP_1)
	v_add_nc_u32_e32 v3, v2, v3
; %bb.790:
	s_or_b32 exec_lo, exec_lo, s1
	s_mov_b32 s1, -1
	s_mov_b32 s0, 0
	global_store_b8 v[4:5], v3, off
.LBB11_791:
	s_mov_b32 s2, 0
.LBB11_792:
	s_delay_alu instid0(SALU_CYCLE_1)
	s_and_b32 vcc_lo, exec_lo, s2
	s_cbranch_vccz .LBB11_795
; %bb.793:
	v_cmp_eq_u16_e32 vcc_lo, 29, v6
	s_mov_b32 s0, -1
	s_cbranch_vccz .LBB11_795
; %bb.794:
	v_trunc_f64_e32 v[2:3], v[0:1]
	s_mov_b32 s1, -1
	s_mov_b32 s0, 0
	s_mov_b32 s2, 0
	s_delay_alu instid0(VALU_DEP_1) | instskip(NEXT) | instid1(VALU_DEP_1)
	v_ldexp_f64 v[7:8], v[2:3], 0xffffffe0
	v_floor_f64_e32 v[7:8], v[7:8]
	s_delay_alu instid0(VALU_DEP_1) | instskip(SKIP_1) | instid1(VALU_DEP_2)
	v_fma_f64 v[2:3], 0xc1f00000, v[7:8], v[2:3]
	v_cvt_u32_f64_e32 v8, v[7:8]
	v_cvt_u32_f64_e32 v7, v[2:3]
	global_store_b64 v[4:5], v[7:8], off
	s_branch .LBB11_796
.LBB11_795:
	s_mov_b32 s2, 0
.LBB11_796:
	s_delay_alu instid0(SALU_CYCLE_1)
	s_and_b32 vcc_lo, exec_lo, s2
	s_cbranch_vccz .LBB11_812
; %bb.797:
	v_cmp_gt_i16_e32 vcc_lo, 27, v6
	s_mov_b32 s1, -1
	s_cbranch_vccnz .LBB11_803
; %bb.798:
	v_cmp_lt_i16_e32 vcc_lo, 27, v6
	s_cbranch_vccz .LBB11_800
; %bb.799:
	v_cvt_u32_f64_e32 v2, v[0:1]
	s_mov_b32 s1, 0
	global_store_b32 v[4:5], v2, off
.LBB11_800:
	s_and_not1_b32 vcc_lo, exec_lo, s1
	s_cbranch_vccnz .LBB11_802
; %bb.801:
	v_cvt_u32_f64_e32 v2, v[0:1]
	global_store_b16 v[4:5], v2, off
.LBB11_802:
	s_mov_b32 s1, 0
.LBB11_803:
	s_delay_alu instid0(SALU_CYCLE_1)
	s_and_not1_b32 vcc_lo, exec_lo, s1
	s_cbranch_vccnz .LBB11_811
; %bb.804:
	v_cvt_f32_f64_e32 v2, v[0:1]
	v_mov_b32_e32 v7, 0x80
	s_mov_b32 s1, exec_lo
	s_delay_alu instid0(VALU_DEP_2) | instskip(NEXT) | instid1(VALU_DEP_1)
	v_and_b32_e32 v3, 0x7fffffff, v2
	v_cmpx_gt_u32_e32 0x43800000, v3
	s_cbranch_execz .LBB11_810
; %bb.805:
	v_cmp_lt_u32_e32 vcc_lo, 0x3bffffff, v3
	s_mov_b32 s2, 0
                                        ; implicit-def: $vgpr3
	s_and_saveexec_b32 s3, vcc_lo
	s_delay_alu instid0(SALU_CYCLE_1)
	s_xor_b32 s3, exec_lo, s3
	s_cbranch_execz .LBB11_922
; %bb.806:
	v_bfe_u32 v3, v2, 20, 1
	s_mov_b32 s2, exec_lo
	s_delay_alu instid0(VALU_DEP_1) | instskip(NEXT) | instid1(VALU_DEP_1)
	v_add3_u32 v3, v2, v3, 0x487ffff
	v_lshrrev_b32_e32 v3, 20, v3
	s_or_saveexec_b32 s3, s3
                                        ; implicit-def: $sgpr4
	s_delay_alu instid0(SALU_CYCLE_1)
	s_xor_b32 exec_lo, exec_lo, s3
	s_cbranch_execnz .LBB11_923
.LBB11_807:
	s_or_b32 exec_lo, exec_lo, s3
	v_mov_b32_e32 v7, s4
	s_and_saveexec_b32 s3, s2
.LBB11_808:
	v_lshrrev_b32_e32 v2, 24, v2
	s_delay_alu instid0(VALU_DEP_1)
	v_and_or_b32 v7, 0x80, v2, v3
.LBB11_809:
	s_or_b32 exec_lo, exec_lo, s3
.LBB11_810:
	s_delay_alu instid0(SALU_CYCLE_1)
	s_or_b32 exec_lo, exec_lo, s1
	global_store_b8 v[4:5], v7, off
.LBB11_811:
	s_mov_b32 s1, -1
.LBB11_812:
	s_mov_b32 s2, 0
.LBB11_813:
	s_delay_alu instid0(SALU_CYCLE_1)
	s_and_b32 vcc_lo, exec_lo, s2
	s_cbranch_vccz .LBB11_854
; %bb.814:
	v_cmp_lt_i16_e32 vcc_lo, 22, v6
	s_mov_b32 s2, -1
	s_cbranch_vccz .LBB11_846
; %bb.815:
	v_cmp_gt_i16_e32 vcc_lo, 24, v6
	s_mov_b32 s1, -1
	s_cbranch_vccnz .LBB11_835
; %bb.816:
	v_cmp_lt_i16_e32 vcc_lo, 24, v6
	s_cbranch_vccz .LBB11_824
; %bb.817:
	v_cvt_f32_f64_e32 v2, v[0:1]
	v_mov_b32_e32 v7, 0x80
	s_mov_b32 s1, exec_lo
	s_delay_alu instid0(VALU_DEP_2) | instskip(NEXT) | instid1(VALU_DEP_1)
	v_and_b32_e32 v3, 0x7fffffff, v2
	v_cmpx_gt_u32_e32 0x47800000, v3
	s_cbranch_execz .LBB11_823
; %bb.818:
	v_cmp_lt_u32_e32 vcc_lo, 0x37ffffff, v3
	s_mov_b32 s2, 0
                                        ; implicit-def: $vgpr3
	s_and_saveexec_b32 s3, vcc_lo
	s_delay_alu instid0(SALU_CYCLE_1)
	s_xor_b32 s3, exec_lo, s3
	s_cbranch_execz .LBB11_933
; %bb.819:
	v_bfe_u32 v3, v2, 21, 1
	s_mov_b32 s2, exec_lo
	s_delay_alu instid0(VALU_DEP_1) | instskip(NEXT) | instid1(VALU_DEP_1)
	v_add3_u32 v3, v2, v3, 0x88fffff
	v_lshrrev_b32_e32 v3, 21, v3
	s_or_saveexec_b32 s3, s3
                                        ; implicit-def: $sgpr4
	s_delay_alu instid0(SALU_CYCLE_1)
	s_xor_b32 exec_lo, exec_lo, s3
	s_cbranch_execnz .LBB11_934
.LBB11_820:
	s_or_b32 exec_lo, exec_lo, s3
	v_mov_b32_e32 v7, s4
	s_and_saveexec_b32 s3, s2
.LBB11_821:
	v_lshrrev_b32_e32 v2, 24, v2
	s_delay_alu instid0(VALU_DEP_1)
	v_and_or_b32 v7, 0x80, v2, v3
.LBB11_822:
	s_or_b32 exec_lo, exec_lo, s3
.LBB11_823:
	s_delay_alu instid0(SALU_CYCLE_1)
	s_or_b32 exec_lo, exec_lo, s1
	s_mov_b32 s1, 0
	global_store_b8 v[4:5], v7, off
.LBB11_824:
	s_and_b32 vcc_lo, exec_lo, s1
	s_cbranch_vccz .LBB11_834
; %bb.825:
	v_cvt_f32_f64_e32 v2, v[0:1]
	s_mov_b32 s1, exec_lo
                                        ; implicit-def: $vgpr3
	s_delay_alu instid0(VALU_DEP_1) | instskip(NEXT) | instid1(VALU_DEP_1)
	v_and_b32_e32 v7, 0x7fffffff, v2
	v_cmpx_gt_u32_e32 0x43f00000, v7
	s_xor_b32 s1, exec_lo, s1
	s_cbranch_execz .LBB11_831
; %bb.826:
	s_mov_b32 s2, exec_lo
                                        ; implicit-def: $vgpr3
	v_cmpx_lt_u32_e32 0x3c7fffff, v7
	s_xor_b32 s2, exec_lo, s2
; %bb.827:
	v_bfe_u32 v3, v2, 20, 1
	s_delay_alu instid0(VALU_DEP_1) | instskip(NEXT) | instid1(VALU_DEP_1)
	v_add3_u32 v3, v2, v3, 0x407ffff
	v_and_b32_e32 v7, 0xff00000, v3
	v_lshrrev_b32_e32 v3, 20, v3
	s_delay_alu instid0(VALU_DEP_2) | instskip(NEXT) | instid1(VALU_DEP_2)
	v_cmp_ne_u32_e32 vcc_lo, 0x7f00000, v7
	v_cndmask_b32_e32 v3, 0x7e, v3, vcc_lo
; %bb.828:
	s_and_not1_saveexec_b32 s2, s2
; %bb.829:
	v_add_f32_e64 v3, 0x46800000, |v2|
; %bb.830:
	s_or_b32 exec_lo, exec_lo, s2
                                        ; implicit-def: $vgpr7
.LBB11_831:
	s_and_not1_saveexec_b32 s1, s1
; %bb.832:
	v_mov_b32_e32 v3, 0x7f
	v_cmp_lt_u32_e32 vcc_lo, 0x7f800000, v7
	s_delay_alu instid0(VALU_DEP_2)
	v_cndmask_b32_e32 v3, 0x7e, v3, vcc_lo
; %bb.833:
	s_or_b32 exec_lo, exec_lo, s1
	v_lshrrev_b32_e32 v2, 24, v2
	s_delay_alu instid0(VALU_DEP_1)
	v_and_or_b32 v2, 0x80, v2, v3
	global_store_b8 v[4:5], v2, off
.LBB11_834:
	s_mov_b32 s1, 0
.LBB11_835:
	s_delay_alu instid0(SALU_CYCLE_1)
	s_and_not1_b32 vcc_lo, exec_lo, s1
	s_cbranch_vccnz .LBB11_845
; %bb.836:
	v_cvt_f32_f64_e32 v2, v[0:1]
	s_mov_b32 s1, exec_lo
                                        ; implicit-def: $vgpr3
	s_delay_alu instid0(VALU_DEP_1) | instskip(NEXT) | instid1(VALU_DEP_1)
	v_and_b32_e32 v7, 0x7fffffff, v2
	v_cmpx_gt_u32_e32 0x47800000, v7
	s_xor_b32 s1, exec_lo, s1
	s_cbranch_execz .LBB11_842
; %bb.837:
	s_mov_b32 s2, exec_lo
                                        ; implicit-def: $vgpr3
	v_cmpx_lt_u32_e32 0x387fffff, v7
	s_xor_b32 s2, exec_lo, s2
; %bb.838:
	v_bfe_u32 v3, v2, 21, 1
	s_delay_alu instid0(VALU_DEP_1) | instskip(NEXT) | instid1(VALU_DEP_1)
	v_add3_u32 v3, v2, v3, 0x80fffff
	v_lshrrev_b32_e32 v3, 21, v3
; %bb.839:
	s_and_not1_saveexec_b32 s2, s2
; %bb.840:
	v_add_f32_e64 v3, 0x43000000, |v2|
; %bb.841:
	s_or_b32 exec_lo, exec_lo, s2
                                        ; implicit-def: $vgpr7
.LBB11_842:
	s_and_not1_saveexec_b32 s1, s1
; %bb.843:
	v_mov_b32_e32 v3, 0x7f
	v_cmp_lt_u32_e32 vcc_lo, 0x7f800000, v7
	s_delay_alu instid0(VALU_DEP_2)
	v_cndmask_b32_e32 v3, 0x7c, v3, vcc_lo
; %bb.844:
	s_or_b32 exec_lo, exec_lo, s1
	v_lshrrev_b32_e32 v2, 24, v2
	s_delay_alu instid0(VALU_DEP_1)
	v_and_or_b32 v2, 0x80, v2, v3
	global_store_b8 v[4:5], v2, off
.LBB11_845:
	s_mov_b32 s2, 0
	s_mov_b32 s1, -1
.LBB11_846:
	s_and_not1_b32 vcc_lo, exec_lo, s2
	s_cbranch_vccnz .LBB11_854
; %bb.847:
	v_cmp_lt_i16_e32 vcc_lo, 14, v6
	s_mov_b32 s2, -1
	s_cbranch_vccz .LBB11_851
; %bb.848:
	v_cmp_eq_u16_e32 vcc_lo, 15, v6
	s_mov_b32 s0, -1
	s_cbranch_vccz .LBB11_850
; %bb.849:
	v_cvt_f32_f64_e32 v2, v[0:1]
	s_mov_b32 s1, -1
	s_mov_b32 s0, 0
	s_delay_alu instid0(VALU_DEP_1) | instskip(SKIP_1) | instid1(VALU_DEP_2)
	v_bfe_u32 v3, v2, 16, 1
	v_cmp_o_f32_e32 vcc_lo, v2, v2
	v_add3_u32 v3, v2, v3, 0x7fff
	s_delay_alu instid0(VALU_DEP_1) | instskip(NEXT) | instid1(VALU_DEP_1)
	v_lshrrev_b32_e32 v3, 16, v3
	v_cndmask_b32_e32 v2, 0x7fc0, v3, vcc_lo
	global_store_b16 v[4:5], v2, off
.LBB11_850:
	s_mov_b32 s2, 0
.LBB11_851:
	s_delay_alu instid0(SALU_CYCLE_1)
	s_and_b32 vcc_lo, exec_lo, s2
	s_cbranch_vccz .LBB11_854
; %bb.852:
	v_cmp_eq_u16_e32 vcc_lo, 11, v6
	s_mov_b32 s0, -1
	s_cbranch_vccz .LBB11_854
; %bb.853:
	v_cmp_neq_f64_e32 vcc_lo, 0, v[0:1]
	s_mov_b32 s1, -1
	s_mov_b32 s0, 0
	v_cndmask_b32_e64 v2, 0, 1, vcc_lo
	global_store_b8 v[4:5], v2, off
.LBB11_854:
.LBB11_855:
	s_and_not1_b32 vcc_lo, exec_lo, s1
	s_cbranch_vccnz .LBB11_765
.LBB11_856:
	v_add_nc_u32_e32 v32, 0x80, v32
	s_mov_b32 s1, -1
.LBB11_857:
	s_and_not1_b32 s2, s44, exec_lo
	s_and_b32 s0, s0, exec_lo
	s_delay_alu instid0(SALU_CYCLE_1)
	s_or_b32 s46, s2, s0
	s_or_not1_b32 s2, s1, exec_lo
.LBB11_858:
	s_or_b32 exec_lo, exec_lo, s47
	s_mov_b32 s0, 0
	s_mov_b32 s1, 0
                                        ; implicit-def: $vgpr6
                                        ; implicit-def: $vgpr4_vgpr5
                                        ; implicit-def: $vgpr0_vgpr1
	s_and_saveexec_b32 s47, s2
	s_cbranch_execz .LBB11_1101
; %bb.859:
	s_mov_b32 s2, -1
	s_mov_b32 s49, s46
	s_mov_b32 s48, exec_lo
	v_cmpx_gt_i32_e64 s41, v32
	s_cbranch_execz .LBB11_1008
; %bb.860:
	s_and_not1_b32 vcc_lo, exec_lo, s38
	s_cbranch_vccnz .LBB11_865
; %bb.861:
	v_dual_mov_b32 v31, 0 :: v_dual_mov_b32 v2, 0
	s_and_not1_b32 vcc_lo, exec_lo, s43
	s_mov_b32 s4, 0
	s_cbranch_vccnz .LBB11_870
; %bb.862:
	v_mov_b32_e32 v31, 0
	s_add_i32 s6, s42, 1
	s_cmp_eq_u32 s36, 2
	s_mov_b32 s5, 0
	s_cbranch_scc1 .LBB11_866
; %bb.863:
	v_dual_mov_b32 v2, 0 :: v_dual_mov_b32 v31, 0
	v_mov_b32_e32 v0, v32
	s_and_b32 s5, s6, 28
	s_mov_b32 s7, 0
	s_mov_b64 s[0:1], s[34:35]
	s_mov_b64 s[2:3], s[14:15]
.LBB11_864:                             ; =>This Inner Loop Header: Depth=1
	s_clause 0x1
	s_load_b256 s[52:59], s[2:3], 0x4
	s_load_b128 s[8:11], s[2:3], 0x24
	s_load_b256 s[60:67], s[0:1], 0x0
	s_add_u32 s2, s2, 48
	s_addc_u32 s3, s3, 0
	s_add_i32 s7, s7, 4
	s_add_u32 s0, s0, 32
	s_addc_u32 s1, s1, 0
	s_cmp_eq_u32 s5, s7
	s_waitcnt lgkmcnt(0)
	v_mul_hi_u32 v1, s53, v0
	s_delay_alu instid0(VALU_DEP_1) | instskip(NEXT) | instid1(VALU_DEP_1)
	v_add_nc_u32_e32 v1, v0, v1
	v_lshrrev_b32_e32 v1, s54, v1
	s_delay_alu instid0(VALU_DEP_1) | instskip(SKIP_1) | instid1(VALU_DEP_2)
	v_mul_hi_u32 v3, s56, v1
	v_mul_lo_u32 v5, v1, s52
	v_add_nc_u32_e32 v3, v1, v3
	s_delay_alu instid0(VALU_DEP_2) | instskip(NEXT) | instid1(VALU_DEP_2)
	v_sub_nc_u32_e32 v0, v0, v5
	v_lshrrev_b32_e32 v3, s57, v3
	s_delay_alu instid0(VALU_DEP_2) | instskip(SKIP_1) | instid1(VALU_DEP_3)
	v_mul_lo_u32 v5, v0, s60
	v_mul_lo_u32 v7, v0, s61
	v_mul_hi_u32 v4, s59, v3
	s_delay_alu instid0(VALU_DEP_1) | instskip(NEXT) | instid1(VALU_DEP_1)
	v_add_nc_u32_e32 v4, v3, v4
	v_lshrrev_b32_e32 v4, s8, v4
	s_delay_alu instid0(VALU_DEP_1) | instskip(SKIP_1) | instid1(VALU_DEP_2)
	v_mul_hi_u32 v6, s10, v4
	v_mul_lo_u32 v8, v4, s58
	v_add_nc_u32_e32 v0, v4, v6
	v_mul_lo_u32 v6, v3, s55
	s_delay_alu instid0(VALU_DEP_3) | instskip(NEXT) | instid1(VALU_DEP_3)
	v_sub_nc_u32_e32 v3, v3, v8
	v_lshrrev_b32_e32 v0, s11, v0
	s_delay_alu instid0(VALU_DEP_2) | instskip(SKIP_2) | instid1(VALU_DEP_4)
	v_mul_lo_u32 v8, v3, s64
	v_mul_lo_u32 v3, v3, s65
	v_sub_nc_u32_e32 v1, v1, v6
	v_mul_lo_u32 v9, v0, s9
	s_delay_alu instid0(VALU_DEP_2) | instskip(SKIP_1) | instid1(VALU_DEP_3)
	v_mul_lo_u32 v6, v1, s62
	v_mul_lo_u32 v1, v1, s63
	v_sub_nc_u32_e32 v4, v4, v9
	s_delay_alu instid0(VALU_DEP_3) | instskip(NEXT) | instid1(VALU_DEP_2)
	v_add3_u32 v5, v5, v31, v6
	v_mul_lo_u32 v9, v4, s66
	v_mul_lo_u32 v4, v4, s67
	v_add3_u32 v1, v7, v2, v1
	s_delay_alu instid0(VALU_DEP_3) | instskip(NEXT) | instid1(VALU_DEP_2)
	v_add3_u32 v31, v8, v5, v9
	v_add3_u32 v2, v3, v1, v4
	s_cbranch_scc0 .LBB11_864
	s_branch .LBB11_867
.LBB11_865:
	s_mov_b32 s4, -1
                                        ; implicit-def: $vgpr31
                                        ; implicit-def: $vgpr2
	s_branch .LBB11_870
.LBB11_866:
	v_mov_b32_e32 v0, v32
	v_mov_b32_e32 v2, 0
.LBB11_867:
	s_and_b32 s6, s6, 3
	s_delay_alu instid0(SALU_CYCLE_1)
	s_cmp_eq_u32 s6, 0
	s_cbranch_scc1 .LBB11_870
; %bb.868:
	s_lshl_b32 s0, s5, 3
	s_mul_i32 s2, s5, 12
	s_add_u32 s0, s0, s14
	s_addc_u32 s1, s15, 0
	s_add_u32 s0, s0, 0xc4
	s_addc_u32 s1, s1, 0
	s_add_u32 s2, s14, s2
	s_addc_u32 s3, s15, 0
	.p2align	6
.LBB11_869:                             ; =>This Inner Loop Header: Depth=1
	s_clause 0x1
	s_load_b64 s[8:9], s[2:3], 0x4
	s_load_b32 s5, s[2:3], 0xc
	s_load_b64 s[10:11], s[0:1], 0x0
	s_add_u32 s2, s2, 12
	s_addc_u32 s3, s3, 0
	s_add_u32 s0, s0, 8
	s_addc_u32 s1, s1, 0
	s_add_i32 s6, s6, -1
	s_delay_alu instid0(SALU_CYCLE_1) | instskip(SKIP_2) | instid1(VALU_DEP_1)
	s_cmp_lg_u32 s6, 0
	s_waitcnt lgkmcnt(0)
	v_mul_hi_u32 v1, s9, v0
	v_add_nc_u32_e32 v1, v0, v1
	s_delay_alu instid0(VALU_DEP_1) | instskip(NEXT) | instid1(VALU_DEP_1)
	v_lshrrev_b32_e32 v1, s5, v1
	v_mul_lo_u32 v3, v1, s8
	s_delay_alu instid0(VALU_DEP_1) | instskip(NEXT) | instid1(VALU_DEP_1)
	v_sub_nc_u32_e32 v0, v0, v3
	v_mad_u64_u32 v[3:4], null, v0, s10, v[31:32]
	s_delay_alu instid0(VALU_DEP_1) | instskip(SKIP_1) | instid1(VALU_DEP_2)
	v_mad_u64_u32 v[4:5], null, v0, s11, v[2:3]
	v_dual_mov_b32 v0, v1 :: v_dual_mov_b32 v31, v3
	v_mov_b32_e32 v2, v4
	s_cbranch_scc1 .LBB11_869
.LBB11_870:
	s_and_not1_b32 vcc_lo, exec_lo, s4
	s_cbranch_vccnz .LBB11_873
; %bb.871:
	s_waitcnt lgkmcnt(0)
	v_mul_hi_u32 v0, s25, v32
	s_and_not1_b32 vcc_lo, exec_lo, s40
	s_delay_alu instid0(VALU_DEP_1) | instskip(NEXT) | instid1(VALU_DEP_1)
	v_add_nc_u32_e32 v0, v32, v0
	v_lshrrev_b32_e32 v0, s26, v0
	s_delay_alu instid0(VALU_DEP_1) | instskip(NEXT) | instid1(VALU_DEP_1)
	v_mul_lo_u32 v1, v0, s24
	v_sub_nc_u32_e32 v1, v32, v1
	s_delay_alu instid0(VALU_DEP_1)
	v_mul_lo_u32 v31, v1, s20
	v_mul_lo_u32 v2, v1, s21
	s_cbranch_vccnz .LBB11_873
; %bb.872:
	v_mul_hi_u32 v1, s28, v0
	s_delay_alu instid0(VALU_DEP_1) | instskip(NEXT) | instid1(VALU_DEP_1)
	v_add_nc_u32_e32 v1, v0, v1
	v_lshrrev_b32_e32 v1, s29, v1
	s_delay_alu instid0(VALU_DEP_1) | instskip(NEXT) | instid1(VALU_DEP_1)
	v_mul_lo_u32 v1, v1, s27
	v_sub_nc_u32_e32 v5, v0, v1
	s_delay_alu instid0(VALU_DEP_1) | instskip(SKIP_1) | instid1(VALU_DEP_1)
	v_mad_u64_u32 v[0:1], null, v5, s22, v[31:32]
	v_mad_u64_u32 v[3:4], null, v5, s23, v[2:3]
	v_dual_mov_b32 v31, v0 :: v_dual_mov_b32 v2, v3
.LBB11_873:
	s_waitcnt lgkmcnt(0)
	v_dual_mov_b32 v0, s18 :: v_dual_mov_b32 v1, s19
	v_mov_b32_e32 v3, v30
	s_getpc_b64 s[0:1]
	s_add_u32 s0, s0, _ZN2at6native6invokeIZZZNS0_12_GLOBAL__N_137scaled_modified_bessel_k1_kernel_cudaERNS_18TensorIteratorBaseEENKUlvE_clEvENKUlvE_clEvEUldE_j15function_traitsIS7_EEENT1_11result_typeERKT_PrKPcPKT0_PKN3c1010ScalarTypeEi@rel32@lo+4
	s_addc_u32 s1, s1, _ZN2at6native6invokeIZZZNS0_12_GLOBAL__N_137scaled_modified_bessel_k1_kernel_cudaERNS_18TensorIteratorBaseEENKUlvE_clEvENKUlvE_clEvEUldE_j15function_traitsIS7_EEENT1_11result_typeERKT_PrKPcPKT0_PKN3c1010ScalarTypeEi@rel32@hi+12
	s_delay_alu instid0(SALU_CYCLE_1) | instskip(SKIP_2) | instid1(VALU_DEP_1)
	s_swappc_b64 s[30:31], s[0:1]
	v_and_b32_e32 v6, 0xff, v33
	v_add_co_u32 v4, s0, s16, v31
	v_add_co_ci_u32_e64 v5, null, s17, 0, s0
	s_delay_alu instid0(VALU_DEP_3)
	v_cmp_gt_i16_e32 vcc_lo, 11, v6
	s_mov_b32 s1, 0
	s_mov_b32 s2, -1
	s_mov_b32 s0, s46
	s_cbranch_vccnz .LBB11_880
; %bb.874:
	v_cmp_lt_i16_e32 vcc_lo, 25, v6
	s_cbranch_vccz .LBB11_920
; %bb.875:
	v_cmp_lt_i16_e32 vcc_lo, 28, v6
	s_cbranch_vccz .LBB11_921
	;; [unrolled: 3-line block ×4, first 2 shown]
; %bb.878:
	v_cmp_eq_u16_e32 vcc_lo, 46, v6
	s_mov_b32 s2, 0
	s_mov_b32 s0, -1
	s_cbranch_vccz .LBB11_936
; %bb.879:
	v_cvt_f32_f64_e32 v2, v[0:1]
	s_mov_b32 s1, -1
	s_mov_b32 s0, 0
	s_delay_alu instid0(VALU_DEP_1) | instskip(SKIP_1) | instid1(VALU_DEP_2)
	v_bfe_u32 v3, v2, 16, 1
	v_cmp_o_f32_e32 vcc_lo, v2, v2
	v_add3_u32 v3, v2, v3, 0x7fff
	s_delay_alu instid0(VALU_DEP_1) | instskip(NEXT) | instid1(VALU_DEP_1)
	v_lshrrev_b32_e32 v3, 16, v3
	v_cndmask_b32_e32 v2, 0x7fc0, v3, vcc_lo
	global_store_b32 v[4:5], v2, off
	s_branch .LBB11_936
.LBB11_880:
	s_and_b32 vcc_lo, exec_lo, s2
	s_cbranch_vccz .LBB11_1005
; %bb.881:
	v_cmp_gt_i16_e32 vcc_lo, 5, v6
	s_mov_b32 s1, -1
	s_cbranch_vccnz .LBB11_902
; %bb.882:
	v_cmp_gt_i16_e32 vcc_lo, 8, v6
	s_cbranch_vccnz .LBB11_892
; %bb.883:
	v_cmp_gt_i16_e32 vcc_lo, 9, v6
	s_cbranch_vccnz .LBB11_889
; %bb.884:
	v_cmp_lt_i16_e32 vcc_lo, 9, v6
	s_cbranch_vccz .LBB11_886
; %bb.885:
	v_mov_b32_e32 v2, 0
	s_mov_b32 s1, 0
	s_delay_alu instid0(VALU_DEP_1)
	v_mov_b32_e32 v3, v2
	global_store_b128 v[4:5], v[0:3], off
.LBB11_886:
	s_and_not1_b32 vcc_lo, exec_lo, s1
	s_cbranch_vccnz .LBB11_888
; %bb.887:
	v_cvt_f32_f64_e32 v2, v[0:1]
	v_mov_b32_e32 v3, 0
	global_store_b64 v[4:5], v[2:3], off
.LBB11_888:
	s_mov_b32 s1, 0
.LBB11_889:
	s_delay_alu instid0(SALU_CYCLE_1)
	s_and_not1_b32 vcc_lo, exec_lo, s1
	s_cbranch_vccnz .LBB11_891
; %bb.890:
	v_cvt_f32_f64_e32 v2, v[0:1]
	s_delay_alu instid0(VALU_DEP_1) | instskip(NEXT) | instid1(VALU_DEP_1)
	v_cvt_f16_f32_e32 v2, v2
	v_and_b32_e32 v2, 0xffff, v2
	global_store_b32 v[4:5], v2, off
.LBB11_891:
	s_mov_b32 s1, 0
.LBB11_892:
	s_delay_alu instid0(SALU_CYCLE_1)
	s_and_not1_b32 vcc_lo, exec_lo, s1
	s_cbranch_vccnz .LBB11_901
; %bb.893:
	v_cmp_gt_i16_e32 vcc_lo, 6, v6
	s_mov_b32 s1, -1
	s_cbranch_vccnz .LBB11_899
; %bb.894:
	v_cmp_lt_i16_e32 vcc_lo, 6, v6
	s_cbranch_vccz .LBB11_896
; %bb.895:
	s_mov_b32 s1, 0
	global_store_b64 v[4:5], v[0:1], off
.LBB11_896:
	s_and_not1_b32 vcc_lo, exec_lo, s1
	s_cbranch_vccnz .LBB11_898
; %bb.897:
	v_cvt_f32_f64_e32 v2, v[0:1]
	global_store_b32 v[4:5], v2, off
.LBB11_898:
	s_mov_b32 s1, 0
.LBB11_899:
	s_delay_alu instid0(SALU_CYCLE_1)
	s_and_not1_b32 vcc_lo, exec_lo, s1
	s_cbranch_vccnz .LBB11_901
; %bb.900:
	v_cvt_f32_f64_e32 v2, v[0:1]
	s_delay_alu instid0(VALU_DEP_1)
	v_cvt_f16_f32_e32 v2, v2
	global_store_b16 v[4:5], v2, off
.LBB11_901:
	s_mov_b32 s1, 0
.LBB11_902:
	s_delay_alu instid0(SALU_CYCLE_1)
	s_and_not1_b32 vcc_lo, exec_lo, s1
	s_cbranch_vccnz .LBB11_918
; %bb.903:
	v_cmp_gt_i16_e32 vcc_lo, 2, v6
	s_mov_b32 s1, -1
	s_cbranch_vccnz .LBB11_913
; %bb.904:
	v_cmp_gt_i16_e32 vcc_lo, 3, v6
	s_cbranch_vccnz .LBB11_910
; %bb.905:
	v_cmp_lt_i16_e32 vcc_lo, 3, v6
	s_cbranch_vccz .LBB11_907
; %bb.906:
	v_trunc_f64_e32 v[2:3], v[0:1]
	s_mov_b32 s1, 0
	s_delay_alu instid0(VALU_DEP_1) | instskip(NEXT) | instid1(VALU_DEP_1)
	v_ldexp_f64 v[7:8], v[2:3], 0xffffffe0
	v_floor_f64_e32 v[7:8], v[7:8]
	s_delay_alu instid0(VALU_DEP_1) | instskip(SKIP_1) | instid1(VALU_DEP_2)
	v_fma_f64 v[2:3], 0xc1f00000, v[7:8], v[2:3]
	v_cvt_i32_f64_e32 v8, v[7:8]
	v_cvt_u32_f64_e32 v7, v[2:3]
	global_store_b64 v[4:5], v[7:8], off
.LBB11_907:
	s_and_not1_b32 vcc_lo, exec_lo, s1
	s_cbranch_vccnz .LBB11_909
; %bb.908:
	v_cvt_i32_f64_e32 v2, v[0:1]
	global_store_b32 v[4:5], v2, off
.LBB11_909:
	s_mov_b32 s1, 0
.LBB11_910:
	s_delay_alu instid0(SALU_CYCLE_1)
	s_and_not1_b32 vcc_lo, exec_lo, s1
	s_cbranch_vccnz .LBB11_912
; %bb.911:
	v_cvt_i32_f64_e32 v2, v[0:1]
	global_store_b16 v[4:5], v2, off
.LBB11_912:
	s_mov_b32 s1, 0
.LBB11_913:
	s_delay_alu instid0(SALU_CYCLE_1)
	s_and_not1_b32 vcc_lo, exec_lo, s1
	s_cbranch_vccnz .LBB11_918
; %bb.914:
	v_cmp_lt_i16_e32 vcc_lo, 0, v6
	s_mov_b32 s1, -1
	s_cbranch_vccz .LBB11_916
; %bb.915:
	v_cvt_i32_f64_e32 v2, v[0:1]
	s_mov_b32 s1, 0
	global_store_b8 v[4:5], v2, off
.LBB11_916:
	s_and_not1_b32 vcc_lo, exec_lo, s1
	s_cbranch_vccnz .LBB11_918
; %bb.917:
	v_trunc_f64_e32 v[0:1], v[0:1]
	s_delay_alu instid0(VALU_DEP_1) | instskip(NEXT) | instid1(VALU_DEP_1)
	v_ldexp_f64 v[2:3], v[0:1], 0xffffffe0
	v_floor_f64_e32 v[2:3], v[2:3]
	s_delay_alu instid0(VALU_DEP_1) | instskip(NEXT) | instid1(VALU_DEP_1)
	v_fma_f64 v[0:1], 0xc1f00000, v[2:3], v[0:1]
	v_cvt_u32_f64_e32 v0, v[0:1]
	global_store_b8 v[4:5], v0, off
.LBB11_918:
	s_branch .LBB11_1006
.LBB11_919:
	s_mov_b32 s1, 0
                                        ; implicit-def: $vgpr32
	s_branch .LBB11_1007
.LBB11_920:
	s_mov_b32 s0, s46
	s_branch .LBB11_963
.LBB11_921:
	s_mov_b32 s0, s46
	s_branch .LBB11_946
.LBB11_922:
	s_or_saveexec_b32 s3, s3
                                        ; implicit-def: $sgpr4
	s_delay_alu instid0(SALU_CYCLE_1)
	s_xor_b32 exec_lo, exec_lo, s3
	s_cbranch_execz .LBB11_807
.LBB11_923:
	v_add_f32_e64 v3, 0x46000000, |v2|
	s_and_not1_b32 s2, s2, exec_lo
	s_mov_b32 s4, 0
	s_delay_alu instid0(VALU_DEP_1) | instskip(NEXT) | instid1(VALU_DEP_1)
	v_and_b32_e32 v3, 0xff, v3
	v_cmp_ne_u32_e32 vcc_lo, 0, v3
	s_and_b32 s5, vcc_lo, exec_lo
	s_delay_alu instid0(SALU_CYCLE_1)
	s_or_b32 s2, s2, s5
	s_or_b32 exec_lo, exec_lo, s3
	v_mov_b32_e32 v7, s4
	s_and_saveexec_b32 s3, s2
	s_cbranch_execnz .LBB11_808
	s_branch .LBB11_809
.LBB11_924:
	s_mov_b32 s0, s46
	s_branch .LBB11_942
.LBB11_925:
	s_or_saveexec_b32 s4, s4
                                        ; implicit-def: $sgpr5
	s_delay_alu instid0(SALU_CYCLE_1)
	s_xor_b32 exec_lo, exec_lo, s4
	s_cbranch_execz .LBB11_395
.LBB11_926:
	v_add_f32_e64 v5, 0x42800000, |v4|
	s_and_not1_b32 s3, s3, exec_lo
	s_mov_b32 s5, 0
	s_delay_alu instid0(VALU_DEP_1) | instskip(NEXT) | instid1(VALU_DEP_1)
	v_and_b32_e32 v5, 0xff, v5
	v_cmp_ne_u32_e32 vcc_lo, 0, v5
	s_and_b32 s6, vcc_lo, exec_lo
	s_delay_alu instid0(SALU_CYCLE_1)
	s_or_b32 s3, s3, s6
	s_or_b32 exec_lo, exec_lo, s4
	v_mov_b32_e32 v7, s5
	s_and_saveexec_b32 s4, s3
	s_cbranch_execnz .LBB11_396
	s_branch .LBB11_397
.LBB11_927:
	s_or_saveexec_b32 s5, s5
                                        ; implicit-def: $sgpr6
	s_delay_alu instid0(SALU_CYCLE_1)
	s_xor_b32 exec_lo, exec_lo, s5
	s_cbranch_execz .LBB11_500
.LBB11_928:
	v_add_f32_e64 v5, 0x46000000, |v4|
	s_and_not1_b32 s4, s4, exec_lo
	s_mov_b32 s6, 0
	s_delay_alu instid0(VALU_DEP_1) | instskip(NEXT) | instid1(VALU_DEP_1)
	v_and_b32_e32 v5, 0xff, v5
	v_cmp_ne_u32_e32 vcc_lo, 0, v5
	s_and_b32 s7, vcc_lo, exec_lo
	s_delay_alu instid0(SALU_CYCLE_1)
	s_or_b32 s4, s4, s7
	s_or_b32 exec_lo, exec_lo, s5
	v_mov_b32_e32 v7, s6
	s_and_saveexec_b32 s5, s4
	s_cbranch_execnz .LBB11_501
	s_branch .LBB11_502
.LBB11_929:
	s_trap 2
	s_sendmsg_rtn_b32 s0, sendmsg(MSG_RTN_GET_DOORBELL)
	s_mov_b32 ttmp2, m0
	s_waitcnt lgkmcnt(0)
	s_and_b32 s0, s0, 0x3ff
	s_delay_alu instid0(SALU_CYCLE_1) | instskip(NEXT) | instid1(SALU_CYCLE_1)
	s_bitset1_b32 s0, 10
	s_mov_b32 m0, s0
	s_sendmsg sendmsg(MSG_INTERRUPT)
	s_mov_b32 m0, ttmp2
.LBB11_930:                             ; =>This Inner Loop Header: Depth=1
	s_sethalt 5
	s_branch .LBB11_930
.LBB11_931:
	s_cbranch_execnz .LBB11_1112
; %bb.932:
	s_or_b32 s1, s1, exec_lo
	s_cbranch_execz .LBB11_548
	s_branch .LBB11_549
.LBB11_933:
	s_or_saveexec_b32 s3, s3
                                        ; implicit-def: $sgpr4
	s_delay_alu instid0(SALU_CYCLE_1)
	s_xor_b32 exec_lo, exec_lo, s3
	s_cbranch_execz .LBB11_820
.LBB11_934:
	v_add_f32_e64 v3, 0x42800000, |v2|
	s_and_not1_b32 s2, s2, exec_lo
	s_mov_b32 s4, 0
	s_delay_alu instid0(VALU_DEP_1) | instskip(NEXT) | instid1(VALU_DEP_1)
	v_and_b32_e32 v3, 0xff, v3
	v_cmp_ne_u32_e32 vcc_lo, 0, v3
	s_and_b32 s5, vcc_lo, exec_lo
	s_delay_alu instid0(SALU_CYCLE_1)
	s_or_b32 s2, s2, s5
	s_or_b32 exec_lo, exec_lo, s3
	v_mov_b32_e32 v7, s4
	s_and_saveexec_b32 s3, s2
	s_cbranch_execnz .LBB11_821
	s_branch .LBB11_822
.LBB11_935:
	s_mov_b32 s0, s46
.LBB11_936:
	s_and_b32 vcc_lo, exec_lo, s2
	s_cbranch_vccz .LBB11_941
; %bb.937:
	v_cmp_eq_u16_e32 vcc_lo, 44, v6
	s_mov_b32 s0, -1
	s_cbranch_vccz .LBB11_941
; %bb.938:
	v_cvt_f32_f64_e32 v2, v[0:1]
	v_mov_b32_e32 v3, 0xff
	s_mov_b32 s1, exec_lo
	s_delay_alu instid0(VALU_DEP_2) | instskip(NEXT) | instid1(VALU_DEP_1)
	v_bfe_u32 v7, v2, 23, 8
	v_cmpx_ne_u32_e32 0xff, v7
; %bb.939:
	v_and_b32_e32 v3, 0x400000, v2
	v_and_or_b32 v7, 0x3fffff, v2, v7
	v_lshrrev_b32_e32 v2, 23, v2
	s_delay_alu instid0(VALU_DEP_3) | instskip(NEXT) | instid1(VALU_DEP_3)
	v_cmp_ne_u32_e32 vcc_lo, 0, v3
	v_cmp_ne_u32_e64 s0, 0, v7
	s_delay_alu instid0(VALU_DEP_1) | instskip(NEXT) | instid1(SALU_CYCLE_1)
	s_and_b32 s0, vcc_lo, s0
	v_cndmask_b32_e64 v3, 0, 1, s0
	s_delay_alu instid0(VALU_DEP_1)
	v_add_nc_u32_e32 v3, v2, v3
; %bb.940:
	s_or_b32 exec_lo, exec_lo, s1
	s_mov_b32 s1, -1
	s_mov_b32 s0, 0
	global_store_b8 v[4:5], v3, off
.LBB11_941:
	s_mov_b32 s2, 0
.LBB11_942:
	s_delay_alu instid0(SALU_CYCLE_1)
	s_and_b32 vcc_lo, exec_lo, s2
	s_cbranch_vccz .LBB11_945
; %bb.943:
	v_cmp_eq_u16_e32 vcc_lo, 29, v6
	s_mov_b32 s0, -1
	s_cbranch_vccz .LBB11_945
; %bb.944:
	v_trunc_f64_e32 v[2:3], v[0:1]
	s_mov_b32 s1, -1
	s_mov_b32 s0, 0
	s_mov_b32 s2, 0
	s_delay_alu instid0(VALU_DEP_1) | instskip(NEXT) | instid1(VALU_DEP_1)
	v_ldexp_f64 v[7:8], v[2:3], 0xffffffe0
	v_floor_f64_e32 v[7:8], v[7:8]
	s_delay_alu instid0(VALU_DEP_1) | instskip(SKIP_1) | instid1(VALU_DEP_2)
	v_fma_f64 v[2:3], 0xc1f00000, v[7:8], v[2:3]
	v_cvt_u32_f64_e32 v8, v[7:8]
	v_cvt_u32_f64_e32 v7, v[2:3]
	global_store_b64 v[4:5], v[7:8], off
	s_branch .LBB11_946
.LBB11_945:
	s_mov_b32 s2, 0
.LBB11_946:
	s_delay_alu instid0(SALU_CYCLE_1)
	s_and_b32 vcc_lo, exec_lo, s2
	s_cbranch_vccz .LBB11_962
; %bb.947:
	v_cmp_gt_i16_e32 vcc_lo, 27, v6
	s_mov_b32 s1, -1
	s_cbranch_vccnz .LBB11_953
; %bb.948:
	v_cmp_lt_i16_e32 vcc_lo, 27, v6
	s_cbranch_vccz .LBB11_950
; %bb.949:
	v_cvt_u32_f64_e32 v2, v[0:1]
	s_mov_b32 s1, 0
	global_store_b32 v[4:5], v2, off
.LBB11_950:
	s_and_not1_b32 vcc_lo, exec_lo, s1
	s_cbranch_vccnz .LBB11_952
; %bb.951:
	v_cvt_u32_f64_e32 v2, v[0:1]
	global_store_b16 v[4:5], v2, off
.LBB11_952:
	s_mov_b32 s1, 0
.LBB11_953:
	s_delay_alu instid0(SALU_CYCLE_1)
	s_and_not1_b32 vcc_lo, exec_lo, s1
	s_cbranch_vccnz .LBB11_961
; %bb.954:
	v_cvt_f32_f64_e32 v2, v[0:1]
	v_mov_b32_e32 v7, 0x80
	s_mov_b32 s1, exec_lo
	s_delay_alu instid0(VALU_DEP_2) | instskip(NEXT) | instid1(VALU_DEP_1)
	v_and_b32_e32 v3, 0x7fffffff, v2
	v_cmpx_gt_u32_e32 0x43800000, v3
	s_cbranch_execz .LBB11_960
; %bb.955:
	v_cmp_lt_u32_e32 vcc_lo, 0x3bffffff, v3
	s_mov_b32 s2, 0
                                        ; implicit-def: $vgpr3
	s_and_saveexec_b32 s3, vcc_lo
	s_delay_alu instid0(SALU_CYCLE_1)
	s_xor_b32 s3, exec_lo, s3
	s_cbranch_execz .LBB11_1106
; %bb.956:
	v_bfe_u32 v3, v2, 20, 1
	s_mov_b32 s2, exec_lo
	s_delay_alu instid0(VALU_DEP_1) | instskip(NEXT) | instid1(VALU_DEP_1)
	v_add3_u32 v3, v2, v3, 0x487ffff
	v_lshrrev_b32_e32 v3, 20, v3
	s_or_saveexec_b32 s3, s3
                                        ; implicit-def: $sgpr4
	s_delay_alu instid0(SALU_CYCLE_1)
	s_xor_b32 exec_lo, exec_lo, s3
	s_cbranch_execnz .LBB11_1107
.LBB11_957:
	s_or_b32 exec_lo, exec_lo, s3
	v_mov_b32_e32 v7, s4
	s_and_saveexec_b32 s3, s2
.LBB11_958:
	v_lshrrev_b32_e32 v2, 24, v2
	s_delay_alu instid0(VALU_DEP_1)
	v_and_or_b32 v7, 0x80, v2, v3
.LBB11_959:
	s_or_b32 exec_lo, exec_lo, s3
.LBB11_960:
	s_delay_alu instid0(SALU_CYCLE_1)
	s_or_b32 exec_lo, exec_lo, s1
	global_store_b8 v[4:5], v7, off
.LBB11_961:
	s_mov_b32 s1, -1
.LBB11_962:
	s_mov_b32 s2, 0
.LBB11_963:
	s_delay_alu instid0(SALU_CYCLE_1)
	s_and_b32 vcc_lo, exec_lo, s2
	s_cbranch_vccz .LBB11_1004
; %bb.964:
	v_cmp_lt_i16_e32 vcc_lo, 22, v6
	s_mov_b32 s2, -1
	s_cbranch_vccz .LBB11_996
; %bb.965:
	v_cmp_gt_i16_e32 vcc_lo, 24, v6
	s_mov_b32 s1, -1
	s_cbranch_vccnz .LBB11_985
; %bb.966:
	v_cmp_lt_i16_e32 vcc_lo, 24, v6
	s_cbranch_vccz .LBB11_974
; %bb.967:
	v_cvt_f32_f64_e32 v2, v[0:1]
	v_mov_b32_e32 v7, 0x80
	s_mov_b32 s1, exec_lo
	s_delay_alu instid0(VALU_DEP_2) | instskip(NEXT) | instid1(VALU_DEP_1)
	v_and_b32_e32 v3, 0x7fffffff, v2
	v_cmpx_gt_u32_e32 0x47800000, v3
	s_cbranch_execz .LBB11_973
; %bb.968:
	v_cmp_lt_u32_e32 vcc_lo, 0x37ffffff, v3
	s_mov_b32 s2, 0
                                        ; implicit-def: $vgpr3
	s_and_saveexec_b32 s3, vcc_lo
	s_delay_alu instid0(SALU_CYCLE_1)
	s_xor_b32 s3, exec_lo, s3
	s_cbranch_execz .LBB11_1116
; %bb.969:
	v_bfe_u32 v3, v2, 21, 1
	s_mov_b32 s2, exec_lo
	s_delay_alu instid0(VALU_DEP_1) | instskip(NEXT) | instid1(VALU_DEP_1)
	v_add3_u32 v3, v2, v3, 0x88fffff
	v_lshrrev_b32_e32 v3, 21, v3
	s_or_saveexec_b32 s3, s3
                                        ; implicit-def: $sgpr4
	s_delay_alu instid0(SALU_CYCLE_1)
	s_xor_b32 exec_lo, exec_lo, s3
	s_cbranch_execnz .LBB11_1117
.LBB11_970:
	s_or_b32 exec_lo, exec_lo, s3
	v_mov_b32_e32 v7, s4
	s_and_saveexec_b32 s3, s2
.LBB11_971:
	v_lshrrev_b32_e32 v2, 24, v2
	s_delay_alu instid0(VALU_DEP_1)
	v_and_or_b32 v7, 0x80, v2, v3
.LBB11_972:
	s_or_b32 exec_lo, exec_lo, s3
.LBB11_973:
	s_delay_alu instid0(SALU_CYCLE_1)
	s_or_b32 exec_lo, exec_lo, s1
	s_mov_b32 s1, 0
	global_store_b8 v[4:5], v7, off
.LBB11_974:
	s_and_b32 vcc_lo, exec_lo, s1
	s_cbranch_vccz .LBB11_984
; %bb.975:
	v_cvt_f32_f64_e32 v2, v[0:1]
	s_mov_b32 s1, exec_lo
                                        ; implicit-def: $vgpr3
	s_delay_alu instid0(VALU_DEP_1) | instskip(NEXT) | instid1(VALU_DEP_1)
	v_and_b32_e32 v7, 0x7fffffff, v2
	v_cmpx_gt_u32_e32 0x43f00000, v7
	s_xor_b32 s1, exec_lo, s1
	s_cbranch_execz .LBB11_981
; %bb.976:
	s_mov_b32 s2, exec_lo
                                        ; implicit-def: $vgpr3
	v_cmpx_lt_u32_e32 0x3c7fffff, v7
	s_xor_b32 s2, exec_lo, s2
; %bb.977:
	v_bfe_u32 v3, v2, 20, 1
	s_delay_alu instid0(VALU_DEP_1) | instskip(NEXT) | instid1(VALU_DEP_1)
	v_add3_u32 v3, v2, v3, 0x407ffff
	v_and_b32_e32 v7, 0xff00000, v3
	v_lshrrev_b32_e32 v3, 20, v3
	s_delay_alu instid0(VALU_DEP_2) | instskip(NEXT) | instid1(VALU_DEP_2)
	v_cmp_ne_u32_e32 vcc_lo, 0x7f00000, v7
	v_cndmask_b32_e32 v3, 0x7e, v3, vcc_lo
; %bb.978:
	s_and_not1_saveexec_b32 s2, s2
; %bb.979:
	v_add_f32_e64 v3, 0x46800000, |v2|
; %bb.980:
	s_or_b32 exec_lo, exec_lo, s2
                                        ; implicit-def: $vgpr7
.LBB11_981:
	s_and_not1_saveexec_b32 s1, s1
; %bb.982:
	v_mov_b32_e32 v3, 0x7f
	v_cmp_lt_u32_e32 vcc_lo, 0x7f800000, v7
	s_delay_alu instid0(VALU_DEP_2)
	v_cndmask_b32_e32 v3, 0x7e, v3, vcc_lo
; %bb.983:
	s_or_b32 exec_lo, exec_lo, s1
	v_lshrrev_b32_e32 v2, 24, v2
	s_delay_alu instid0(VALU_DEP_1)
	v_and_or_b32 v2, 0x80, v2, v3
	global_store_b8 v[4:5], v2, off
.LBB11_984:
	s_mov_b32 s1, 0
.LBB11_985:
	s_delay_alu instid0(SALU_CYCLE_1)
	s_and_not1_b32 vcc_lo, exec_lo, s1
	s_cbranch_vccnz .LBB11_995
; %bb.986:
	v_cvt_f32_f64_e32 v2, v[0:1]
	s_mov_b32 s1, exec_lo
                                        ; implicit-def: $vgpr3
	s_delay_alu instid0(VALU_DEP_1) | instskip(NEXT) | instid1(VALU_DEP_1)
	v_and_b32_e32 v7, 0x7fffffff, v2
	v_cmpx_gt_u32_e32 0x47800000, v7
	s_xor_b32 s1, exec_lo, s1
	s_cbranch_execz .LBB11_992
; %bb.987:
	s_mov_b32 s2, exec_lo
                                        ; implicit-def: $vgpr3
	v_cmpx_lt_u32_e32 0x387fffff, v7
	s_xor_b32 s2, exec_lo, s2
; %bb.988:
	v_bfe_u32 v3, v2, 21, 1
	s_delay_alu instid0(VALU_DEP_1) | instskip(NEXT) | instid1(VALU_DEP_1)
	v_add3_u32 v3, v2, v3, 0x80fffff
	v_lshrrev_b32_e32 v3, 21, v3
; %bb.989:
	s_and_not1_saveexec_b32 s2, s2
; %bb.990:
	v_add_f32_e64 v3, 0x43000000, |v2|
; %bb.991:
	s_or_b32 exec_lo, exec_lo, s2
                                        ; implicit-def: $vgpr7
.LBB11_992:
	s_and_not1_saveexec_b32 s1, s1
; %bb.993:
	v_mov_b32_e32 v3, 0x7f
	v_cmp_lt_u32_e32 vcc_lo, 0x7f800000, v7
	s_delay_alu instid0(VALU_DEP_2)
	v_cndmask_b32_e32 v3, 0x7c, v3, vcc_lo
; %bb.994:
	s_or_b32 exec_lo, exec_lo, s1
	v_lshrrev_b32_e32 v2, 24, v2
	s_delay_alu instid0(VALU_DEP_1)
	v_and_or_b32 v2, 0x80, v2, v3
	global_store_b8 v[4:5], v2, off
.LBB11_995:
	s_mov_b32 s2, 0
	s_mov_b32 s1, -1
.LBB11_996:
	s_and_not1_b32 vcc_lo, exec_lo, s2
	s_cbranch_vccnz .LBB11_1004
; %bb.997:
	v_cmp_lt_i16_e32 vcc_lo, 14, v6
	s_mov_b32 s2, -1
	s_cbranch_vccz .LBB11_1001
; %bb.998:
	v_cmp_eq_u16_e32 vcc_lo, 15, v6
	s_mov_b32 s0, -1
	s_cbranch_vccz .LBB11_1000
; %bb.999:
	v_cvt_f32_f64_e32 v2, v[0:1]
	s_mov_b32 s1, -1
	s_mov_b32 s0, 0
	s_delay_alu instid0(VALU_DEP_1) | instskip(SKIP_1) | instid1(VALU_DEP_2)
	v_bfe_u32 v3, v2, 16, 1
	v_cmp_o_f32_e32 vcc_lo, v2, v2
	v_add3_u32 v3, v2, v3, 0x7fff
	s_delay_alu instid0(VALU_DEP_1) | instskip(NEXT) | instid1(VALU_DEP_1)
	v_lshrrev_b32_e32 v3, 16, v3
	v_cndmask_b32_e32 v2, 0x7fc0, v3, vcc_lo
	global_store_b16 v[4:5], v2, off
.LBB11_1000:
	s_mov_b32 s2, 0
.LBB11_1001:
	s_delay_alu instid0(SALU_CYCLE_1)
	s_and_b32 vcc_lo, exec_lo, s2
	s_cbranch_vccz .LBB11_1004
; %bb.1002:
	v_cmp_eq_u16_e32 vcc_lo, 11, v6
	s_mov_b32 s0, -1
	s_cbranch_vccz .LBB11_1004
; %bb.1003:
	v_cmp_neq_f64_e32 vcc_lo, 0, v[0:1]
	s_mov_b32 s1, -1
	s_mov_b32 s0, 0
	v_cndmask_b32_e64 v2, 0, 1, vcc_lo
	global_store_b8 v[4:5], v2, off
.LBB11_1004:
.LBB11_1005:
	s_and_not1_b32 vcc_lo, exec_lo, s1
	s_cbranch_vccnz .LBB11_919
.LBB11_1006:
	v_add_nc_u32_e32 v32, 0x80, v32
	s_mov_b32 s1, -1
.LBB11_1007:
	s_and_not1_b32 s2, s46, exec_lo
	s_and_b32 s0, s0, exec_lo
	s_delay_alu instid0(SALU_CYCLE_1)
	s_or_b32 s49, s2, s0
	s_or_not1_b32 s2, s1, exec_lo
.LBB11_1008:
	s_or_b32 exec_lo, exec_lo, s48
	s_mov_b32 s0, 0
	s_mov_b32 s1, 0
                                        ; implicit-def: $vgpr6
                                        ; implicit-def: $vgpr4_vgpr5
                                        ; implicit-def: $vgpr0_vgpr1
	s_and_saveexec_b32 s48, s2
	s_cbranch_execz .LBB11_1100
; %bb.1009:
	v_cmp_gt_i32_e32 vcc_lo, s41, v32
	s_mov_b32 s2, s49
                                        ; implicit-def: $vgpr6
                                        ; implicit-def: $vgpr4_vgpr5
                                        ; implicit-def: $vgpr0_vgpr1
	s_and_saveexec_b32 s41, vcc_lo
	s_cbranch_execz .LBB11_1099
; %bb.1010:
	s_and_not1_b32 vcc_lo, exec_lo, s38
	s_cbranch_vccnz .LBB11_1015
; %bb.1011:
	v_dual_mov_b32 v31, 0 :: v_dual_mov_b32 v2, 0
	s_and_not1_b32 vcc_lo, exec_lo, s43
	s_mov_b32 s4, 0
	s_cbranch_vccnz .LBB11_1020
; %bb.1012:
	v_mov_b32_e32 v31, 0
	s_add_i32 s42, s42, 1
	s_cmp_eq_u32 s36, 2
	s_mov_b32 s2, 0
	s_cbranch_scc1 .LBB11_1016
; %bb.1013:
	v_dual_mov_b32 v2, 0 :: v_dual_mov_b32 v31, 0
	v_mov_b32_e32 v0, v32
	s_and_b32 s2, s42, 28
	s_mov_b32 s3, 0
	s_mov_b64 s[0:1], s[14:15]
.LBB11_1014:                            ; =>This Inner Loop Header: Depth=1
	s_clause 0x1
	s_load_b256 s[52:59], s[0:1], 0x4
	s_load_b128 s[8:11], s[0:1], 0x24
	s_load_b256 s[60:67], s[34:35], 0x0
	s_add_u32 s0, s0, 48
	s_addc_u32 s1, s1, 0
	s_add_i32 s3, s3, 4
	s_add_u32 s34, s34, 32
	s_addc_u32 s35, s35, 0
	s_cmp_eq_u32 s2, s3
	s_waitcnt lgkmcnt(0)
	v_mul_hi_u32 v1, s53, v0
	s_delay_alu instid0(VALU_DEP_1) | instskip(NEXT) | instid1(VALU_DEP_1)
	v_add_nc_u32_e32 v1, v0, v1
	v_lshrrev_b32_e32 v1, s54, v1
	s_delay_alu instid0(VALU_DEP_1) | instskip(SKIP_1) | instid1(VALU_DEP_2)
	v_mul_hi_u32 v3, s56, v1
	v_mul_lo_u32 v5, v1, s52
	v_add_nc_u32_e32 v3, v1, v3
	s_delay_alu instid0(VALU_DEP_2) | instskip(NEXT) | instid1(VALU_DEP_2)
	v_sub_nc_u32_e32 v0, v0, v5
	v_lshrrev_b32_e32 v3, s57, v3
	s_delay_alu instid0(VALU_DEP_2) | instskip(SKIP_1) | instid1(VALU_DEP_3)
	v_mul_lo_u32 v5, v0, s60
	v_mul_lo_u32 v7, v0, s61
	v_mul_hi_u32 v4, s59, v3
	s_delay_alu instid0(VALU_DEP_1) | instskip(NEXT) | instid1(VALU_DEP_1)
	v_add_nc_u32_e32 v4, v3, v4
	v_lshrrev_b32_e32 v4, s8, v4
	s_delay_alu instid0(VALU_DEP_1) | instskip(SKIP_1) | instid1(VALU_DEP_2)
	v_mul_hi_u32 v6, s10, v4
	v_mul_lo_u32 v8, v4, s58
	v_add_nc_u32_e32 v0, v4, v6
	v_mul_lo_u32 v6, v3, s55
	s_delay_alu instid0(VALU_DEP_3) | instskip(NEXT) | instid1(VALU_DEP_3)
	v_sub_nc_u32_e32 v3, v3, v8
	v_lshrrev_b32_e32 v0, s11, v0
	s_delay_alu instid0(VALU_DEP_2) | instskip(SKIP_2) | instid1(VALU_DEP_4)
	v_mul_lo_u32 v8, v3, s64
	v_mul_lo_u32 v3, v3, s65
	v_sub_nc_u32_e32 v1, v1, v6
	v_mul_lo_u32 v9, v0, s9
	s_delay_alu instid0(VALU_DEP_2) | instskip(SKIP_1) | instid1(VALU_DEP_3)
	v_mul_lo_u32 v6, v1, s62
	v_mul_lo_u32 v1, v1, s63
	v_sub_nc_u32_e32 v4, v4, v9
	s_delay_alu instid0(VALU_DEP_3) | instskip(NEXT) | instid1(VALU_DEP_2)
	v_add3_u32 v5, v5, v31, v6
	v_mul_lo_u32 v9, v4, s66
	v_mul_lo_u32 v4, v4, s67
	v_add3_u32 v1, v7, v2, v1
	s_delay_alu instid0(VALU_DEP_3) | instskip(NEXT) | instid1(VALU_DEP_2)
	v_add3_u32 v31, v8, v5, v9
	v_add3_u32 v2, v3, v1, v4
	s_cbranch_scc0 .LBB11_1014
	s_branch .LBB11_1017
.LBB11_1015:
	s_mov_b32 s4, -1
                                        ; implicit-def: $vgpr31
                                        ; implicit-def: $vgpr2
	s_branch .LBB11_1020
.LBB11_1016:
	v_mov_b32_e32 v0, v32
	v_mov_b32_e32 v2, 0
.LBB11_1017:
	s_and_b32 s5, s42, 3
	s_delay_alu instid0(SALU_CYCLE_1)
	s_cmp_eq_u32 s5, 0
	s_cbranch_scc1 .LBB11_1020
; %bb.1018:
	s_lshl_b32 s0, s2, 3
	s_mul_i32 s2, s2, 12
	s_add_u32 s0, s0, s14
	s_addc_u32 s1, s15, 0
	s_add_u32 s0, s0, 0xc4
	s_addc_u32 s1, s1, 0
	;; [unrolled: 2-line block ×3, first 2 shown]
.LBB11_1019:                            ; =>This Inner Loop Header: Depth=1
	s_clause 0x1
	s_load_b64 s[6:7], s[2:3], 0x4
	s_load_b32 s10, s[2:3], 0xc
	s_load_b64 s[8:9], s[0:1], 0x0
	s_add_u32 s2, s2, 12
	s_addc_u32 s3, s3, 0
	s_add_u32 s0, s0, 8
	s_addc_u32 s1, s1, 0
	s_add_i32 s5, s5, -1
	s_delay_alu instid0(SALU_CYCLE_1) | instskip(SKIP_2) | instid1(VALU_DEP_1)
	s_cmp_lg_u32 s5, 0
	s_waitcnt lgkmcnt(0)
	v_mul_hi_u32 v1, s7, v0
	v_add_nc_u32_e32 v1, v0, v1
	s_delay_alu instid0(VALU_DEP_1) | instskip(NEXT) | instid1(VALU_DEP_1)
	v_lshrrev_b32_e32 v1, s10, v1
	v_mul_lo_u32 v3, v1, s6
	s_delay_alu instid0(VALU_DEP_1) | instskip(NEXT) | instid1(VALU_DEP_1)
	v_sub_nc_u32_e32 v0, v0, v3
	v_mad_u64_u32 v[3:4], null, v0, s8, v[31:32]
	s_delay_alu instid0(VALU_DEP_1) | instskip(SKIP_1) | instid1(VALU_DEP_2)
	v_mad_u64_u32 v[4:5], null, v0, s9, v[2:3]
	v_dual_mov_b32 v0, v1 :: v_dual_mov_b32 v31, v3
	v_mov_b32_e32 v2, v4
	s_cbranch_scc1 .LBB11_1019
.LBB11_1020:
	s_and_not1_b32 vcc_lo, exec_lo, s4
	s_cbranch_vccnz .LBB11_1023
; %bb.1021:
	s_waitcnt lgkmcnt(0)
	v_mul_hi_u32 v0, s25, v32
	s_and_not1_b32 vcc_lo, exec_lo, s40
	s_delay_alu instid0(VALU_DEP_1) | instskip(NEXT) | instid1(VALU_DEP_1)
	v_add_nc_u32_e32 v0, v32, v0
	v_lshrrev_b32_e32 v0, s26, v0
	s_delay_alu instid0(VALU_DEP_1) | instskip(NEXT) | instid1(VALU_DEP_1)
	v_mul_lo_u32 v1, v0, s24
	v_sub_nc_u32_e32 v1, v32, v1
	s_delay_alu instid0(VALU_DEP_1)
	v_mul_lo_u32 v31, v1, s20
	v_mul_lo_u32 v2, v1, s21
	s_cbranch_vccnz .LBB11_1023
; %bb.1022:
	v_mul_hi_u32 v1, s28, v0
	s_delay_alu instid0(VALU_DEP_1) | instskip(NEXT) | instid1(VALU_DEP_1)
	v_add_nc_u32_e32 v1, v0, v1
	v_lshrrev_b32_e32 v1, s29, v1
	s_delay_alu instid0(VALU_DEP_1) | instskip(NEXT) | instid1(VALU_DEP_1)
	v_mul_lo_u32 v1, v1, s27
	v_sub_nc_u32_e32 v5, v0, v1
	s_delay_alu instid0(VALU_DEP_1) | instskip(SKIP_1) | instid1(VALU_DEP_1)
	v_mad_u64_u32 v[0:1], null, v5, s22, v[31:32]
	v_mad_u64_u32 v[3:4], null, v5, s23, v[2:3]
	v_dual_mov_b32 v31, v0 :: v_dual_mov_b32 v2, v3
.LBB11_1023:
	s_waitcnt lgkmcnt(0)
	v_dual_mov_b32 v0, s18 :: v_dual_mov_b32 v1, s19
	v_mov_b32_e32 v3, v30
	s_getpc_b64 s[0:1]
	s_add_u32 s0, s0, _ZN2at6native6invokeIZZZNS0_12_GLOBAL__N_137scaled_modified_bessel_k1_kernel_cudaERNS_18TensorIteratorBaseEENKUlvE_clEvENKUlvE_clEvEUldE_j15function_traitsIS7_EEENT1_11result_typeERKT_PrKPcPKT0_PKN3c1010ScalarTypeEi@rel32@lo+4
	s_addc_u32 s1, s1, _ZN2at6native6invokeIZZZNS0_12_GLOBAL__N_137scaled_modified_bessel_k1_kernel_cudaERNS_18TensorIteratorBaseEENKUlvE_clEvENKUlvE_clEvEUldE_j15function_traitsIS7_EEENT1_11result_typeERKT_PrKPcPKT0_PKN3c1010ScalarTypeEi@rel32@hi+12
	s_delay_alu instid0(SALU_CYCLE_1) | instskip(SKIP_2) | instid1(VALU_DEP_1)
	s_swappc_b64 s[30:31], s[0:1]
	v_and_b32_e32 v6, 0xff, v33
	v_add_co_u32 v4, s0, s16, v31
	v_add_co_ci_u32_e64 v5, null, s17, 0, s0
	s_delay_alu instid0(VALU_DEP_3)
	v_cmp_gt_i16_e32 vcc_lo, 11, v6
	s_mov_b32 s2, 0
	s_mov_b32 s1, -1
	s_mov_b32 s0, s49
	s_cbranch_vccnz .LBB11_1098
; %bb.1024:
	v_cmp_lt_i16_e32 vcc_lo, 25, v6
	s_mov_b32 s0, s49
	s_cbranch_vccz .LBB11_1057
; %bb.1025:
	v_cmp_lt_i16_e32 vcc_lo, 28, v6
	s_mov_b32 s0, s49
	s_cbranch_vccz .LBB11_1041
	;; [unrolled: 4-line block ×4, first 2 shown]
; %bb.1028:
	v_cmp_eq_u16_e32 vcc_lo, 46, v6
	s_mov_b32 s0, -1
	s_cbranch_vccz .LBB11_1030
; %bb.1029:
	v_cvt_f32_f64_e32 v2, v[0:1]
	s_mov_b32 s0, 0
	s_delay_alu instid0(VALU_DEP_1) | instskip(SKIP_1) | instid1(VALU_DEP_2)
	v_bfe_u32 v3, v2, 16, 1
	v_cmp_o_f32_e32 vcc_lo, v2, v2
	v_add3_u32 v3, v2, v3, 0x7fff
	s_delay_alu instid0(VALU_DEP_1) | instskip(NEXT) | instid1(VALU_DEP_1)
	v_lshrrev_b32_e32 v3, 16, v3
	v_cndmask_b32_e32 v2, 0x7fc0, v3, vcc_lo
	global_store_b32 v[4:5], v2, off
.LBB11_1030:
	s_mov_b32 s1, 0
.LBB11_1031:
	s_delay_alu instid0(SALU_CYCLE_1)
	s_and_b32 vcc_lo, exec_lo, s1
	s_cbranch_vccz .LBB11_1036
; %bb.1032:
	v_cmp_eq_u16_e32 vcc_lo, 44, v6
	s_mov_b32 s0, -1
	s_cbranch_vccz .LBB11_1036
; %bb.1033:
	v_cvt_f32_f64_e32 v2, v[0:1]
	v_mov_b32_e32 v3, 0xff
	s_mov_b32 s1, exec_lo
	s_delay_alu instid0(VALU_DEP_2) | instskip(NEXT) | instid1(VALU_DEP_1)
	v_bfe_u32 v7, v2, 23, 8
	v_cmpx_ne_u32_e32 0xff, v7
; %bb.1034:
	v_and_b32_e32 v3, 0x400000, v2
	v_and_or_b32 v7, 0x3fffff, v2, v7
	v_lshrrev_b32_e32 v2, 23, v2
	s_delay_alu instid0(VALU_DEP_3) | instskip(NEXT) | instid1(VALU_DEP_3)
	v_cmp_ne_u32_e32 vcc_lo, 0, v3
	v_cmp_ne_u32_e64 s0, 0, v7
	s_delay_alu instid0(VALU_DEP_1) | instskip(NEXT) | instid1(SALU_CYCLE_1)
	s_and_b32 s0, vcc_lo, s0
	v_cndmask_b32_e64 v3, 0, 1, s0
	s_delay_alu instid0(VALU_DEP_1)
	v_add_nc_u32_e32 v3, v2, v3
; %bb.1035:
	s_or_b32 exec_lo, exec_lo, s1
	s_mov_b32 s0, 0
	global_store_b8 v[4:5], v3, off
.LBB11_1036:
	s_mov_b32 s1, 0
.LBB11_1037:
	s_delay_alu instid0(SALU_CYCLE_1)
	s_and_b32 vcc_lo, exec_lo, s1
	s_cbranch_vccz .LBB11_1040
; %bb.1038:
	v_cmp_eq_u16_e32 vcc_lo, 29, v6
	s_mov_b32 s0, -1
	s_cbranch_vccz .LBB11_1040
; %bb.1039:
	v_trunc_f64_e32 v[2:3], v[0:1]
	s_mov_b32 s0, 0
	s_delay_alu instid0(VALU_DEP_1) | instskip(NEXT) | instid1(VALU_DEP_1)
	v_ldexp_f64 v[7:8], v[2:3], 0xffffffe0
	v_floor_f64_e32 v[7:8], v[7:8]
	s_delay_alu instid0(VALU_DEP_1) | instskip(SKIP_1) | instid1(VALU_DEP_2)
	v_fma_f64 v[2:3], 0xc1f00000, v[7:8], v[2:3]
	v_cvt_u32_f64_e32 v8, v[7:8]
	v_cvt_u32_f64_e32 v7, v[2:3]
	global_store_b64 v[4:5], v[7:8], off
.LBB11_1040:
	s_mov_b32 s1, 0
.LBB11_1041:
	s_delay_alu instid0(SALU_CYCLE_1)
	s_and_b32 vcc_lo, exec_lo, s1
	s_cbranch_vccz .LBB11_1056
; %bb.1042:
	v_cmp_gt_i16_e32 vcc_lo, 27, v6
	s_mov_b32 s1, -1
	s_cbranch_vccnz .LBB11_1048
; %bb.1043:
	v_cmp_lt_i16_e32 vcc_lo, 27, v6
	s_cbranch_vccz .LBB11_1045
; %bb.1044:
	v_cvt_u32_f64_e32 v2, v[0:1]
	s_mov_b32 s1, 0
	global_store_b32 v[4:5], v2, off
.LBB11_1045:
	s_and_not1_b32 vcc_lo, exec_lo, s1
	s_cbranch_vccnz .LBB11_1047
; %bb.1046:
	v_cvt_u32_f64_e32 v2, v[0:1]
	global_store_b16 v[4:5], v2, off
.LBB11_1047:
	s_mov_b32 s1, 0
.LBB11_1048:
	s_delay_alu instid0(SALU_CYCLE_1)
	s_and_not1_b32 vcc_lo, exec_lo, s1
	s_cbranch_vccnz .LBB11_1056
; %bb.1049:
	v_cvt_f32_f64_e32 v2, v[0:1]
	v_mov_b32_e32 v7, 0x80
	s_mov_b32 s1, exec_lo
	s_delay_alu instid0(VALU_DEP_2) | instskip(NEXT) | instid1(VALU_DEP_1)
	v_and_b32_e32 v3, 0x7fffffff, v2
	v_cmpx_gt_u32_e32 0x43800000, v3
	s_cbranch_execz .LBB11_1055
; %bb.1050:
	v_cmp_lt_u32_e32 vcc_lo, 0x3bffffff, v3
                                        ; implicit-def: $vgpr3
	s_and_saveexec_b32 s3, vcc_lo
	s_delay_alu instid0(SALU_CYCLE_1)
	s_xor_b32 s3, exec_lo, s3
	s_cbranch_execz .LBB11_1118
; %bb.1051:
	v_bfe_u32 v3, v2, 20, 1
	s_mov_b32 s2, exec_lo
	s_delay_alu instid0(VALU_DEP_1) | instskip(NEXT) | instid1(VALU_DEP_1)
	v_add3_u32 v3, v2, v3, 0x487ffff
	v_lshrrev_b32_e32 v3, 20, v3
	s_or_saveexec_b32 s3, s3
                                        ; implicit-def: $sgpr4
	s_delay_alu instid0(SALU_CYCLE_1)
	s_xor_b32 exec_lo, exec_lo, s3
	s_cbranch_execnz .LBB11_1119
.LBB11_1052:
	s_or_b32 exec_lo, exec_lo, s3
	v_mov_b32_e32 v7, s4
	s_and_saveexec_b32 s3, s2
.LBB11_1053:
	v_lshrrev_b32_e32 v2, 24, v2
	s_delay_alu instid0(VALU_DEP_1)
	v_and_or_b32 v7, 0x80, v2, v3
.LBB11_1054:
	s_or_b32 exec_lo, exec_lo, s3
.LBB11_1055:
	s_delay_alu instid0(SALU_CYCLE_1)
	s_or_b32 exec_lo, exec_lo, s1
	global_store_b8 v[4:5], v7, off
.LBB11_1056:
	s_mov_b32 s1, 0
.LBB11_1057:
	s_delay_alu instid0(SALU_CYCLE_1)
	s_and_b32 vcc_lo, exec_lo, s1
	s_mov_b32 s1, 0
	s_cbranch_vccz .LBB11_1097
; %bb.1058:
	v_cmp_lt_i16_e32 vcc_lo, 22, v6
	s_mov_b32 s2, -1
	s_cbranch_vccz .LBB11_1090
; %bb.1059:
	v_cmp_gt_i16_e32 vcc_lo, 24, v6
	s_cbranch_vccnz .LBB11_1079
; %bb.1060:
	v_cmp_lt_i16_e32 vcc_lo, 24, v6
	s_cbranch_vccz .LBB11_1068
; %bb.1061:
	v_cvt_f32_f64_e32 v2, v[0:1]
	v_mov_b32_e32 v7, 0x80
	s_mov_b32 s2, exec_lo
	s_delay_alu instid0(VALU_DEP_2) | instskip(NEXT) | instid1(VALU_DEP_1)
	v_and_b32_e32 v3, 0x7fffffff, v2
	v_cmpx_gt_u32_e32 0x47800000, v3
	s_cbranch_execz .LBB11_1067
; %bb.1062:
	v_cmp_lt_u32_e32 vcc_lo, 0x37ffffff, v3
	s_mov_b32 s3, 0
                                        ; implicit-def: $vgpr3
	s_and_saveexec_b32 s4, vcc_lo
	s_delay_alu instid0(SALU_CYCLE_1)
	s_xor_b32 s4, exec_lo, s4
	s_cbranch_execz .LBB11_1124
; %bb.1063:
	v_bfe_u32 v3, v2, 21, 1
	s_mov_b32 s3, exec_lo
	s_delay_alu instid0(VALU_DEP_1) | instskip(NEXT) | instid1(VALU_DEP_1)
	v_add3_u32 v3, v2, v3, 0x88fffff
	v_lshrrev_b32_e32 v3, 21, v3
	s_or_saveexec_b32 s4, s4
                                        ; implicit-def: $sgpr5
	s_delay_alu instid0(SALU_CYCLE_1)
	s_xor_b32 exec_lo, exec_lo, s4
	s_cbranch_execnz .LBB11_1125
.LBB11_1064:
	s_or_b32 exec_lo, exec_lo, s4
	v_mov_b32_e32 v7, s5
	s_and_saveexec_b32 s4, s3
.LBB11_1065:
	v_lshrrev_b32_e32 v2, 24, v2
	s_delay_alu instid0(VALU_DEP_1)
	v_and_or_b32 v7, 0x80, v2, v3
.LBB11_1066:
	s_or_b32 exec_lo, exec_lo, s4
.LBB11_1067:
	s_delay_alu instid0(SALU_CYCLE_1)
	s_or_b32 exec_lo, exec_lo, s2
	s_mov_b32 s2, 0
	global_store_b8 v[4:5], v7, off
.LBB11_1068:
	s_and_b32 vcc_lo, exec_lo, s2
	s_cbranch_vccz .LBB11_1078
; %bb.1069:
	v_cvt_f32_f64_e32 v2, v[0:1]
	s_mov_b32 s2, exec_lo
                                        ; implicit-def: $vgpr3
	s_delay_alu instid0(VALU_DEP_1) | instskip(NEXT) | instid1(VALU_DEP_1)
	v_and_b32_e32 v7, 0x7fffffff, v2
	v_cmpx_gt_u32_e32 0x43f00000, v7
	s_xor_b32 s2, exec_lo, s2
	s_cbranch_execz .LBB11_1075
; %bb.1070:
	s_mov_b32 s3, exec_lo
                                        ; implicit-def: $vgpr3
	v_cmpx_lt_u32_e32 0x3c7fffff, v7
	s_xor_b32 s3, exec_lo, s3
; %bb.1071:
	v_bfe_u32 v3, v2, 20, 1
	s_delay_alu instid0(VALU_DEP_1) | instskip(NEXT) | instid1(VALU_DEP_1)
	v_add3_u32 v3, v2, v3, 0x407ffff
	v_and_b32_e32 v7, 0xff00000, v3
	v_lshrrev_b32_e32 v3, 20, v3
	s_delay_alu instid0(VALU_DEP_2) | instskip(NEXT) | instid1(VALU_DEP_2)
	v_cmp_ne_u32_e32 vcc_lo, 0x7f00000, v7
	v_cndmask_b32_e32 v3, 0x7e, v3, vcc_lo
; %bb.1072:
	s_and_not1_saveexec_b32 s3, s3
; %bb.1073:
	v_add_f32_e64 v3, 0x46800000, |v2|
; %bb.1074:
	s_or_b32 exec_lo, exec_lo, s3
                                        ; implicit-def: $vgpr7
.LBB11_1075:
	s_and_not1_saveexec_b32 s2, s2
; %bb.1076:
	v_mov_b32_e32 v3, 0x7f
	v_cmp_lt_u32_e32 vcc_lo, 0x7f800000, v7
	s_delay_alu instid0(VALU_DEP_2)
	v_cndmask_b32_e32 v3, 0x7e, v3, vcc_lo
; %bb.1077:
	s_or_b32 exec_lo, exec_lo, s2
	v_lshrrev_b32_e32 v2, 24, v2
	s_delay_alu instid0(VALU_DEP_1)
	v_and_or_b32 v2, 0x80, v2, v3
	global_store_b8 v[4:5], v2, off
.LBB11_1078:
	s_mov_b32 s2, 0
.LBB11_1079:
	s_delay_alu instid0(SALU_CYCLE_1)
	s_and_not1_b32 vcc_lo, exec_lo, s2
	s_cbranch_vccnz .LBB11_1089
; %bb.1080:
	v_cvt_f32_f64_e32 v2, v[0:1]
	s_mov_b32 s2, exec_lo
                                        ; implicit-def: $vgpr3
	s_delay_alu instid0(VALU_DEP_1) | instskip(NEXT) | instid1(VALU_DEP_1)
	v_and_b32_e32 v7, 0x7fffffff, v2
	v_cmpx_gt_u32_e32 0x47800000, v7
	s_xor_b32 s2, exec_lo, s2
	s_cbranch_execz .LBB11_1086
; %bb.1081:
	s_mov_b32 s3, exec_lo
                                        ; implicit-def: $vgpr3
	v_cmpx_lt_u32_e32 0x387fffff, v7
	s_xor_b32 s3, exec_lo, s3
; %bb.1082:
	v_bfe_u32 v3, v2, 21, 1
	s_delay_alu instid0(VALU_DEP_1) | instskip(NEXT) | instid1(VALU_DEP_1)
	v_add3_u32 v3, v2, v3, 0x80fffff
	v_lshrrev_b32_e32 v3, 21, v3
; %bb.1083:
	s_and_not1_saveexec_b32 s3, s3
; %bb.1084:
	v_add_f32_e64 v3, 0x43000000, |v2|
; %bb.1085:
	s_or_b32 exec_lo, exec_lo, s3
                                        ; implicit-def: $vgpr7
.LBB11_1086:
	s_and_not1_saveexec_b32 s2, s2
; %bb.1087:
	v_mov_b32_e32 v3, 0x7f
	v_cmp_lt_u32_e32 vcc_lo, 0x7f800000, v7
	s_delay_alu instid0(VALU_DEP_2)
	v_cndmask_b32_e32 v3, 0x7c, v3, vcc_lo
; %bb.1088:
	s_or_b32 exec_lo, exec_lo, s2
	v_lshrrev_b32_e32 v2, 24, v2
	s_delay_alu instid0(VALU_DEP_1)
	v_and_or_b32 v2, 0x80, v2, v3
	global_store_b8 v[4:5], v2, off
.LBB11_1089:
	s_mov_b32 s2, 0
.LBB11_1090:
	s_delay_alu instid0(SALU_CYCLE_1)
	s_and_not1_b32 vcc_lo, exec_lo, s2
	s_mov_b32 s2, 0
	s_cbranch_vccnz .LBB11_1098
; %bb.1091:
	v_cmp_lt_i16_e32 vcc_lo, 14, v6
	s_mov_b32 s2, -1
	s_cbranch_vccz .LBB11_1095
; %bb.1092:
	v_cmp_eq_u16_e32 vcc_lo, 15, v6
	s_mov_b32 s0, -1
	s_cbranch_vccz .LBB11_1094
; %bb.1093:
	v_cvt_f32_f64_e32 v2, v[0:1]
	s_mov_b32 s0, 0
	s_delay_alu instid0(VALU_DEP_1) | instskip(SKIP_1) | instid1(VALU_DEP_2)
	v_bfe_u32 v3, v2, 16, 1
	v_cmp_o_f32_e32 vcc_lo, v2, v2
	v_add3_u32 v3, v2, v3, 0x7fff
	s_delay_alu instid0(VALU_DEP_1) | instskip(NEXT) | instid1(VALU_DEP_1)
	v_lshrrev_b32_e32 v3, 16, v3
	v_cndmask_b32_e32 v2, 0x7fc0, v3, vcc_lo
	global_store_b16 v[4:5], v2, off
.LBB11_1094:
	s_mov_b32 s2, 0
.LBB11_1095:
	s_delay_alu instid0(SALU_CYCLE_1)
	s_and_b32 vcc_lo, exec_lo, s2
	s_mov_b32 s2, 0
	s_cbranch_vccz .LBB11_1098
; %bb.1096:
	v_cmp_ne_u16_e32 vcc_lo, 11, v6
	s_and_not1_b32 s0, s0, exec_lo
	s_mov_b32 s2, -1
	s_and_b32 s3, vcc_lo, exec_lo
	s_delay_alu instid0(SALU_CYCLE_1)
	s_or_b32 s0, s0, s3
	s_branch .LBB11_1098
.LBB11_1097:
	s_mov_b32 s2, 0
.LBB11_1098:
	s_and_not1_b32 s3, s49, exec_lo
	s_and_b32 s4, s0, exec_lo
	s_and_b32 s1, s1, exec_lo
	;; [unrolled: 1-line block ×3, first 2 shown]
	s_or_b32 s2, s3, s4
.LBB11_1099:
	s_or_b32 exec_lo, exec_lo, s41
	s_delay_alu instid0(SALU_CYCLE_1)
	s_and_not1_b32 s3, s49, exec_lo
	s_and_b32 s2, s2, exec_lo
	s_and_b32 s1, s1, exec_lo
	;; [unrolled: 1-line block ×3, first 2 shown]
	s_or_b32 s49, s3, s2
.LBB11_1100:
	s_or_b32 exec_lo, exec_lo, s48
	s_delay_alu instid0(SALU_CYCLE_1)
	s_and_not1_b32 s2, s46, exec_lo
	s_and_b32 s3, s49, exec_lo
	s_and_b32 s1, s1, exec_lo
	;; [unrolled: 1-line block ×3, first 2 shown]
	s_or_b32 s46, s2, s3
.LBB11_1101:
	s_or_b32 exec_lo, exec_lo, s47
	s_delay_alu instid0(SALU_CYCLE_1)
	s_and_not1_b32 s2, s44, exec_lo
	s_and_b32 s3, s46, exec_lo
	s_and_b32 s1, s1, exec_lo
	s_and_b32 s46, s0, exec_lo
	s_or_b32 s44, s2, s3
	s_or_b32 exec_lo, exec_lo, s45
	s_mov_b32 s0, 0
	s_and_saveexec_b32 s2, s44
	s_cbranch_execz .LBB11_142
.LBB11_1102:
	s_cbranch_execnz .LBB11_1104
; %bb.1103:
	s_mov_b32 s0, exec_lo
	s_and_not1_b32 s46, s46, exec_lo
	s_or_b32 exec_lo, exec_lo, s2
	s_and_saveexec_b32 s2, s46
	s_delay_alu instid0(SALU_CYCLE_1)
	s_xor_b32 s2, exec_lo, s2
	s_cbranch_execnz .LBB11_143
	s_branch .LBB11_144
.LBB11_1104:
	s_trap 2
	s_sendmsg_rtn_b32 s0, sendmsg(MSG_RTN_GET_DOORBELL)
	s_mov_b32 ttmp2, m0
	s_waitcnt lgkmcnt(0)
	s_and_b32 s0, s0, 0x3ff
	s_delay_alu instid0(SALU_CYCLE_1) | instskip(NEXT) | instid1(SALU_CYCLE_1)
	s_bitset1_b32 s0, 10
	s_mov_b32 m0, s0
	s_sendmsg sendmsg(MSG_INTERRUPT)
	s_mov_b32 m0, ttmp2
.LBB11_1105:                            ; =>This Inner Loop Header: Depth=1
	s_sethalt 5
	s_branch .LBB11_1105
.LBB11_1106:
	s_or_saveexec_b32 s3, s3
                                        ; implicit-def: $sgpr4
	s_delay_alu instid0(SALU_CYCLE_1)
	s_xor_b32 exec_lo, exec_lo, s3
	s_cbranch_execz .LBB11_957
.LBB11_1107:
	v_add_f32_e64 v3, 0x46000000, |v2|
	s_and_not1_b32 s2, s2, exec_lo
	s_mov_b32 s4, 0
	s_delay_alu instid0(VALU_DEP_1) | instskip(NEXT) | instid1(VALU_DEP_1)
	v_and_b32_e32 v3, 0xff, v3
	v_cmp_ne_u32_e32 vcc_lo, 0, v3
	s_and_b32 s5, vcc_lo, exec_lo
	s_delay_alu instid0(SALU_CYCLE_1)
	s_or_b32 s2, s2, s5
	s_or_b32 exec_lo, exec_lo, s3
	v_mov_b32_e32 v7, s4
	s_and_saveexec_b32 s3, s2
	s_cbranch_execnz .LBB11_958
	s_branch .LBB11_959
.LBB11_1108:
	s_or_saveexec_b32 s4, s4
                                        ; implicit-def: $sgpr5
	s_delay_alu instid0(SALU_CYCLE_1)
	s_xor_b32 exec_lo, exec_lo, s4
	s_cbranch_execz .LBB11_513
.LBB11_1109:
	v_add_f32_e64 v5, 0x42800000, |v4|
	s_and_not1_b32 s3, s3, exec_lo
	s_mov_b32 s5, 0
	s_delay_alu instid0(VALU_DEP_1) | instskip(NEXT) | instid1(VALU_DEP_1)
	v_and_b32_e32 v5, 0xff, v5
	v_cmp_ne_u32_e32 vcc_lo, 0, v5
	s_and_b32 s6, vcc_lo, exec_lo
	s_delay_alu instid0(SALU_CYCLE_1)
	s_or_b32 s3, s3, s6
	s_or_b32 exec_lo, exec_lo, s4
	v_mov_b32_e32 v7, s5
	s_and_saveexec_b32 s4, s3
	s_cbranch_execnz .LBB11_514
	s_branch .LBB11_515
.LBB11_1110:
	s_or_saveexec_b32 s5, s5
                                        ; implicit-def: $sgpr6
	s_delay_alu instid0(SALU_CYCLE_1)
	s_xor_b32 exec_lo, exec_lo, s5
	s_cbranch_execz .LBB11_619
.LBB11_1111:
	v_add_f32_e64 v3, 0x46000000, |v2|
	s_and_not1_b32 s4, s4, exec_lo
	s_mov_b32 s6, 0
	s_delay_alu instid0(VALU_DEP_1) | instskip(NEXT) | instid1(VALU_DEP_1)
	v_and_b32_e32 v3, 0xff, v3
	v_cmp_ne_u32_e32 vcc_lo, 0, v3
	s_and_b32 s7, vcc_lo, exec_lo
	s_delay_alu instid0(SALU_CYCLE_1)
	s_or_b32 s4, s4, s7
	s_or_b32 exec_lo, exec_lo, s5
	v_mov_b32_e32 v7, s6
	s_and_saveexec_b32 s5, s4
	s_cbranch_execnz .LBB11_620
	s_branch .LBB11_621
.LBB11_1112:
	s_trap 2
	s_sendmsg_rtn_b32 s0, sendmsg(MSG_RTN_GET_DOORBELL)
	s_mov_b32 ttmp2, m0
	s_waitcnt lgkmcnt(0)
	s_and_b32 s0, s0, 0x3ff
	s_delay_alu instid0(SALU_CYCLE_1) | instskip(NEXT) | instid1(SALU_CYCLE_1)
	s_bitset1_b32 s0, 10
	s_mov_b32 m0, s0
	s_sendmsg sendmsg(MSG_INTERRUPT)
	s_mov_b32 m0, ttmp2
.LBB11_1113:                            ; =>This Inner Loop Header: Depth=1
	s_sethalt 5
	s_branch .LBB11_1113
.LBB11_1114:
	s_cbranch_execnz .LBB11_1122
; %bb.1115:
	s_mov_b32 s2, 0
	s_or_b32 s1, s1, exec_lo
	s_branch .LBB11_665
.LBB11_1116:
	s_or_saveexec_b32 s3, s3
                                        ; implicit-def: $sgpr4
	s_delay_alu instid0(SALU_CYCLE_1)
	s_xor_b32 exec_lo, exec_lo, s3
	s_cbranch_execz .LBB11_970
.LBB11_1117:
	v_add_f32_e64 v3, 0x42800000, |v2|
	s_and_not1_b32 s2, s2, exec_lo
	s_mov_b32 s4, 0
	s_delay_alu instid0(VALU_DEP_1) | instskip(NEXT) | instid1(VALU_DEP_1)
	v_and_b32_e32 v3, 0xff, v3
	v_cmp_ne_u32_e32 vcc_lo, 0, v3
	s_and_b32 s5, vcc_lo, exec_lo
	s_delay_alu instid0(SALU_CYCLE_1)
	s_or_b32 s2, s2, s5
	s_or_b32 exec_lo, exec_lo, s3
	v_mov_b32_e32 v7, s4
	s_and_saveexec_b32 s3, s2
	s_cbranch_execnz .LBB11_971
	s_branch .LBB11_972
.LBB11_1118:
	s_or_saveexec_b32 s3, s3
                                        ; implicit-def: $sgpr4
	s_delay_alu instid0(SALU_CYCLE_1)
	s_xor_b32 exec_lo, exec_lo, s3
	s_cbranch_execz .LBB11_1052
.LBB11_1119:
	v_add_f32_e64 v3, 0x46000000, |v2|
	s_and_not1_b32 s2, s2, exec_lo
	s_mov_b32 s4, 0
	s_delay_alu instid0(VALU_DEP_1) | instskip(NEXT) | instid1(VALU_DEP_1)
	v_and_b32_e32 v3, 0xff, v3
	v_cmp_ne_u32_e32 vcc_lo, 0, v3
	s_and_b32 s5, vcc_lo, exec_lo
	s_delay_alu instid0(SALU_CYCLE_1)
	s_or_b32 s2, s2, s5
	s_or_b32 exec_lo, exec_lo, s3
	v_mov_b32_e32 v7, s4
	s_and_saveexec_b32 s3, s2
	s_cbranch_execnz .LBB11_1053
	s_branch .LBB11_1054
.LBB11_1120:
	s_or_saveexec_b32 s4, s4
                                        ; implicit-def: $sgpr5
	s_delay_alu instid0(SALU_CYCLE_1)
	s_xor_b32 exec_lo, exec_lo, s4
	s_cbranch_execz .LBB11_631
.LBB11_1121:
	v_add_f32_e64 v3, 0x42800000, |v2|
	s_and_not1_b32 s3, s3, exec_lo
	s_mov_b32 s5, 0
	s_delay_alu instid0(VALU_DEP_1) | instskip(NEXT) | instid1(VALU_DEP_1)
	v_and_b32_e32 v3, 0xff, v3
	v_cmp_ne_u32_e32 vcc_lo, 0, v3
	s_and_b32 s6, vcc_lo, exec_lo
	s_delay_alu instid0(SALU_CYCLE_1)
	s_or_b32 s3, s3, s6
	s_or_b32 exec_lo, exec_lo, s4
	v_mov_b32_e32 v7, s5
	s_and_saveexec_b32 s4, s3
	s_cbranch_execnz .LBB11_632
	s_branch .LBB11_633
.LBB11_1122:
	s_trap 2
	s_sendmsg_rtn_b32 s0, sendmsg(MSG_RTN_GET_DOORBELL)
	s_mov_b32 ttmp2, m0
	s_waitcnt lgkmcnt(0)
	s_and_b32 s0, s0, 0x3ff
	s_delay_alu instid0(SALU_CYCLE_1) | instskip(NEXT) | instid1(SALU_CYCLE_1)
	s_bitset1_b32 s0, 10
	s_mov_b32 m0, s0
	s_sendmsg sendmsg(MSG_INTERRUPT)
	s_mov_b32 m0, ttmp2
.LBB11_1123:                            ; =>This Inner Loop Header: Depth=1
	s_sethalt 5
	s_branch .LBB11_1123
.LBB11_1124:
	s_or_saveexec_b32 s4, s4
                                        ; implicit-def: $sgpr5
	s_delay_alu instid0(SALU_CYCLE_1)
	s_xor_b32 exec_lo, exec_lo, s4
	s_cbranch_execz .LBB11_1064
.LBB11_1125:
	v_add_f32_e64 v3, 0x42800000, |v2|
	s_and_not1_b32 s3, s3, exec_lo
	s_mov_b32 s5, 0
	s_delay_alu instid0(VALU_DEP_1) | instskip(NEXT) | instid1(VALU_DEP_1)
	v_and_b32_e32 v3, 0xff, v3
	v_cmp_ne_u32_e32 vcc_lo, 0, v3
	s_and_b32 s6, vcc_lo, exec_lo
	s_delay_alu instid0(SALU_CYCLE_1)
	s_or_b32 s3, s3, s6
	s_or_b32 exec_lo, exec_lo, s4
	v_mov_b32_e32 v7, s5
	s_and_saveexec_b32 s4, s3
	s_cbranch_execnz .LBB11_1065
	s_branch .LBB11_1066
	.section	.rodata,"a",@progbits
	.p2align	6, 0x0
	.amdhsa_kernel _ZN2at6native32elementwise_kernel_manual_unrollILi128ELi4EZNS0_15gpu_kernel_implIZZZNS0_12_GLOBAL__N_137scaled_modified_bessel_k1_kernel_cudaERNS_18TensorIteratorBaseEENKUlvE_clEvENKUlvE_clEvEUldE_EEvS5_RKT_EUlibE0_EEviT1_
		.amdhsa_group_segment_fixed_size 0
		.amdhsa_private_segment_fixed_size 0
		.amdhsa_kernarg_size 360
		.amdhsa_user_sgpr_count 15
		.amdhsa_user_sgpr_dispatch_ptr 0
		.amdhsa_user_sgpr_queue_ptr 0
		.amdhsa_user_sgpr_kernarg_segment_ptr 1
		.amdhsa_user_sgpr_dispatch_id 0
		.amdhsa_user_sgpr_private_segment_size 0
		.amdhsa_wavefront_size32 1
		.amdhsa_uses_dynamic_stack 0
		.amdhsa_enable_private_segment 0
		.amdhsa_system_sgpr_workgroup_id_x 1
		.amdhsa_system_sgpr_workgroup_id_y 0
		.amdhsa_system_sgpr_workgroup_id_z 0
		.amdhsa_system_sgpr_workgroup_info 0
		.amdhsa_system_vgpr_workitem_id 0
		.amdhsa_next_free_vgpr 42
		.amdhsa_next_free_sgpr 68
		.amdhsa_reserve_vcc 1
		.amdhsa_float_round_mode_32 0
		.amdhsa_float_round_mode_16_64 0
		.amdhsa_float_denorm_mode_32 3
		.amdhsa_float_denorm_mode_16_64 3
		.amdhsa_dx10_clamp 1
		.amdhsa_ieee_mode 1
		.amdhsa_fp16_overflow 0
		.amdhsa_workgroup_processor_mode 1
		.amdhsa_memory_ordered 1
		.amdhsa_forward_progress 0
		.amdhsa_shared_vgpr_count 0
		.amdhsa_exception_fp_ieee_invalid_op 0
		.amdhsa_exception_fp_denorm_src 0
		.amdhsa_exception_fp_ieee_div_zero 0
		.amdhsa_exception_fp_ieee_overflow 0
		.amdhsa_exception_fp_ieee_underflow 0
		.amdhsa_exception_fp_ieee_inexact 0
		.amdhsa_exception_int_div_zero 0
	.end_amdhsa_kernel
	.section	.text._ZN2at6native32elementwise_kernel_manual_unrollILi128ELi4EZNS0_15gpu_kernel_implIZZZNS0_12_GLOBAL__N_137scaled_modified_bessel_k1_kernel_cudaERNS_18TensorIteratorBaseEENKUlvE_clEvENKUlvE_clEvEUldE_EEvS5_RKT_EUlibE0_EEviT1_,"axG",@progbits,_ZN2at6native32elementwise_kernel_manual_unrollILi128ELi4EZNS0_15gpu_kernel_implIZZZNS0_12_GLOBAL__N_137scaled_modified_bessel_k1_kernel_cudaERNS_18TensorIteratorBaseEENKUlvE_clEvENKUlvE_clEvEUldE_EEvS5_RKT_EUlibE0_EEviT1_,comdat
.Lfunc_end11:
	.size	_ZN2at6native32elementwise_kernel_manual_unrollILi128ELi4EZNS0_15gpu_kernel_implIZZZNS0_12_GLOBAL__N_137scaled_modified_bessel_k1_kernel_cudaERNS_18TensorIteratorBaseEENKUlvE_clEvENKUlvE_clEvEUldE_EEvS5_RKT_EUlibE0_EEviT1_, .Lfunc_end11-_ZN2at6native32elementwise_kernel_manual_unrollILi128ELi4EZNS0_15gpu_kernel_implIZZZNS0_12_GLOBAL__N_137scaled_modified_bessel_k1_kernel_cudaERNS_18TensorIteratorBaseEENKUlvE_clEvENKUlvE_clEvEUldE_EEvS5_RKT_EUlibE0_EEviT1_
                                        ; -- End function
	.section	.AMDGPU.csdata,"",@progbits
; Kernel info:
; codeLenInByte = 24488
; NumSgprs: 70
; NumVgprs: 42
; ScratchSize: 0
; MemoryBound: 0
; FloatMode: 240
; IeeeMode: 1
; LDSByteSize: 0 bytes/workgroup (compile time only)
; SGPRBlocks: 8
; VGPRBlocks: 5
; NumSGPRsForWavesPerEU: 70
; NumVGPRsForWavesPerEU: 42
; Occupancy: 16
; WaveLimiterHint : 1
; COMPUTE_PGM_RSRC2:SCRATCH_EN: 0
; COMPUTE_PGM_RSRC2:USER_SGPR: 15
; COMPUTE_PGM_RSRC2:TRAP_HANDLER: 0
; COMPUTE_PGM_RSRC2:TGID_X_EN: 1
; COMPUTE_PGM_RSRC2:TGID_Y_EN: 0
; COMPUTE_PGM_RSRC2:TGID_Z_EN: 0
; COMPUTE_PGM_RSRC2:TIDIG_COMP_CNT: 0
	.text
	.p2align	2                               ; -- Begin function _ZN2at6native25elementwise_kernel_helperILb0EZZZNS0_12_GLOBAL__N_137scaled_modified_bessel_k1_kernel_cudaERNS_18TensorIteratorBaseEENKUlvE_clEvENKUlvE0_clEvEUlfE_NS0_6memory8policies11unroll_baseILi256ESt5arrayIPcLm2EE23TrivialOffsetCalculatorILi1EjESF_NS8_15LoadWithoutCastENS8_16StoreWithoutCastELi4ELi1EEEEEvT0_T1_
	.type	_ZN2at6native25elementwise_kernel_helperILb0EZZZNS0_12_GLOBAL__N_137scaled_modified_bessel_k1_kernel_cudaERNS_18TensorIteratorBaseEENKUlvE_clEvENKUlvE0_clEvEUlfE_NS0_6memory8policies11unroll_baseILi256ESt5arrayIPcLm2EE23TrivialOffsetCalculatorILi1EjESF_NS8_15LoadWithoutCastENS8_16StoreWithoutCastELi4ELi1EEEEEvT0_T1_,@function
_ZN2at6native25elementwise_kernel_helperILb0EZZZNS0_12_GLOBAL__N_137scaled_modified_bessel_k1_kernel_cudaERNS_18TensorIteratorBaseEENKUlvE_clEvENKUlvE0_clEvEUlfE_NS0_6memory8policies11unroll_baseILi256ESt5arrayIPcLm2EE23TrivialOffsetCalculatorILi1EjESF_NS8_15LoadWithoutCastENS8_16StoreWithoutCastELi4ELi1EEEEEvT0_T1_: ; @_ZN2at6native25elementwise_kernel_helperILb0EZZZNS0_12_GLOBAL__N_137scaled_modified_bessel_k1_kernel_cudaERNS_18TensorIteratorBaseEENKUlvE_clEvENKUlvE0_clEvEUlfE_NS0_6memory8policies11unroll_baseILi256ESt5arrayIPcLm2EE23TrivialOffsetCalculatorILi1EjESF_NS8_15LoadWithoutCastENS8_16StoreWithoutCastELi4ELi1EEEEEvT0_T1_
; %bb.0:
	s_waitcnt vmcnt(0) expcnt(0) lgkmcnt(0)
	v_dual_mov_b32 v14, 0 :: v_dual_and_b32 v11, 0x3ff, v31
	s_lshl_b32 s3, s12, 10
	v_mov_b32_e32 v15, 0
	s_delay_alu instid0(VALU_DEP_2) | instskip(SKIP_2) | instid1(VALU_DEP_3)
	v_cmp_lt_i32_e64 s0, v11, v4
	v_or_b32_e32 v9, s3, v11
	v_dual_mov_b32 v5, v11 :: v_dual_add_nc_u32 v12, 0x100, v11
	s_and_saveexec_b32 s1, s0
	s_cbranch_execz .LBB12_2
; %bb.1:
	v_mov_b32_e32 v10, 0
	s_delay_alu instid0(VALU_DEP_1) | instskip(NEXT) | instid1(VALU_DEP_1)
	v_lshlrev_b64 v[5:6], 2, v[9:10]
	v_add_co_u32 v5, vcc_lo, v2, v5
	s_delay_alu instid0(VALU_DEP_2)
	v_add_co_ci_u32_e32 v6, vcc_lo, v3, v6, vcc_lo
	flat_load_b32 v15, v[5:6]
	v_add_nc_u32_e32 v5, 0x100, v11
.LBB12_2:
	s_or_b32 exec_lo, exec_lo, s1
	s_delay_alu instid0(SALU_CYCLE_1) | instskip(NEXT) | instid1(VALU_DEP_1)
	s_mov_b32 s1, exec_lo
	v_cmpx_lt_i32_e64 v5, v4
	s_cbranch_execz .LBB12_4
; %bb.3:
	v_dual_mov_b32 v7, 0 :: v_dual_add_nc_u32 v6, s3, v5
	v_add_nc_u32_e32 v5, 0x100, v5
	s_delay_alu instid0(VALU_DEP_2) | instskip(NEXT) | instid1(VALU_DEP_1)
	v_lshlrev_b64 v[6:7], 2, v[6:7]
	v_add_co_u32 v6, vcc_lo, v2, v6
	s_delay_alu instid0(VALU_DEP_2)
	v_add_co_ci_u32_e32 v7, vcc_lo, v3, v7, vcc_lo
	flat_load_b32 v14, v[6:7]
.LBB12_4:
	s_or_b32 exec_lo, exec_lo, s1
	v_dual_mov_b32 v10, 0 :: v_dual_mov_b32 v13, 0
	s_mov_b32 s1, exec_lo
	v_cmpx_lt_i32_e64 v5, v4
	s_cbranch_execnz .LBB12_8
; %bb.5:
	s_or_b32 exec_lo, exec_lo, s1
	s_delay_alu instid0(SALU_CYCLE_1)
	s_mov_b32 s1, exec_lo
	v_cmpx_lt_i32_e64 v5, v4
	s_cbranch_execnz .LBB12_9
.LBB12_6:
	s_or_b32 exec_lo, exec_lo, s1
                                        ; implicit-def: $vgpr5_vgpr6_vgpr7_vgpr8
	s_and_saveexec_b32 s4, s0
	s_cbranch_execnz .LBB12_10
.LBB12_7:
	s_or_b32 exec_lo, exec_lo, s4
	s_delay_alu instid0(SALU_CYCLE_1)
	s_mov_b32 s4, exec_lo
	v_cmpx_lt_i32_e64 v12, v4
	s_cbranch_execnz .LBB12_23
	s_branch .LBB12_36
.LBB12_8:
	v_dual_mov_b32 v7, 0 :: v_dual_add_nc_u32 v6, s3, v5
	v_add_nc_u32_e32 v5, 0x100, v5
	s_delay_alu instid0(VALU_DEP_2) | instskip(NEXT) | instid1(VALU_DEP_1)
	v_lshlrev_b64 v[6:7], 2, v[6:7]
	v_add_co_u32 v6, vcc_lo, v2, v6
	s_delay_alu instid0(VALU_DEP_2) | instskip(SKIP_2) | instid1(SALU_CYCLE_1)
	v_add_co_ci_u32_e32 v7, vcc_lo, v3, v7, vcc_lo
	flat_load_b32 v13, v[6:7]
	s_or_b32 exec_lo, exec_lo, s1
	s_mov_b32 s1, exec_lo
	v_cmpx_lt_i32_e64 v5, v4
	s_cbranch_execz .LBB12_6
.LBB12_9:
	v_dual_mov_b32 v6, 0 :: v_dual_add_nc_u32 v5, s3, v5
	s_delay_alu instid0(VALU_DEP_1) | instskip(NEXT) | instid1(VALU_DEP_1)
	v_lshlrev_b64 v[5:6], 2, v[5:6]
	v_add_co_u32 v2, vcc_lo, v2, v5
	s_delay_alu instid0(VALU_DEP_2)
	v_add_co_ci_u32_e32 v3, vcc_lo, v3, v6, vcc_lo
	flat_load_b32 v10, v[2:3]
	s_or_b32 exec_lo, exec_lo, s1
                                        ; implicit-def: $vgpr5_vgpr6_vgpr7_vgpr8
	s_and_saveexec_b32 s4, s0
	s_cbranch_execz .LBB12_7
.LBB12_10:
	v_mov_b32_e32 v5, 0x7f800000
	s_mov_b32 s5, exec_lo
	s_waitcnt vmcnt(0) lgkmcnt(0)
	v_cmpx_neq_f32_e32 0, v15
	s_cbranch_execz .LBB12_22
; %bb.11:
	v_mov_b32_e32 v5, 0x7fc00000
	s_mov_b32 s6, exec_lo
	v_cmpx_ngt_f32_e32 0, v15
	s_cbranch_execz .LBB12_21
; %bb.12:
                                        ; implicit-def: $vgpr5
	s_mov_b32 s1, exec_lo
	v_cmpx_ge_f32_e32 2.0, v15
	s_xor_b32 s7, exec_lo, s1
	s_cbranch_execz .LBB12_18
; %bb.13:
	v_mul_f32_e32 v2, 0.5, v15
	v_mul_f32_e32 v3, 0x3fb8aa3b, v15
	s_mov_b32 s1, exec_lo
                                        ; implicit-def: $vgpr6
                                        ; implicit-def: $vgpr5
	v_cmpx_ge_f32_e32 0x41000000, v15
	s_xor_b32 s1, exec_lo, s1
	s_cbranch_execz .LBB12_15
; %bb.14:
	v_fma_f32 v16, 0x3fb8aa3b, v15, -v3
	v_add_f32_e32 v5, -2.0, v2
	s_mov_b32 s2, 0x224cf950
	v_rndne_f32_e32 v8, v3
	v_cmp_ngt_f32_e32 vcc_lo, 0xc2ce8ed0, v15
	v_fmamk_f32 v16, v15, 0x32a5705f, v16
	s_delay_alu instid0(VALU_DEP_3) | instskip(NEXT) | instid1(VALU_DEP_1)
	v_dual_fmaak_f32 v6, s2, v5, 0xa3c2be86 :: v_dual_sub_f32 v3, v3, v8
	v_fmaak_f32 v7, v5, v6, 0xa24cf950
	s_delay_alu instid0(VALU_DEP_2) | instskip(NEXT) | instid1(VALU_DEP_2)
	v_add_f32_e32 v3, v3, v16
	v_add_f32_e32 v7, 0x25331f1f, v7
	s_delay_alu instid0(VALU_DEP_2) | instskip(NEXT) | instid1(VALU_DEP_1)
	v_exp_f32_e32 v3, v3
	v_fma_f32 v6, v5, v7, -v6
	s_delay_alu instid0(VALU_DEP_1) | instskip(NEXT) | instid1(VALU_DEP_1)
	v_add_f32_e32 v6, 0xa69f5554, v6
	v_fma_f32 v7, v5, v6, -v7
	s_delay_alu instid0(VALU_DEP_1) | instskip(NEXT) | instid1(VALU_DEP_1)
	v_add_f32_e32 v7, 0x2808ebf8, v7
	;; [unrolled: 3-line block ×25, first 2 shown]
	v_fma_f32 v5, v5, v6, -v7
	v_cvt_i32_f32_e32 v6, v8
	s_delay_alu instid0(VALU_DEP_2) | instskip(NEXT) | instid1(VALU_DEP_2)
	v_add_f32_e32 v5, 0x3e81531c, v5
	v_ldexp_f32 v3, v3, v6
	s_delay_alu instid0(VALU_DEP_2) | instskip(NEXT) | instid1(VALU_DEP_2)
	v_sub_f32_e32 v5, v5, v7
	v_cndmask_b32_e32 v3, 0, v3, vcc_lo
	v_cmp_nlt_f32_e32 vcc_lo, 0x42b17218, v15
	s_delay_alu instid0(VALU_DEP_3) | instskip(NEXT) | instid1(VALU_DEP_1)
	v_mul_f32_e32 v5, 0.5, v5
	v_dual_mul_f32 v6, v15, v5 :: v_dual_cndmask_b32 v5, 0x7f800000, v3
                                        ; implicit-def: $vgpr3
	s_delay_alu instid0(VALU_DEP_1)
	v_mul_f32_e32 v6, v5, v6
.LBB12_15:
	s_and_not1_saveexec_b32 s2, s1
	s_cbranch_execz .LBB12_17
; %bb.16:
	v_div_scale_f32 v5, null, v15, v15, 0x42000000
	v_div_scale_f32 v8, vcc_lo, 0x42000000, v15, 0x42000000
	s_mov_b32 s1, 0x230aab6e
	s_delay_alu instid0(VALU_DEP_2) | instskip(SKIP_1) | instid1(VALU_DEP_1)
	v_rcp_f32_e32 v6, v5
	v_fma_f32 v17, 0x3fb8aa3b, v15, -v3
	v_fmamk_f32 v17, v15, 0x32a5705f, v17
	s_waitcnt_depctr 0xfff
	v_fma_f32 v7, -v5, v6, 1.0
	s_delay_alu instid0(VALU_DEP_1) | instskip(NEXT) | instid1(VALU_DEP_1)
	v_fmac_f32_e32 v6, v7, v6
	v_mul_f32_e32 v7, v8, v6
	s_delay_alu instid0(VALU_DEP_1) | instskip(NEXT) | instid1(VALU_DEP_1)
	v_fma_f32 v16, -v5, v7, v8
	v_fmac_f32_e32 v7, v16, v6
	v_rndne_f32_e32 v16, v3
	s_delay_alu instid0(VALU_DEP_2) | instskip(NEXT) | instid1(VALU_DEP_2)
	v_fma_f32 v5, -v5, v7, v8
	v_dual_mul_f32 v8, 0x4f800000, v15 :: v_dual_sub_f32 v3, v3, v16
	v_cvt_i32_f32_e32 v16, v16
	s_delay_alu instid0(VALU_DEP_3) | instskip(SKIP_1) | instid1(VALU_DEP_4)
	v_div_fmas_f32 v5, v5, v6, v7
	v_cmp_gt_f32_e32 vcc_lo, 0xf800000, v15
	v_add_f32_e32 v3, v3, v17
	s_delay_alu instid0(VALU_DEP_3) | instskip(SKIP_1) | instid1(VALU_DEP_3)
	v_div_fixup_f32 v5, v5, v15, 0x42000000
	v_cndmask_b32_e32 v8, v15, v8, vcc_lo
	v_exp_f32_e32 v3, v3
	s_delay_alu instid0(VALU_DEP_2) | instskip(NEXT) | instid1(VALU_DEP_2)
	v_add_f32_e32 v5, -2.0, v5
	v_sqrt_f32_e32 v18, v8
	s_delay_alu instid0(VALU_DEP_1)
	v_fmaak_f32 v6, s1, v5, 0x22a2dc57
	s_waitcnt_depctr 0xfff
	v_ldexp_f32 v3, v3, v16
	v_fmaak_f32 v7, v5, v6, 0xa30aab6e
	v_add_nc_u32_e32 v17, -1, v18
	v_add_nc_u32_e32 v19, 1, v18
	s_delay_alu instid0(VALU_DEP_3) | instskip(NEXT) | instid1(VALU_DEP_3)
	v_add_f32_e32 v7, 0xa456751e, v7
	v_fma_f32 v20, -v17, v18, v8
	s_delay_alu instid0(VALU_DEP_3) | instskip(NEXT) | instid1(VALU_DEP_3)
	v_fma_f32 v21, -v19, v18, v8
	v_fma_f32 v6, v5, v7, -v6
	s_delay_alu instid0(VALU_DEP_3) | instskip(NEXT) | instid1(VALU_DEP_2)
	v_cmp_ge_f32_e64 s1, 0, v20
	v_add_f32_e32 v6, 0xa4140365, v6
	s_delay_alu instid0(VALU_DEP_2) | instskip(SKIP_1) | instid1(VALU_DEP_3)
	v_cndmask_b32_e64 v17, v18, v17, s1
	v_cmp_lt_f32_e64 s1, 0, v21
	v_fma_f32 v7, v5, v6, -v7
	s_delay_alu instid0(VALU_DEP_1) | instskip(NEXT) | instid1(VALU_DEP_1)
	v_add_f32_e32 v7, 0x25aac8b0, v7
	v_fma_f32 v6, v5, v7, -v6
	s_delay_alu instid0(VALU_DEP_1) | instskip(NEXT) | instid1(VALU_DEP_1)
	v_add_f32_e32 v6, 0x25beb473, v6
	;; [unrolled: 3-line block ×20, first 2 shown]
	v_fma_f32 v5, v5, v6, -v7
	v_cndmask_b32_e64 v6, v17, v19, s1
	v_cmp_ngt_f32_e64 s1, 0xc2ce8ed0, v15
	s_delay_alu instid0(VALU_DEP_3) | instskip(NEXT) | instid1(VALU_DEP_3)
	v_add_f32_e32 v5, 0x3f4750c6, v5
	v_mul_f32_e32 v16, 0x37800000, v6
	s_delay_alu instid0(VALU_DEP_3) | instskip(SKIP_1) | instid1(VALU_DEP_4)
	v_cndmask_b32_e64 v3, 0, v3, s1
	v_cmp_nlt_f32_e64 s1, 0x42b17218, v15
	v_sub_f32_e32 v7, v5, v7
	s_delay_alu instid0(VALU_DEP_2) | instskip(NEXT) | instid1(VALU_DEP_2)
	v_cndmask_b32_e64 v5, 0x7f800000, v3, s1
	v_dual_cndmask_b32 v3, v6, v16 :: v_dual_mul_f32 v6, 0.5, v7
	v_cmp_class_f32_e64 vcc_lo, v8, 0x260
	s_delay_alu instid0(VALU_DEP_2) | instskip(NEXT) | instid1(VALU_DEP_1)
	v_dual_mul_f32 v6, v5, v6 :: v_dual_cndmask_b32 v3, v3, v8
	v_div_scale_f32 v7, null, v3, v3, v6
	s_delay_alu instid0(VALU_DEP_1) | instskip(SKIP_2) | instid1(VALU_DEP_1)
	v_rcp_f32_e32 v8, v7
	s_waitcnt_depctr 0xfff
	v_fma_f32 v16, -v7, v8, 1.0
	v_fmac_f32_e32 v8, v16, v8
	v_div_scale_f32 v16, vcc_lo, v6, v3, v6
	s_delay_alu instid0(VALU_DEP_1) | instskip(NEXT) | instid1(VALU_DEP_1)
	v_mul_f32_e32 v17, v16, v8
	v_fma_f32 v18, -v7, v17, v16
	s_delay_alu instid0(VALU_DEP_1) | instskip(NEXT) | instid1(VALU_DEP_1)
	v_fmac_f32_e32 v17, v18, v8
	v_fma_f32 v7, -v7, v17, v16
	s_delay_alu instid0(VALU_DEP_1) | instskip(NEXT) | instid1(VALU_DEP_1)
	v_div_fmas_f32 v7, v7, v8, v17
	v_div_fixup_f32 v6, v7, v3, v6
.LBB12_17:
	s_or_b32 exec_lo, exec_lo, s2
	v_fma_f32 v3, v15, v15, -2.0
	s_mov_b32 s1, 0xa3019142
	v_cmp_gt_f32_e32 vcc_lo, 0x800000, v2
	s_delay_alu instid0(VALU_DEP_2) | instskip(NEXT) | instid1(VALU_DEP_1)
	v_fmaak_f32 v7, s1, v3, 0xa72eea8c
	v_fmaak_f32 v8, v3, v7, 0x23019142
	s_delay_alu instid0(VALU_DEP_1) | instskip(NEXT) | instid1(VALU_DEP_1)
	v_add_f32_e32 v8, 0xab3ba817, v8
	v_fma_f32 v7, v3, v8, -v7
	s_delay_alu instid0(VALU_DEP_1) | instskip(NEXT) | instid1(VALU_DEP_1)
	v_add_f32_e32 v7, 0xaf1b31de, v7
	v_fma_f32 v8, v3, v7, -v8
	;; [unrolled: 3-line block ×8, first 2 shown]
	s_delay_alu instid0(VALU_DEP_1) | instskip(NEXT) | instid1(VALU_DEP_1)
	v_add_f32_e32 v3, 0x3fc33d0a, v3
	v_sub_f32_e32 v3, v3, v8
	v_cndmask_b32_e64 v8, 1.0, 0x4f800000, vcc_lo
	s_delay_alu instid0(VALU_DEP_1) | instskip(NEXT) | instid1(VALU_DEP_1)
	v_dual_mul_f32 v3, 0.5, v3 :: v_dual_mul_f32 v2, v2, v8
	v_div_scale_f32 v7, null, v15, v15, v3
	s_delay_alu instid0(VALU_DEP_2) | instskip(SKIP_1) | instid1(VALU_DEP_2)
	v_log_f32_e32 v2, v2
	v_div_scale_f32 v17, s1, v3, v15, v3
	v_rcp_f32_e32 v16, v7
	s_waitcnt_depctr 0xfff
	v_cmp_gt_f32_e64 s2, 0x7f800000, |v2|
	v_fma_f32 v8, -v7, v16, 1.0
	s_delay_alu instid0(VALU_DEP_1) | instskip(SKIP_1) | instid1(VALU_DEP_2)
	v_fmac_f32_e32 v16, v8, v16
	v_mul_f32_e32 v8, 0x3f317217, v2
	v_mul_f32_e32 v18, v17, v16
	s_delay_alu instid0(VALU_DEP_2) | instskip(NEXT) | instid1(VALU_DEP_2)
	v_fma_f32 v19, 0x3f317217, v2, -v8
	v_fma_f32 v20, -v7, v18, v17
	s_delay_alu instid0(VALU_DEP_1) | instskip(NEXT) | instid1(VALU_DEP_1)
	v_dual_fmamk_f32 v19, v2, 0x3377d1cf, v19 :: v_dual_fmac_f32 v18, v20, v16
	v_add_f32_e32 v8, v8, v19
	s_delay_alu instid0(VALU_DEP_2) | instskip(NEXT) | instid1(VALU_DEP_2)
	v_fma_f32 v7, -v7, v18, v17
	v_cndmask_b32_e64 v2, v2, v8, s2
	v_cndmask_b32_e64 v8, 0, 0x41b17218, vcc_lo
	s_mov_b32 vcc_lo, s1
	s_delay_alu instid0(VALU_DEP_3) | instskip(NEXT) | instid1(VALU_DEP_2)
	v_div_fmas_f32 v7, v7, v16, v18
	v_sub_f32_e32 v2, v2, v8
	s_delay_alu instid0(VALU_DEP_2) | instskip(NEXT) | instid1(VALU_DEP_1)
	v_div_fixup_f32 v3, v7, v15, v3
                                        ; implicit-def: $vgpr15
	v_fmac_f32_e32 v3, v2, v6
	s_delay_alu instid0(VALU_DEP_1)
	v_mul_f32_e32 v5, v5, v3
.LBB12_18:
	s_and_not1_saveexec_b32 s2, s7
	s_cbranch_execz .LBB12_20
; %bb.19:
	v_div_scale_f32 v2, null, v15, v15, 0x41000000
	v_div_scale_f32 v6, vcc_lo, 0x41000000, v15, 0x41000000
	s_mov_b32 s1, 0xa2d462ea
	s_delay_alu instid0(VALU_DEP_2) | instskip(SKIP_2) | instid1(VALU_DEP_1)
	v_rcp_f32_e32 v3, v2
	s_waitcnt_depctr 0xfff
	v_fma_f32 v5, -v2, v3, 1.0
	v_fmac_f32_e32 v3, v5, v3
	s_delay_alu instid0(VALU_DEP_1) | instskip(NEXT) | instid1(VALU_DEP_1)
	v_mul_f32_e32 v5, v6, v3
	v_fma_f32 v7, -v2, v5, v6
	s_delay_alu instid0(VALU_DEP_1) | instskip(NEXT) | instid1(VALU_DEP_1)
	v_fmac_f32_e32 v5, v7, v3
	v_fma_f32 v2, -v2, v5, v6
	v_mul_f32_e32 v6, 0x4f800000, v15
	s_delay_alu instid0(VALU_DEP_2) | instskip(SKIP_1) | instid1(VALU_DEP_2)
	v_div_fmas_f32 v2, v2, v3, v5
	v_cmp_gt_f32_e32 vcc_lo, 0xf800000, v15
	v_div_fixup_f32 v2, v2, v15, 0x41000000
	s_delay_alu instid0(VALU_DEP_4) | instskip(NEXT) | instid1(VALU_DEP_2)
	v_cndmask_b32_e32 v6, v15, v6, vcc_lo
	v_add_f32_e32 v2, -2.0, v2
	s_delay_alu instid0(VALU_DEP_2) | instskip(SKIP_2) | instid1(VALU_DEP_1)
	v_sqrt_f32_e32 v7, v6
	s_waitcnt_depctr 0xfff
	v_dual_fmaak_f32 v3, s1, v2, 0x23a578d4 :: v_dual_add_nc_u32 v8, -1, v7
	v_fmaak_f32 v5, v2, v3, 0x22d462ea
	v_add_nc_u32_e32 v15, 1, v7
	s_delay_alu instid0(VALU_DEP_3) | instskip(NEXT) | instid1(VALU_DEP_3)
	v_fma_f32 v16, -v8, v7, v6
	v_add_f32_e32 v5, 0xa48330a9, v5
	s_delay_alu instid0(VALU_DEP_3) | instskip(NEXT) | instid1(VALU_DEP_3)
	v_fma_f32 v17, -v15, v7, v6
	v_cmp_ge_f32_e64 s1, 0, v16
	s_delay_alu instid0(VALU_DEP_3) | instskip(NEXT) | instid1(VALU_DEP_2)
	v_fma_f32 v3, v2, v5, -v3
	v_cndmask_b32_e64 v7, v7, v8, s1
	s_delay_alu instid0(VALU_DEP_2) | instskip(SKIP_1) | instid1(VALU_DEP_2)
	v_add_f32_e32 v3, 0x2553eaf2, v3
	v_cmp_lt_f32_e64 s1, 0, v17
	v_fma_f32 v5, v2, v3, -v5
	s_delay_alu instid0(VALU_DEP_2) | instskip(NEXT) | instid1(VALU_DEP_2)
	v_cndmask_b32_e64 v7, v7, v15, s1
	v_add_f32_e32 v5, 0xa62e951f, v5
	s_delay_alu instid0(VALU_DEP_1) | instskip(NEXT) | instid1(VALU_DEP_1)
	v_fma_f32 v3, v2, v5, -v3
	v_add_f32_e32 v3, 0x2712e76f, v3
	s_delay_alu instid0(VALU_DEP_1) | instskip(NEXT) | instid1(VALU_DEP_1)
	v_fma_f32 v5, v2, v3, -v5
	;; [unrolled: 3-line block ×19, first 2 shown]
	v_add_f32_e32 v3, 0x3dd4d5f8, v3
	s_delay_alu instid0(VALU_DEP_1) | instskip(SKIP_1) | instid1(VALU_DEP_1)
	v_fma_f32 v2, v2, v3, -v5
	v_mul_f32_e32 v3, 0x37800000, v7
	v_dual_add_f32 v2, 0x402e1ebd, v2 :: v_dual_cndmask_b32 v3, v7, v3
	v_cmp_class_f32_e64 vcc_lo, v6, 0x260
	s_delay_alu instid0(VALU_DEP_2) | instskip(NEXT) | instid1(VALU_DEP_1)
	v_dual_sub_f32 v2, v2, v5 :: v_dual_cndmask_b32 v3, v3, v6
	v_mul_f32_e32 v2, 0.5, v2
	s_delay_alu instid0(VALU_DEP_1) | instskip(NEXT) | instid1(VALU_DEP_1)
	v_div_scale_f32 v5, null, v3, v3, v2
	v_rcp_f32_e32 v6, v5
	s_waitcnt_depctr 0xfff
	v_fma_f32 v7, -v5, v6, 1.0
	s_delay_alu instid0(VALU_DEP_1) | instskip(SKIP_1) | instid1(VALU_DEP_1)
	v_fmac_f32_e32 v6, v7, v6
	v_div_scale_f32 v7, vcc_lo, v2, v3, v2
	v_mul_f32_e32 v8, v7, v6
	s_delay_alu instid0(VALU_DEP_1) | instskip(NEXT) | instid1(VALU_DEP_1)
	v_fma_f32 v15, -v5, v8, v7
	v_fmac_f32_e32 v8, v15, v6
	s_delay_alu instid0(VALU_DEP_1) | instskip(NEXT) | instid1(VALU_DEP_1)
	v_fma_f32 v5, -v5, v8, v7
	v_div_fmas_f32 v5, v5, v6, v8
	s_delay_alu instid0(VALU_DEP_1)
	v_div_fixup_f32 v5, v5, v3, v2
.LBB12_20:
	s_or_b32 exec_lo, exec_lo, s2
.LBB12_21:
	s_delay_alu instid0(SALU_CYCLE_1)
	s_or_b32 exec_lo, exec_lo, s6
.LBB12_22:
	s_delay_alu instid0(SALU_CYCLE_1) | instskip(NEXT) | instid1(SALU_CYCLE_1)
	s_or_b32 exec_lo, exec_lo, s5
	s_or_b32 exec_lo, exec_lo, s4
	s_delay_alu instid0(SALU_CYCLE_1)
	s_mov_b32 s4, exec_lo
	v_cmpx_lt_i32_e64 v12, v4
	s_cbranch_execz .LBB12_36
.LBB12_23:
	v_mov_b32_e32 v6, 0x7f800000
	s_mov_b32 s5, exec_lo
	s_waitcnt vmcnt(0) lgkmcnt(0)
	v_cmpx_neq_f32_e32 0, v14
	s_cbranch_execz .LBB12_35
; %bb.24:
	v_mov_b32_e32 v6, 0x7fc00000
	s_mov_b32 s6, exec_lo
	v_cmpx_ngt_f32_e32 0, v14
	s_cbranch_execz .LBB12_34
; %bb.25:
	s_mov_b32 s1, exec_lo
	v_cmpx_ge_f32_e32 2.0, v14
	s_xor_b32 s7, exec_lo, s1
	s_cbranch_execz .LBB12_31
; %bb.26:
	v_mul_f32_e32 v2, 0.5, v14
	v_mul_f32_e32 v3, 0x3fb8aa3b, v14
	s_mov_b32 s1, exec_lo
                                        ; implicit-def: $vgpr15
                                        ; implicit-def: $vgpr6
	v_cmpx_ge_f32_e32 0x41000000, v14
	s_xor_b32 s1, exec_lo, s1
	s_cbranch_execz .LBB12_28
; %bb.27:
	v_add_f32_e32 v6, -2.0, v2
	s_mov_b32 s2, 0x224cf950
	v_rndne_f32_e32 v17, v3
	v_fma_f32 v18, 0x3fb8aa3b, v14, -v3
	v_cmp_ngt_f32_e32 vcc_lo, 0xc2ce8ed0, v14
	v_fmaak_f32 v15, s2, v6, 0xa3c2be86
	s_delay_alu instid0(VALU_DEP_3) | instskip(NEXT) | instid1(VALU_DEP_1)
	v_dual_sub_f32 v3, v3, v17 :: v_dual_fmamk_f32 v18, v14, 0x32a5705f, v18
	v_dual_fmaak_f32 v16, v6, v15, 0xa24cf950 :: v_dual_add_f32 v3, v3, v18
	s_delay_alu instid0(VALU_DEP_1) | instskip(NEXT) | instid1(VALU_DEP_2)
	v_add_f32_e32 v16, 0x25331f1f, v16
	v_exp_f32_e32 v3, v3
	s_delay_alu instid0(VALU_DEP_1) | instskip(NEXT) | instid1(VALU_DEP_1)
	v_fma_f32 v15, v6, v16, -v15
	v_add_f32_e32 v15, 0xa69f5554, v15
	s_delay_alu instid0(VALU_DEP_1) | instskip(NEXT) | instid1(VALU_DEP_1)
	v_fma_f32 v16, v6, v15, -v16
	v_add_f32_e32 v16, 0x2808ebf8, v16
	;; [unrolled: 3-line block ×25, first 2 shown]
	s_delay_alu instid0(VALU_DEP_1) | instskip(SKIP_1) | instid1(VALU_DEP_2)
	v_fma_f32 v6, v6, v15, -v16
	v_cvt_i32_f32_e32 v15, v17
	v_add_f32_e32 v6, 0x3e81531c, v6
	s_delay_alu instid0(VALU_DEP_2) | instskip(NEXT) | instid1(VALU_DEP_1)
	v_ldexp_f32 v3, v3, v15
	v_dual_sub_f32 v6, v6, v16 :: v_dual_cndmask_b32 v3, 0, v3
	v_cmp_nlt_f32_e32 vcc_lo, 0x42b17218, v14
	s_delay_alu instid0(VALU_DEP_2) | instskip(NEXT) | instid1(VALU_DEP_1)
	v_mul_f32_e32 v6, 0.5, v6
	v_dual_mul_f32 v15, v14, v6 :: v_dual_cndmask_b32 v6, 0x7f800000, v3
                                        ; implicit-def: $vgpr3
	s_delay_alu instid0(VALU_DEP_1)
	v_mul_f32_e32 v15, v6, v15
.LBB12_28:
	s_and_not1_saveexec_b32 s2, s1
	s_cbranch_execz .LBB12_30
; %bb.29:
	v_div_scale_f32 v6, null, v14, v14, 0x42000000
	v_div_scale_f32 v17, vcc_lo, 0x42000000, v14, 0x42000000
	s_mov_b32 s1, 0x230aab6e
	s_delay_alu instid0(VALU_DEP_2) | instskip(SKIP_1) | instid1(VALU_DEP_1)
	v_rcp_f32_e32 v15, v6
	v_fma_f32 v19, 0x3fb8aa3b, v14, -v3
	v_fmamk_f32 v19, v14, 0x32a5705f, v19
	s_waitcnt_depctr 0xfff
	v_fma_f32 v16, -v6, v15, 1.0
	s_delay_alu instid0(VALU_DEP_1) | instskip(NEXT) | instid1(VALU_DEP_1)
	v_fmac_f32_e32 v15, v16, v15
	v_mul_f32_e32 v16, v17, v15
	s_delay_alu instid0(VALU_DEP_1) | instskip(NEXT) | instid1(VALU_DEP_1)
	v_fma_f32 v18, -v6, v16, v17
	v_fmac_f32_e32 v16, v18, v15
	v_rndne_f32_e32 v18, v3
	s_delay_alu instid0(VALU_DEP_2) | instskip(SKIP_1) | instid1(VALU_DEP_3)
	v_fma_f32 v6, -v6, v16, v17
	v_mul_f32_e32 v17, 0x4f800000, v14
	v_sub_f32_e32 v3, v3, v18
	v_cvt_i32_f32_e32 v18, v18
	s_delay_alu instid0(VALU_DEP_4) | instskip(SKIP_1) | instid1(VALU_DEP_4)
	v_div_fmas_f32 v6, v6, v15, v16
	v_cmp_gt_f32_e32 vcc_lo, 0xf800000, v14
	v_add_f32_e32 v3, v3, v19
	s_delay_alu instid0(VALU_DEP_3) | instskip(SKIP_1) | instid1(VALU_DEP_3)
	v_div_fixup_f32 v6, v6, v14, 0x42000000
	v_cndmask_b32_e32 v17, v14, v17, vcc_lo
	v_exp_f32_e32 v3, v3
	s_delay_alu instid0(VALU_DEP_2) | instskip(NEXT) | instid1(VALU_DEP_2)
	v_add_f32_e32 v6, -2.0, v6
	v_sqrt_f32_e32 v20, v17
	s_delay_alu instid0(VALU_DEP_1) | instskip(SKIP_3) | instid1(VALU_DEP_1)
	v_fmaak_f32 v15, s1, v6, 0x22a2dc57
	s_waitcnt_depctr 0xfff
	v_ldexp_f32 v3, v3, v18
	v_dual_fmaak_f32 v16, v6, v15, 0xa30aab6e :: v_dual_add_nc_u32 v21, 1, v20
	v_add_f32_e32 v16, 0xa456751e, v16
	s_delay_alu instid0(VALU_DEP_2) | instskip(NEXT) | instid1(VALU_DEP_2)
	v_fma_f32 v23, -v21, v20, v17
	v_fma_f32 v15, v6, v16, -v15
	s_delay_alu instid0(VALU_DEP_1) | instskip(NEXT) | instid1(VALU_DEP_1)
	v_add_f32_e32 v15, 0xa4140365, v15
	v_fma_f32 v16, v6, v15, -v16
	s_delay_alu instid0(VALU_DEP_1) | instskip(NEXT) | instid1(VALU_DEP_1)
	v_add_f32_e32 v16, 0x25aac8b0, v16
	;; [unrolled: 3-line block ×21, first 2 shown]
	v_fma_f32 v6, v6, v15, -v16
	s_delay_alu instid0(VALU_DEP_1) | instskip(NEXT) | instid1(VALU_DEP_1)
	v_dual_add_f32 v6, 0x3f4750c6, v6 :: v_dual_add_nc_u32 v19, -1, v20
	v_fma_f32 v22, -v19, v20, v17
	s_delay_alu instid0(VALU_DEP_2) | instskip(NEXT) | instid1(VALU_DEP_2)
	v_sub_f32_e32 v16, v6, v16
	v_cmp_ge_f32_e64 s1, 0, v22
	s_delay_alu instid0(VALU_DEP_1) | instskip(SKIP_1) | instid1(VALU_DEP_1)
	v_cndmask_b32_e64 v19, v20, v19, s1
	v_cmp_lt_f32_e64 s1, 0, v23
	v_cndmask_b32_e64 v15, v19, v21, s1
	v_cmp_ngt_f32_e64 s1, 0xc2ce8ed0, v14
	s_delay_alu instid0(VALU_DEP_2) | instskip(NEXT) | instid1(VALU_DEP_2)
	v_mul_f32_e32 v18, 0x37800000, v15
	v_cndmask_b32_e64 v3, 0, v3, s1
	v_cmp_nlt_f32_e64 s1, 0x42b17218, v14
	s_delay_alu instid0(VALU_DEP_1) | instskip(NEXT) | instid1(VALU_DEP_4)
	v_cndmask_b32_e64 v6, 0x7f800000, v3, s1
	v_cndmask_b32_e32 v3, v15, v18, vcc_lo
	v_mul_f32_e32 v15, 0.5, v16
	v_cmp_class_f32_e64 vcc_lo, v17, 0x260
	s_delay_alu instid0(VALU_DEP_2) | instskip(NEXT) | instid1(VALU_DEP_4)
	v_mul_f32_e32 v15, v6, v15
	v_cndmask_b32_e32 v3, v3, v17, vcc_lo
	s_delay_alu instid0(VALU_DEP_1) | instskip(NEXT) | instid1(VALU_DEP_1)
	v_div_scale_f32 v16, null, v3, v3, v15
	v_rcp_f32_e32 v17, v16
	s_waitcnt_depctr 0xfff
	v_fma_f32 v18, -v16, v17, 1.0
	s_delay_alu instid0(VALU_DEP_1) | instskip(SKIP_1) | instid1(VALU_DEP_1)
	v_fmac_f32_e32 v17, v18, v17
	v_div_scale_f32 v18, vcc_lo, v15, v3, v15
	v_mul_f32_e32 v19, v18, v17
	s_delay_alu instid0(VALU_DEP_1) | instskip(NEXT) | instid1(VALU_DEP_1)
	v_fma_f32 v20, -v16, v19, v18
	v_fmac_f32_e32 v19, v20, v17
	s_delay_alu instid0(VALU_DEP_1) | instskip(NEXT) | instid1(VALU_DEP_1)
	v_fma_f32 v16, -v16, v19, v18
	v_div_fmas_f32 v16, v16, v17, v19
	s_delay_alu instid0(VALU_DEP_1)
	v_div_fixup_f32 v15, v16, v3, v15
.LBB12_30:
	s_or_b32 exec_lo, exec_lo, s2
	v_fma_f32 v3, v14, v14, -2.0
	s_mov_b32 s1, 0xa3019142
	v_cmp_gt_f32_e32 vcc_lo, 0x800000, v2
	s_delay_alu instid0(VALU_DEP_2) | instskip(NEXT) | instid1(VALU_DEP_1)
	v_fmaak_f32 v16, s1, v3, 0xa72eea8c
	v_fmaak_f32 v17, v3, v16, 0x23019142
	s_delay_alu instid0(VALU_DEP_1) | instskip(NEXT) | instid1(VALU_DEP_1)
	v_add_f32_e32 v17, 0xab3ba817, v17
	v_fma_f32 v16, v3, v17, -v16
	s_delay_alu instid0(VALU_DEP_1) | instskip(NEXT) | instid1(VALU_DEP_1)
	v_add_f32_e32 v16, 0xaf1b31de, v16
	v_fma_f32 v17, v3, v16, -v17
	;; [unrolled: 3-line block ×8, first 2 shown]
	s_delay_alu instid0(VALU_DEP_1) | instskip(NEXT) | instid1(VALU_DEP_1)
	v_add_f32_e32 v3, 0x3fc33d0a, v3
	v_sub_f32_e32 v3, v3, v17
	v_cndmask_b32_e64 v17, 1.0, 0x4f800000, vcc_lo
	s_delay_alu instid0(VALU_DEP_1) | instskip(NEXT) | instid1(VALU_DEP_1)
	v_dual_mul_f32 v3, 0.5, v3 :: v_dual_mul_f32 v2, v2, v17
	v_div_scale_f32 v16, null, v14, v14, v3
	s_delay_alu instid0(VALU_DEP_2) | instskip(SKIP_1) | instid1(VALU_DEP_2)
	v_log_f32_e32 v2, v2
	v_div_scale_f32 v19, s1, v3, v14, v3
	v_rcp_f32_e32 v18, v16
	s_waitcnt_depctr 0xfff
	v_cmp_gt_f32_e64 s2, 0x7f800000, |v2|
	v_fma_f32 v17, -v16, v18, 1.0
	s_delay_alu instid0(VALU_DEP_1) | instskip(SKIP_1) | instid1(VALU_DEP_1)
	v_fmac_f32_e32 v18, v17, v18
	v_mul_f32_e32 v17, 0x3f317217, v2
	v_fma_f32 v21, 0x3f317217, v2, -v17
	s_delay_alu instid0(VALU_DEP_1) | instskip(NEXT) | instid1(VALU_DEP_1)
	v_dual_fmamk_f32 v21, v2, 0x3377d1cf, v21 :: v_dual_mul_f32 v20, v19, v18
	v_add_f32_e32 v17, v17, v21
	s_delay_alu instid0(VALU_DEP_2) | instskip(NEXT) | instid1(VALU_DEP_2)
	v_fma_f32 v22, -v16, v20, v19
	v_cndmask_b32_e64 v2, v2, v17, s2
	s_delay_alu instid0(VALU_DEP_2) | instskip(SKIP_2) | instid1(VALU_DEP_2)
	v_fmac_f32_e32 v20, v22, v18
	v_cndmask_b32_e64 v17, 0, 0x41b17218, vcc_lo
	s_mov_b32 vcc_lo, s1
	v_fma_f32 v16, -v16, v20, v19
	s_delay_alu instid0(VALU_DEP_2) | instskip(NEXT) | instid1(VALU_DEP_2)
	v_sub_f32_e32 v2, v2, v17
	v_div_fmas_f32 v16, v16, v18, v20
	s_delay_alu instid0(VALU_DEP_1) | instskip(NEXT) | instid1(VALU_DEP_1)
	v_div_fixup_f32 v3, v16, v14, v3
                                        ; implicit-def: $vgpr14
	v_fmac_f32_e32 v3, v2, v15
	s_delay_alu instid0(VALU_DEP_1)
	v_mul_f32_e32 v6, v6, v3
.LBB12_31:
	s_and_not1_saveexec_b32 s2, s7
	s_cbranch_execz .LBB12_33
; %bb.32:
	v_div_scale_f32 v2, null, v14, v14, 0x41000000
	v_div_scale_f32 v15, vcc_lo, 0x41000000, v14, 0x41000000
	s_mov_b32 s1, 0xa2d462ea
	s_delay_alu instid0(VALU_DEP_2) | instskip(SKIP_2) | instid1(VALU_DEP_1)
	v_rcp_f32_e32 v3, v2
	s_waitcnt_depctr 0xfff
	v_fma_f32 v6, -v2, v3, 1.0
	v_fmac_f32_e32 v3, v6, v3
	s_delay_alu instid0(VALU_DEP_1) | instskip(NEXT) | instid1(VALU_DEP_1)
	v_mul_f32_e32 v6, v15, v3
	v_fma_f32 v16, -v2, v6, v15
	s_delay_alu instid0(VALU_DEP_1) | instskip(NEXT) | instid1(VALU_DEP_1)
	v_fmac_f32_e32 v6, v16, v3
	v_fma_f32 v2, -v2, v6, v15
	v_mul_f32_e32 v15, 0x4f800000, v14
	s_delay_alu instid0(VALU_DEP_2) | instskip(SKIP_1) | instid1(VALU_DEP_2)
	v_div_fmas_f32 v2, v2, v3, v6
	v_cmp_gt_f32_e32 vcc_lo, 0xf800000, v14
	v_div_fixup_f32 v2, v2, v14, 0x41000000
	s_delay_alu instid0(VALU_DEP_4) | instskip(NEXT) | instid1(VALU_DEP_2)
	v_cndmask_b32_e32 v14, v14, v15, vcc_lo
	v_add_f32_e32 v2, -2.0, v2
	s_delay_alu instid0(VALU_DEP_2) | instskip(NEXT) | instid1(VALU_DEP_1)
	v_sqrt_f32_e32 v15, v14
	v_fmaak_f32 v3, s1, v2, 0x23a578d4
	s_delay_alu instid0(VALU_DEP_1) | instskip(SKIP_3) | instid1(VALU_DEP_2)
	v_fmaak_f32 v6, v2, v3, 0x22d462ea
	s_waitcnt_depctr 0xfff
	v_add_nc_u32_e32 v16, -1, v15
	v_dual_add_f32 v6, 0xa48330a9, v6 :: v_dual_add_nc_u32 v17, 1, v15
	v_fma_f32 v18, -v16, v15, v14
	s_delay_alu instid0(VALU_DEP_2) | instskip(NEXT) | instid1(VALU_DEP_3)
	v_fma_f32 v19, -v17, v15, v14
	v_fma_f32 v3, v2, v6, -v3
	s_delay_alu instid0(VALU_DEP_3) | instskip(NEXT) | instid1(VALU_DEP_2)
	v_cmp_ge_f32_e64 s1, 0, v18
	v_add_f32_e32 v3, 0x2553eaf2, v3
	s_delay_alu instid0(VALU_DEP_2) | instskip(SKIP_1) | instid1(VALU_DEP_3)
	v_cndmask_b32_e64 v15, v15, v16, s1
	v_cmp_lt_f32_e64 s1, 0, v19
	v_fma_f32 v6, v2, v3, -v6
	s_delay_alu instid0(VALU_DEP_2) | instskip(NEXT) | instid1(VALU_DEP_2)
	v_cndmask_b32_e64 v15, v15, v17, s1
	v_add_f32_e32 v6, 0xa62e951f, v6
	s_delay_alu instid0(VALU_DEP_1) | instskip(NEXT) | instid1(VALU_DEP_1)
	v_fma_f32 v3, v2, v6, -v3
	v_add_f32_e32 v3, 0x2712e76f, v3
	s_delay_alu instid0(VALU_DEP_1) | instskip(NEXT) | instid1(VALU_DEP_1)
	v_fma_f32 v6, v2, v3, -v6
	;; [unrolled: 3-line block ×19, first 2 shown]
	v_add_f32_e32 v3, 0x3dd4d5f8, v3
	s_delay_alu instid0(VALU_DEP_1) | instskip(SKIP_1) | instid1(VALU_DEP_1)
	v_fma_f32 v2, v2, v3, -v6
	v_mul_f32_e32 v3, 0x37800000, v15
	v_dual_add_f32 v2, 0x402e1ebd, v2 :: v_dual_cndmask_b32 v3, v15, v3
	v_cmp_class_f32_e64 vcc_lo, v14, 0x260
	s_delay_alu instid0(VALU_DEP_2) | instskip(NEXT) | instid1(VALU_DEP_3)
	v_sub_f32_e32 v2, v2, v6
	v_cndmask_b32_e32 v3, v3, v14, vcc_lo
	s_delay_alu instid0(VALU_DEP_2) | instskip(NEXT) | instid1(VALU_DEP_1)
	v_mul_f32_e32 v2, 0.5, v2
	v_div_scale_f32 v6, null, v3, v3, v2
	s_delay_alu instid0(VALU_DEP_1) | instskip(SKIP_2) | instid1(VALU_DEP_1)
	v_rcp_f32_e32 v14, v6
	s_waitcnt_depctr 0xfff
	v_fma_f32 v15, -v6, v14, 1.0
	v_fmac_f32_e32 v14, v15, v14
	v_div_scale_f32 v15, vcc_lo, v2, v3, v2
	s_delay_alu instid0(VALU_DEP_1) | instskip(NEXT) | instid1(VALU_DEP_1)
	v_mul_f32_e32 v16, v15, v14
	v_fma_f32 v17, -v6, v16, v15
	s_delay_alu instid0(VALU_DEP_1) | instskip(NEXT) | instid1(VALU_DEP_1)
	v_fmac_f32_e32 v16, v17, v14
	v_fma_f32 v6, -v6, v16, v15
	s_delay_alu instid0(VALU_DEP_1) | instskip(NEXT) | instid1(VALU_DEP_1)
	v_div_fmas_f32 v6, v6, v14, v16
	v_div_fixup_f32 v6, v6, v3, v2
.LBB12_33:
	s_or_b32 exec_lo, exec_lo, s2
.LBB12_34:
	s_delay_alu instid0(SALU_CYCLE_1)
	s_or_b32 exec_lo, exec_lo, s6
.LBB12_35:
	s_delay_alu instid0(SALU_CYCLE_1)
	s_or_b32 exec_lo, exec_lo, s5
.LBB12_36:
	s_delay_alu instid0(SALU_CYCLE_1) | instskip(SKIP_2) | instid1(VALU_DEP_1)
	s_or_b32 exec_lo, exec_lo, s4
	v_add_nc_u32_e32 v2, 0x200, v11
	s_mov_b32 s4, exec_lo
	v_cmpx_lt_i32_e64 v2, v4
	s_cbranch_execz .LBB12_50
; %bb.37:
	v_mov_b32_e32 v7, 0x7f800000
	s_mov_b32 s5, exec_lo
	s_waitcnt vmcnt(0) lgkmcnt(0)
	v_cmpx_neq_f32_e32 0, v13
	s_cbranch_execz .LBB12_49
; %bb.38:
	v_mov_b32_e32 v7, 0x7fc00000
	s_mov_b32 s6, exec_lo
	v_cmpx_ngt_f32_e32 0, v13
	s_cbranch_execz .LBB12_48
; %bb.39:
	s_mov_b32 s1, exec_lo
	v_cmpx_ge_f32_e32 2.0, v13
	s_xor_b32 s7, exec_lo, s1
	s_cbranch_execz .LBB12_45
; %bb.40:
	v_mul_f32_e32 v2, 0.5, v13
	v_mul_f32_e32 v3, 0x3fb8aa3b, v13
	s_mov_b32 s1, exec_lo
                                        ; implicit-def: $vgpr14
                                        ; implicit-def: $vgpr7
	v_cmpx_ge_f32_e32 0x41000000, v13
	s_xor_b32 s1, exec_lo, s1
	s_cbranch_execz .LBB12_42
; %bb.41:
	v_add_f32_e32 v7, -2.0, v2
	s_mov_b32 s2, 0x224cf950
	v_rndne_f32_e32 v16, v3
	v_fma_f32 v17, 0x3fb8aa3b, v13, -v3
	v_cmp_ngt_f32_e32 vcc_lo, 0xc2ce8ed0, v13
	s_delay_alu instid0(VALU_DEP_3) | instskip(NEXT) | instid1(VALU_DEP_3)
	v_dual_fmaak_f32 v14, s2, v7, 0xa3c2be86 :: v_dual_sub_f32 v3, v3, v16
	v_fmamk_f32 v17, v13, 0x32a5705f, v17
	s_delay_alu instid0(VALU_DEP_2) | instskip(NEXT) | instid1(VALU_DEP_2)
	v_fmaak_f32 v15, v7, v14, 0xa24cf950
	v_add_f32_e32 v3, v3, v17
	s_delay_alu instid0(VALU_DEP_2) | instskip(NEXT) | instid1(VALU_DEP_2)
	v_add_f32_e32 v15, 0x25331f1f, v15
	v_exp_f32_e32 v3, v3
	s_delay_alu instid0(VALU_DEP_1) | instskip(NEXT) | instid1(VALU_DEP_1)
	v_fma_f32 v14, v7, v15, -v14
	v_add_f32_e32 v14, 0xa69f5554, v14
	s_delay_alu instid0(VALU_DEP_1) | instskip(NEXT) | instid1(VALU_DEP_1)
	v_fma_f32 v15, v7, v14, -v15
	v_add_f32_e32 v15, 0x2808ebf8, v15
	;; [unrolled: 3-line block ×25, first 2 shown]
	s_delay_alu instid0(VALU_DEP_1) | instskip(SKIP_1) | instid1(VALU_DEP_2)
	v_fma_f32 v7, v7, v14, -v15
	v_cvt_i32_f32_e32 v14, v16
	v_add_f32_e32 v7, 0x3e81531c, v7
	s_delay_alu instid0(VALU_DEP_2) | instskip(NEXT) | instid1(VALU_DEP_2)
	v_ldexp_f32 v3, v3, v14
	v_sub_f32_e32 v7, v7, v15
	s_delay_alu instid0(VALU_DEP_2) | instskip(SKIP_1) | instid1(VALU_DEP_3)
	v_cndmask_b32_e32 v3, 0, v3, vcc_lo
	v_cmp_nlt_f32_e32 vcc_lo, 0x42b17218, v13
	v_mul_f32_e32 v7, 0.5, v7
	s_delay_alu instid0(VALU_DEP_1) | instskip(NEXT) | instid1(VALU_DEP_4)
	v_mul_f32_e32 v14, v13, v7
	v_cndmask_b32_e32 v7, 0x7f800000, v3, vcc_lo
                                        ; implicit-def: $vgpr3
	s_delay_alu instid0(VALU_DEP_1)
	v_mul_f32_e32 v14, v7, v14
.LBB12_42:
	s_and_not1_saveexec_b32 s2, s1
	s_cbranch_execz .LBB12_44
; %bb.43:
	v_div_scale_f32 v7, null, v13, v13, 0x42000000
	v_div_scale_f32 v16, vcc_lo, 0x42000000, v13, 0x42000000
	s_mov_b32 s1, 0x230aab6e
	s_delay_alu instid0(VALU_DEP_2) | instskip(SKIP_3) | instid1(VALU_DEP_1)
	v_rcp_f32_e32 v14, v7
	v_fma_f32 v18, 0x3fb8aa3b, v13, -v3
	s_waitcnt_depctr 0xfff
	v_fma_f32 v15, -v7, v14, 1.0
	v_fmac_f32_e32 v14, v15, v14
	s_delay_alu instid0(VALU_DEP_1) | instskip(NEXT) | instid1(VALU_DEP_1)
	v_mul_f32_e32 v15, v16, v14
	v_fma_f32 v17, -v7, v15, v16
	s_delay_alu instid0(VALU_DEP_1) | instskip(SKIP_1) | instid1(VALU_DEP_2)
	v_fmac_f32_e32 v15, v17, v14
	v_rndne_f32_e32 v17, v3
	v_fma_f32 v7, -v7, v15, v16
	v_mul_f32_e32 v16, 0x4f800000, v13
	s_delay_alu instid0(VALU_DEP_3) | instskip(SKIP_1) | instid1(VALU_DEP_4)
	v_sub_f32_e32 v3, v3, v17
	v_cvt_i32_f32_e32 v17, v17
	v_div_fmas_f32 v7, v7, v14, v15
	v_cmp_gt_f32_e32 vcc_lo, 0xf800000, v13
	v_fmamk_f32 v18, v13, 0x32a5705f, v18
	s_delay_alu instid0(VALU_DEP_3) | instskip(NEXT) | instid1(VALU_DEP_1)
	v_div_fixup_f32 v7, v7, v13, 0x42000000
	v_dual_cndmask_b32 v16, v13, v16 :: v_dual_add_f32 v7, -2.0, v7
	s_delay_alu instid0(VALU_DEP_1) | instskip(NEXT) | instid1(VALU_DEP_1)
	v_sqrt_f32_e32 v19, v16
	v_dual_add_f32 v3, v3, v18 :: v_dual_fmaak_f32 v14, s1, v7, 0x22a2dc57
	s_waitcnt_depctr 0xfff
	v_dual_fmaak_f32 v15, v7, v14, 0xa30aab6e :: v_dual_add_nc_u32 v18, -1, v19
	v_add_nc_u32_e32 v20, 1, v19
	v_exp_f32_e32 v3, v3
	s_delay_alu instid0(VALU_DEP_2) | instskip(NEXT) | instid1(VALU_DEP_3)
	v_add_f32_e32 v15, 0xa456751e, v15
	v_fma_f32 v21, -v18, v19, v16
	s_delay_alu instid0(VALU_DEP_3) | instskip(NEXT) | instid1(VALU_DEP_3)
	v_fma_f32 v22, -v20, v19, v16
	v_fma_f32 v14, v7, v15, -v14
	s_delay_alu instid0(VALU_DEP_3)
	v_cmp_ge_f32_e64 s1, 0, v21
	s_waitcnt_depctr 0xfff
	v_ldexp_f32 v3, v3, v17
	v_add_f32_e32 v14, 0xa4140365, v14
	v_cndmask_b32_e64 v18, v19, v18, s1
	v_cmp_lt_f32_e64 s1, 0, v22
	s_delay_alu instid0(VALU_DEP_3) | instskip(NEXT) | instid1(VALU_DEP_1)
	v_fma_f32 v15, v7, v14, -v15
	v_add_f32_e32 v15, 0x25aac8b0, v15
	s_delay_alu instid0(VALU_DEP_1) | instskip(NEXT) | instid1(VALU_DEP_1)
	v_fma_f32 v14, v7, v15, -v14
	v_add_f32_e32 v14, 0x25beb473, v14
	s_delay_alu instid0(VALU_DEP_1) | instskip(NEXT) | instid1(VALU_DEP_1)
	;; [unrolled: 3-line block ×19, first 2 shown]
	v_fma_f32 v14, v7, v15, -v14
	v_add_f32_e32 v14, 0xbc1fed03, v14
	s_delay_alu instid0(VALU_DEP_1) | instskip(SKIP_2) | instid1(VALU_DEP_3)
	v_fma_f32 v7, v7, v14, -v15
	v_cndmask_b32_e64 v14, v18, v20, s1
	v_cmp_ngt_f32_e64 s1, 0xc2ce8ed0, v13
	v_add_f32_e32 v7, 0x3f4750c6, v7
	s_delay_alu instid0(VALU_DEP_3) | instskip(NEXT) | instid1(VALU_DEP_3)
	v_mul_f32_e32 v17, 0x37800000, v14
	v_cndmask_b32_e64 v3, 0, v3, s1
	v_cmp_nlt_f32_e64 s1, 0x42b17218, v13
	s_delay_alu instid0(VALU_DEP_4) | instskip(NEXT) | instid1(VALU_DEP_2)
	v_sub_f32_e32 v15, v7, v15
	v_cndmask_b32_e64 v7, 0x7f800000, v3, s1
	s_delay_alu instid0(VALU_DEP_2) | instskip(SKIP_1) | instid1(VALU_DEP_2)
	v_dual_cndmask_b32 v3, v14, v17 :: v_dual_mul_f32 v14, 0.5, v15
	v_cmp_class_f32_e64 vcc_lo, v16, 0x260
	v_mul_f32_e32 v14, v7, v14
	s_delay_alu instid0(VALU_DEP_3) | instskip(NEXT) | instid1(VALU_DEP_1)
	v_cndmask_b32_e32 v3, v3, v16, vcc_lo
	v_div_scale_f32 v15, null, v3, v3, v14
	s_delay_alu instid0(VALU_DEP_1) | instskip(SKIP_2) | instid1(VALU_DEP_1)
	v_rcp_f32_e32 v16, v15
	s_waitcnt_depctr 0xfff
	v_fma_f32 v17, -v15, v16, 1.0
	v_fmac_f32_e32 v16, v17, v16
	v_div_scale_f32 v17, vcc_lo, v14, v3, v14
	s_delay_alu instid0(VALU_DEP_1) | instskip(NEXT) | instid1(VALU_DEP_1)
	v_mul_f32_e32 v18, v17, v16
	v_fma_f32 v19, -v15, v18, v17
	s_delay_alu instid0(VALU_DEP_1) | instskip(NEXT) | instid1(VALU_DEP_1)
	v_fmac_f32_e32 v18, v19, v16
	v_fma_f32 v15, -v15, v18, v17
	s_delay_alu instid0(VALU_DEP_1) | instskip(NEXT) | instid1(VALU_DEP_1)
	v_div_fmas_f32 v15, v15, v16, v18
	v_div_fixup_f32 v14, v15, v3, v14
.LBB12_44:
	s_or_b32 exec_lo, exec_lo, s2
	v_fma_f32 v3, v13, v13, -2.0
	s_mov_b32 s1, 0xa3019142
	v_cmp_gt_f32_e32 vcc_lo, 0x800000, v2
	s_delay_alu instid0(VALU_DEP_2) | instskip(NEXT) | instid1(VALU_DEP_1)
	v_fmaak_f32 v15, s1, v3, 0xa72eea8c
	v_fmaak_f32 v16, v3, v15, 0x23019142
	s_delay_alu instid0(VALU_DEP_1) | instskip(NEXT) | instid1(VALU_DEP_1)
	v_add_f32_e32 v16, 0xab3ba817, v16
	v_fma_f32 v15, v3, v16, -v15
	s_delay_alu instid0(VALU_DEP_1) | instskip(NEXT) | instid1(VALU_DEP_1)
	v_add_f32_e32 v15, 0xaf1b31de, v15
	v_fma_f32 v16, v3, v15, -v16
	;; [unrolled: 3-line block ×8, first 2 shown]
	s_delay_alu instid0(VALU_DEP_1) | instskip(NEXT) | instid1(VALU_DEP_1)
	v_add_f32_e32 v3, 0x3fc33d0a, v3
	v_sub_f32_e32 v3, v3, v16
	v_cndmask_b32_e64 v16, 1.0, 0x4f800000, vcc_lo
	s_delay_alu instid0(VALU_DEP_1) | instskip(NEXT) | instid1(VALU_DEP_1)
	v_dual_mul_f32 v3, 0.5, v3 :: v_dual_mul_f32 v2, v2, v16
	v_div_scale_f32 v15, null, v13, v13, v3
	s_delay_alu instid0(VALU_DEP_2) | instskip(SKIP_1) | instid1(VALU_DEP_2)
	v_log_f32_e32 v2, v2
	v_div_scale_f32 v18, s1, v3, v13, v3
	v_rcp_f32_e32 v17, v15
	s_waitcnt_depctr 0xfff
	v_cmp_gt_f32_e64 s2, 0x7f800000, |v2|
	v_fma_f32 v16, -v15, v17, 1.0
	s_delay_alu instid0(VALU_DEP_1) | instskip(NEXT) | instid1(VALU_DEP_1)
	v_dual_fmac_f32 v17, v16, v17 :: v_dual_mul_f32 v16, 0x3f317217, v2
	v_fma_f32 v20, 0x3f317217, v2, -v16
	s_delay_alu instid0(VALU_DEP_1) | instskip(NEXT) | instid1(VALU_DEP_1)
	v_fmamk_f32 v20, v2, 0x3377d1cf, v20
	v_dual_mul_f32 v19, v18, v17 :: v_dual_add_f32 v16, v16, v20
	s_delay_alu instid0(VALU_DEP_1) | instskip(NEXT) | instid1(VALU_DEP_2)
	v_fma_f32 v21, -v15, v19, v18
	v_cndmask_b32_e64 v2, v2, v16, s2
	s_delay_alu instid0(VALU_DEP_2) | instskip(SKIP_2) | instid1(VALU_DEP_2)
	v_fmac_f32_e32 v19, v21, v17
	v_cndmask_b32_e64 v16, 0, 0x41b17218, vcc_lo
	s_mov_b32 vcc_lo, s1
	v_fma_f32 v15, -v15, v19, v18
	s_delay_alu instid0(VALU_DEP_2) | instskip(NEXT) | instid1(VALU_DEP_2)
	v_sub_f32_e32 v2, v2, v16
	v_div_fmas_f32 v15, v15, v17, v19
	s_delay_alu instid0(VALU_DEP_1) | instskip(NEXT) | instid1(VALU_DEP_1)
	v_div_fixup_f32 v3, v15, v13, v3
                                        ; implicit-def: $vgpr13
	v_fmac_f32_e32 v3, v2, v14
	s_delay_alu instid0(VALU_DEP_1)
	v_mul_f32_e32 v7, v7, v3
.LBB12_45:
	s_and_not1_saveexec_b32 s2, s7
	s_cbranch_execz .LBB12_47
; %bb.46:
	v_div_scale_f32 v2, null, v13, v13, 0x41000000
	v_div_scale_f32 v14, vcc_lo, 0x41000000, v13, 0x41000000
	s_mov_b32 s1, 0xa2d462ea
	s_delay_alu instid0(VALU_DEP_2) | instskip(SKIP_2) | instid1(VALU_DEP_1)
	v_rcp_f32_e32 v3, v2
	s_waitcnt_depctr 0xfff
	v_fma_f32 v7, -v2, v3, 1.0
	v_fmac_f32_e32 v3, v7, v3
	s_delay_alu instid0(VALU_DEP_1) | instskip(NEXT) | instid1(VALU_DEP_1)
	v_mul_f32_e32 v7, v14, v3
	v_fma_f32 v15, -v2, v7, v14
	s_delay_alu instid0(VALU_DEP_1) | instskip(NEXT) | instid1(VALU_DEP_1)
	v_fmac_f32_e32 v7, v15, v3
	v_fma_f32 v2, -v2, v7, v14
	v_mul_f32_e32 v14, 0x4f800000, v13
	s_delay_alu instid0(VALU_DEP_2) | instskip(SKIP_1) | instid1(VALU_DEP_2)
	v_div_fmas_f32 v2, v2, v3, v7
	v_cmp_gt_f32_e32 vcc_lo, 0xf800000, v13
	v_div_fixup_f32 v2, v2, v13, 0x41000000
	s_delay_alu instid0(VALU_DEP_4) | instskip(NEXT) | instid1(VALU_DEP_2)
	v_cndmask_b32_e32 v13, v13, v14, vcc_lo
	v_add_f32_e32 v2, -2.0, v2
	s_delay_alu instid0(VALU_DEP_2) | instskip(NEXT) | instid1(VALU_DEP_1)
	v_sqrt_f32_e32 v14, v13
	v_fmaak_f32 v3, s1, v2, 0x23a578d4
	s_delay_alu instid0(VALU_DEP_1) | instskip(SKIP_3) | instid1(VALU_DEP_2)
	v_fmaak_f32 v7, v2, v3, 0x22d462ea
	s_waitcnt_depctr 0xfff
	v_add_nc_u32_e32 v15, -1, v14
	v_dual_add_f32 v7, 0xa48330a9, v7 :: v_dual_add_nc_u32 v16, 1, v14
	v_fma_f32 v17, -v15, v14, v13
	s_delay_alu instid0(VALU_DEP_2) | instskip(NEXT) | instid1(VALU_DEP_3)
	v_fma_f32 v18, -v16, v14, v13
	v_fma_f32 v3, v2, v7, -v3
	s_delay_alu instid0(VALU_DEP_3) | instskip(NEXT) | instid1(VALU_DEP_2)
	v_cmp_ge_f32_e64 s1, 0, v17
	v_add_f32_e32 v3, 0x2553eaf2, v3
	s_delay_alu instid0(VALU_DEP_2) | instskip(SKIP_1) | instid1(VALU_DEP_3)
	v_cndmask_b32_e64 v14, v14, v15, s1
	v_cmp_lt_f32_e64 s1, 0, v18
	v_fma_f32 v7, v2, v3, -v7
	s_delay_alu instid0(VALU_DEP_2) | instskip(NEXT) | instid1(VALU_DEP_2)
	v_cndmask_b32_e64 v14, v14, v16, s1
	v_add_f32_e32 v7, 0xa62e951f, v7
	s_delay_alu instid0(VALU_DEP_1) | instskip(NEXT) | instid1(VALU_DEP_1)
	v_fma_f32 v3, v2, v7, -v3
	v_add_f32_e32 v3, 0x2712e76f, v3
	s_delay_alu instid0(VALU_DEP_1) | instskip(NEXT) | instid1(VALU_DEP_1)
	v_fma_f32 v7, v2, v3, -v7
	;; [unrolled: 3-line block ×19, first 2 shown]
	v_add_f32_e32 v3, 0x3dd4d5f8, v3
	s_delay_alu instid0(VALU_DEP_1) | instskip(SKIP_1) | instid1(VALU_DEP_1)
	v_fma_f32 v2, v2, v3, -v7
	v_mul_f32_e32 v3, 0x37800000, v14
	v_dual_add_f32 v2, 0x402e1ebd, v2 :: v_dual_cndmask_b32 v3, v14, v3
	v_cmp_class_f32_e64 vcc_lo, v13, 0x260
	s_delay_alu instid0(VALU_DEP_2) | instskip(NEXT) | instid1(VALU_DEP_1)
	v_dual_sub_f32 v2, v2, v7 :: v_dual_cndmask_b32 v3, v3, v13
	v_mul_f32_e32 v2, 0.5, v2
	s_delay_alu instid0(VALU_DEP_1) | instskip(NEXT) | instid1(VALU_DEP_1)
	v_div_scale_f32 v7, null, v3, v3, v2
	v_rcp_f32_e32 v13, v7
	s_waitcnt_depctr 0xfff
	v_fma_f32 v14, -v7, v13, 1.0
	s_delay_alu instid0(VALU_DEP_1) | instskip(SKIP_1) | instid1(VALU_DEP_1)
	v_fmac_f32_e32 v13, v14, v13
	v_div_scale_f32 v14, vcc_lo, v2, v3, v2
	v_mul_f32_e32 v15, v14, v13
	s_delay_alu instid0(VALU_DEP_1) | instskip(NEXT) | instid1(VALU_DEP_1)
	v_fma_f32 v16, -v7, v15, v14
	v_fmac_f32_e32 v15, v16, v13
	s_delay_alu instid0(VALU_DEP_1) | instskip(NEXT) | instid1(VALU_DEP_1)
	v_fma_f32 v7, -v7, v15, v14
	v_div_fmas_f32 v7, v7, v13, v15
	s_delay_alu instid0(VALU_DEP_1)
	v_div_fixup_f32 v7, v7, v3, v2
.LBB12_47:
	s_or_b32 exec_lo, exec_lo, s2
.LBB12_48:
	s_delay_alu instid0(SALU_CYCLE_1)
	s_or_b32 exec_lo, exec_lo, s6
.LBB12_49:
	s_delay_alu instid0(SALU_CYCLE_1)
	s_or_b32 exec_lo, exec_lo, s5
.LBB12_50:
	s_delay_alu instid0(SALU_CYCLE_1) | instskip(SKIP_2) | instid1(VALU_DEP_1)
	s_or_b32 exec_lo, exec_lo, s4
	v_add_nc_u32_e32 v2, 0x300, v11
	s_mov_b32 s4, exec_lo
	v_cmpx_lt_i32_e64 v2, v4
	s_cbranch_execnz .LBB12_56
; %bb.51:
	s_or_b32 exec_lo, exec_lo, s4
	s_and_saveexec_b32 s1, s0
	s_delay_alu instid0(SALU_CYCLE_1)
	s_xor_b32 s0, exec_lo, s1
	s_cbranch_execnz .LBB12_69
.LBB12_52:
	s_or_b32 exec_lo, exec_lo, s0
	s_delay_alu instid0(SALU_CYCLE_1)
	s_mov_b32 s0, exec_lo
	v_cmpx_lt_i32_e64 v11, v4
	s_cbranch_execnz .LBB12_70
.LBB12_53:
	s_or_b32 exec_lo, exec_lo, s0
	s_delay_alu instid0(SALU_CYCLE_1)
	s_mov_b32 s0, exec_lo
	v_cmpx_lt_i32_e64 v11, v4
	s_cbranch_execnz .LBB12_71
.LBB12_54:
	s_or_b32 exec_lo, exec_lo, s0
	s_delay_alu instid0(SALU_CYCLE_1)
	s_mov_b32 s0, exec_lo
	v_cmpx_lt_i32_e64 v11, v4
	s_cbranch_execnz .LBB12_72
.LBB12_55:
	s_or_b32 exec_lo, exec_lo, s0
	s_waitcnt vmcnt(0) lgkmcnt(0)
	s_setpc_b64 s[30:31]
.LBB12_56:
	v_mov_b32_e32 v8, 0x7f800000
	s_mov_b32 s5, exec_lo
	s_waitcnt vmcnt(0) lgkmcnt(0)
	v_cmpx_neq_f32_e32 0, v10
	s_cbranch_execz .LBB12_68
; %bb.57:
	v_mov_b32_e32 v8, 0x7fc00000
	s_mov_b32 s6, exec_lo
	v_cmpx_ngt_f32_e32 0, v10
	s_cbranch_execz .LBB12_67
; %bb.58:
	s_mov_b32 s1, exec_lo
	v_cmpx_ge_f32_e32 2.0, v10
	s_xor_b32 s7, exec_lo, s1
	s_cbranch_execz .LBB12_64
; %bb.59:
	v_mul_f32_e32 v2, 0.5, v10
	v_mul_f32_e32 v3, 0x3fb8aa3b, v10
	s_mov_b32 s1, exec_lo
                                        ; implicit-def: $vgpr13
                                        ; implicit-def: $vgpr8
	v_cmpx_ge_f32_e32 0x41000000, v10
	s_xor_b32 s1, exec_lo, s1
	s_cbranch_execz .LBB12_61
; %bb.60:
	v_add_f32_e32 v8, -2.0, v2
	s_mov_b32 s2, 0x224cf950
	v_rndne_f32_e32 v15, v3
	v_fma_f32 v16, 0x3fb8aa3b, v10, -v3
	v_cmp_ngt_f32_e32 vcc_lo, 0xc2ce8ed0, v10
	v_fmaak_f32 v13, s2, v8, 0xa3c2be86
	s_delay_alu instid0(VALU_DEP_3) | instskip(NEXT) | instid1(VALU_DEP_1)
	v_dual_sub_f32 v3, v3, v15 :: v_dual_fmamk_f32 v16, v10, 0x32a5705f, v16
	v_dual_fmaak_f32 v14, v8, v13, 0xa24cf950 :: v_dual_add_f32 v3, v3, v16
	s_delay_alu instid0(VALU_DEP_1) | instskip(NEXT) | instid1(VALU_DEP_2)
	v_add_f32_e32 v14, 0x25331f1f, v14
	v_exp_f32_e32 v3, v3
	s_delay_alu instid0(VALU_DEP_1) | instskip(NEXT) | instid1(VALU_DEP_1)
	v_fma_f32 v13, v8, v14, -v13
	v_add_f32_e32 v13, 0xa69f5554, v13
	s_delay_alu instid0(VALU_DEP_1) | instskip(NEXT) | instid1(VALU_DEP_1)
	v_fma_f32 v14, v8, v13, -v14
	v_add_f32_e32 v14, 0x2808ebf8, v14
	;; [unrolled: 3-line block ×25, first 2 shown]
	s_delay_alu instid0(VALU_DEP_1) | instskip(SKIP_1) | instid1(VALU_DEP_2)
	v_fma_f32 v8, v8, v13, -v14
	v_cvt_i32_f32_e32 v13, v15
	v_add_f32_e32 v8, 0x3e81531c, v8
	s_delay_alu instid0(VALU_DEP_2) | instskip(NEXT) | instid1(VALU_DEP_1)
	v_ldexp_f32 v3, v3, v13
	v_dual_sub_f32 v8, v8, v14 :: v_dual_cndmask_b32 v3, 0, v3
	v_cmp_nlt_f32_e32 vcc_lo, 0x42b17218, v10
	s_delay_alu instid0(VALU_DEP_2) | instskip(NEXT) | instid1(VALU_DEP_1)
	v_mul_f32_e32 v8, 0.5, v8
	v_dual_mul_f32 v13, v10, v8 :: v_dual_cndmask_b32 v8, 0x7f800000, v3
                                        ; implicit-def: $vgpr3
	s_delay_alu instid0(VALU_DEP_1)
	v_mul_f32_e32 v13, v8, v13
.LBB12_61:
	s_and_not1_saveexec_b32 s2, s1
	s_cbranch_execz .LBB12_63
; %bb.62:
	v_div_scale_f32 v8, null, v10, v10, 0x42000000
	v_div_scale_f32 v15, vcc_lo, 0x42000000, v10, 0x42000000
	s_mov_b32 s1, 0x230aab6e
	s_delay_alu instid0(VALU_DEP_2) | instskip(SKIP_1) | instid1(VALU_DEP_1)
	v_rcp_f32_e32 v13, v8
	v_fma_f32 v17, 0x3fb8aa3b, v10, -v3
	v_fmamk_f32 v17, v10, 0x32a5705f, v17
	s_waitcnt_depctr 0xfff
	v_fma_f32 v14, -v8, v13, 1.0
	s_delay_alu instid0(VALU_DEP_1) | instskip(NEXT) | instid1(VALU_DEP_1)
	v_fmac_f32_e32 v13, v14, v13
	v_mul_f32_e32 v14, v15, v13
	s_delay_alu instid0(VALU_DEP_1) | instskip(NEXT) | instid1(VALU_DEP_1)
	v_fma_f32 v16, -v8, v14, v15
	v_fmac_f32_e32 v14, v16, v13
	v_rndne_f32_e32 v16, v3
	s_delay_alu instid0(VALU_DEP_2) | instskip(SKIP_1) | instid1(VALU_DEP_3)
	v_fma_f32 v8, -v8, v14, v15
	v_mul_f32_e32 v15, 0x4f800000, v10
	v_sub_f32_e32 v3, v3, v16
	v_cvt_i32_f32_e32 v16, v16
	s_delay_alu instid0(VALU_DEP_4) | instskip(SKIP_1) | instid1(VALU_DEP_4)
	v_div_fmas_f32 v8, v8, v13, v14
	v_cmp_gt_f32_e32 vcc_lo, 0xf800000, v10
	v_add_f32_e32 v3, v3, v17
	s_delay_alu instid0(VALU_DEP_3) | instskip(SKIP_1) | instid1(VALU_DEP_3)
	v_div_fixup_f32 v8, v8, v10, 0x42000000
	v_cndmask_b32_e32 v15, v10, v15, vcc_lo
	v_exp_f32_e32 v3, v3
	s_delay_alu instid0(VALU_DEP_2) | instskip(NEXT) | instid1(VALU_DEP_2)
	v_add_f32_e32 v8, -2.0, v8
	v_sqrt_f32_e32 v18, v15
	s_delay_alu instid0(VALU_DEP_1) | instskip(SKIP_3) | instid1(VALU_DEP_1)
	v_fmaak_f32 v13, s1, v8, 0x22a2dc57
	s_waitcnt_depctr 0xfff
	v_ldexp_f32 v3, v3, v16
	v_dual_fmaak_f32 v14, v8, v13, 0xa30aab6e :: v_dual_add_nc_u32 v19, 1, v18
	v_add_f32_e32 v14, 0xa456751e, v14
	s_delay_alu instid0(VALU_DEP_2) | instskip(NEXT) | instid1(VALU_DEP_2)
	v_fma_f32 v21, -v19, v18, v15
	v_fma_f32 v13, v8, v14, -v13
	s_delay_alu instid0(VALU_DEP_1) | instskip(NEXT) | instid1(VALU_DEP_1)
	v_add_f32_e32 v13, 0xa4140365, v13
	v_fma_f32 v14, v8, v13, -v14
	s_delay_alu instid0(VALU_DEP_1) | instskip(NEXT) | instid1(VALU_DEP_1)
	v_add_f32_e32 v14, 0x25aac8b0, v14
	;; [unrolled: 3-line block ×21, first 2 shown]
	v_fma_f32 v8, v8, v13, -v14
	s_delay_alu instid0(VALU_DEP_1) | instskip(NEXT) | instid1(VALU_DEP_1)
	v_dual_add_f32 v8, 0x3f4750c6, v8 :: v_dual_add_nc_u32 v17, -1, v18
	v_fma_f32 v20, -v17, v18, v15
	s_delay_alu instid0(VALU_DEP_2) | instskip(NEXT) | instid1(VALU_DEP_2)
	v_sub_f32_e32 v14, v8, v14
	v_cmp_ge_f32_e64 s1, 0, v20
	s_delay_alu instid0(VALU_DEP_1) | instskip(SKIP_1) | instid1(VALU_DEP_1)
	v_cndmask_b32_e64 v17, v18, v17, s1
	v_cmp_lt_f32_e64 s1, 0, v21
	v_cndmask_b32_e64 v13, v17, v19, s1
	v_cmp_ngt_f32_e64 s1, 0xc2ce8ed0, v10
	s_delay_alu instid0(VALU_DEP_2) | instskip(NEXT) | instid1(VALU_DEP_2)
	v_mul_f32_e32 v16, 0x37800000, v13
	v_cndmask_b32_e64 v3, 0, v3, s1
	v_cmp_nlt_f32_e64 s1, 0x42b17218, v10
	s_delay_alu instid0(VALU_DEP_1) | instskip(NEXT) | instid1(VALU_DEP_4)
	v_cndmask_b32_e64 v8, 0x7f800000, v3, s1
	v_cndmask_b32_e32 v3, v13, v16, vcc_lo
	v_mul_f32_e32 v13, 0.5, v14
	v_cmp_class_f32_e64 vcc_lo, v15, 0x260
	s_delay_alu instid0(VALU_DEP_2) | instskip(NEXT) | instid1(VALU_DEP_4)
	v_mul_f32_e32 v13, v8, v13
	v_cndmask_b32_e32 v3, v3, v15, vcc_lo
	s_delay_alu instid0(VALU_DEP_1) | instskip(NEXT) | instid1(VALU_DEP_1)
	v_div_scale_f32 v14, null, v3, v3, v13
	v_rcp_f32_e32 v15, v14
	s_waitcnt_depctr 0xfff
	v_fma_f32 v16, -v14, v15, 1.0
	s_delay_alu instid0(VALU_DEP_1) | instskip(SKIP_1) | instid1(VALU_DEP_1)
	v_fmac_f32_e32 v15, v16, v15
	v_div_scale_f32 v16, vcc_lo, v13, v3, v13
	v_mul_f32_e32 v17, v16, v15
	s_delay_alu instid0(VALU_DEP_1) | instskip(NEXT) | instid1(VALU_DEP_1)
	v_fma_f32 v18, -v14, v17, v16
	v_fmac_f32_e32 v17, v18, v15
	s_delay_alu instid0(VALU_DEP_1) | instskip(NEXT) | instid1(VALU_DEP_1)
	v_fma_f32 v14, -v14, v17, v16
	v_div_fmas_f32 v14, v14, v15, v17
	s_delay_alu instid0(VALU_DEP_1)
	v_div_fixup_f32 v13, v14, v3, v13
.LBB12_63:
	s_or_b32 exec_lo, exec_lo, s2
	v_fma_f32 v3, v10, v10, -2.0
	s_mov_b32 s1, 0xa3019142
	v_cmp_gt_f32_e32 vcc_lo, 0x800000, v2
	s_delay_alu instid0(VALU_DEP_2) | instskip(NEXT) | instid1(VALU_DEP_1)
	v_fmaak_f32 v14, s1, v3, 0xa72eea8c
	v_fmaak_f32 v15, v3, v14, 0x23019142
	s_delay_alu instid0(VALU_DEP_1) | instskip(NEXT) | instid1(VALU_DEP_1)
	v_add_f32_e32 v15, 0xab3ba817, v15
	v_fma_f32 v14, v3, v15, -v14
	s_delay_alu instid0(VALU_DEP_1) | instskip(NEXT) | instid1(VALU_DEP_1)
	v_add_f32_e32 v14, 0xaf1b31de, v14
	v_fma_f32 v15, v3, v14, -v15
	;; [unrolled: 3-line block ×8, first 2 shown]
	s_delay_alu instid0(VALU_DEP_1) | instskip(NEXT) | instid1(VALU_DEP_1)
	v_add_f32_e32 v3, 0x3fc33d0a, v3
	v_sub_f32_e32 v3, v3, v15
	v_cndmask_b32_e64 v15, 1.0, 0x4f800000, vcc_lo
	s_delay_alu instid0(VALU_DEP_2) | instskip(NEXT) | instid1(VALU_DEP_2)
	v_mul_f32_e32 v3, 0.5, v3
	v_mul_f32_e32 v2, v2, v15
	s_delay_alu instid0(VALU_DEP_2) | instskip(NEXT) | instid1(VALU_DEP_2)
	v_div_scale_f32 v14, null, v10, v10, v3
	v_log_f32_e32 v2, v2
	v_div_scale_f32 v17, s1, v3, v10, v3
	s_delay_alu instid0(VALU_DEP_2) | instskip(SKIP_3) | instid1(VALU_DEP_1)
	v_rcp_f32_e32 v16, v14
	s_waitcnt_depctr 0xfff
	v_cmp_gt_f32_e64 s2, 0x7f800000, |v2|
	v_fma_f32 v15, -v14, v16, 1.0
	v_dual_fmac_f32 v16, v15, v16 :: v_dual_mul_f32 v15, 0x3f317217, v2
	s_delay_alu instid0(VALU_DEP_1) | instskip(NEXT) | instid1(VALU_DEP_2)
	v_mul_f32_e32 v18, v17, v16
	v_fma_f32 v19, 0x3f317217, v2, -v15
	s_delay_alu instid0(VALU_DEP_2) | instskip(NEXT) | instid1(VALU_DEP_1)
	v_fma_f32 v20, -v14, v18, v17
	v_dual_fmamk_f32 v19, v2, 0x3377d1cf, v19 :: v_dual_fmac_f32 v18, v20, v16
	s_delay_alu instid0(VALU_DEP_1) | instskip(NEXT) | instid1(VALU_DEP_2)
	v_add_f32_e32 v15, v15, v19
	v_fma_f32 v14, -v14, v18, v17
	s_delay_alu instid0(VALU_DEP_2) | instskip(SKIP_2) | instid1(VALU_DEP_3)
	v_cndmask_b32_e64 v2, v2, v15, s2
	v_cndmask_b32_e64 v15, 0, 0x41b17218, vcc_lo
	s_mov_b32 vcc_lo, s1
	v_div_fmas_f32 v14, v14, v16, v18
	s_delay_alu instid0(VALU_DEP_2) | instskip(NEXT) | instid1(VALU_DEP_2)
	v_sub_f32_e32 v2, v2, v15
	v_div_fixup_f32 v3, v14, v10, v3
                                        ; implicit-def: $vgpr10
	s_delay_alu instid0(VALU_DEP_1) | instskip(NEXT) | instid1(VALU_DEP_1)
	v_fmac_f32_e32 v3, v2, v13
	v_mul_f32_e32 v8, v8, v3
.LBB12_64:
	s_and_not1_saveexec_b32 s2, s7
	s_cbranch_execz .LBB12_66
; %bb.65:
	v_div_scale_f32 v2, null, v10, v10, 0x41000000
	v_div_scale_f32 v13, vcc_lo, 0x41000000, v10, 0x41000000
	s_mov_b32 s1, 0xa2d462ea
	s_delay_alu instid0(VALU_DEP_2) | instskip(SKIP_2) | instid1(VALU_DEP_1)
	v_rcp_f32_e32 v3, v2
	s_waitcnt_depctr 0xfff
	v_fma_f32 v8, -v2, v3, 1.0
	v_fmac_f32_e32 v3, v8, v3
	s_delay_alu instid0(VALU_DEP_1) | instskip(NEXT) | instid1(VALU_DEP_1)
	v_mul_f32_e32 v8, v13, v3
	v_fma_f32 v14, -v2, v8, v13
	s_delay_alu instid0(VALU_DEP_1) | instskip(NEXT) | instid1(VALU_DEP_1)
	v_fmac_f32_e32 v8, v14, v3
	v_fma_f32 v2, -v2, v8, v13
	v_mul_f32_e32 v13, 0x4f800000, v10
	s_delay_alu instid0(VALU_DEP_2) | instskip(SKIP_1) | instid1(VALU_DEP_2)
	v_div_fmas_f32 v2, v2, v3, v8
	v_cmp_gt_f32_e32 vcc_lo, 0xf800000, v10
	v_div_fixup_f32 v2, v2, v10, 0x41000000
	s_delay_alu instid0(VALU_DEP_4) | instskip(NEXT) | instid1(VALU_DEP_2)
	v_cndmask_b32_e32 v10, v10, v13, vcc_lo
	v_add_f32_e32 v2, -2.0, v2
	s_delay_alu instid0(VALU_DEP_2) | instskip(NEXT) | instid1(VALU_DEP_1)
	v_sqrt_f32_e32 v13, v10
	v_fmaak_f32 v3, s1, v2, 0x23a578d4
	s_waitcnt_depctr 0xfff
	v_dual_fmaak_f32 v8, v2, v3, 0x22d462ea :: v_dual_add_nc_u32 v15, 1, v13
	v_add_nc_u32_e32 v14, -1, v13
	s_delay_alu instid0(VALU_DEP_2) | instskip(NEXT) | instid1(VALU_DEP_2)
	v_fma_f32 v17, -v15, v13, v10
	v_fma_f32 v16, -v14, v13, v10
	s_delay_alu instid0(VALU_DEP_1) | instskip(NEXT) | instid1(VALU_DEP_1)
	v_cmp_ge_f32_e64 s1, 0, v16
	v_cndmask_b32_e64 v13, v13, v14, s1
	s_delay_alu instid0(VALU_DEP_4) | instskip(NEXT) | instid1(VALU_DEP_1)
	v_cmp_lt_f32_e64 s1, 0, v17
	v_cndmask_b32_e64 v13, v13, v15, s1
	v_add_f32_e32 v8, 0xa48330a9, v8
	s_delay_alu instid0(VALU_DEP_1) | instskip(NEXT) | instid1(VALU_DEP_1)
	v_fma_f32 v3, v2, v8, -v3
	v_add_f32_e32 v3, 0x2553eaf2, v3
	s_delay_alu instid0(VALU_DEP_1) | instskip(NEXT) | instid1(VALU_DEP_1)
	v_fma_f32 v8, v2, v3, -v8
	;; [unrolled: 3-line block ×21, first 2 shown]
	v_add_f32_e32 v3, 0x3dd4d5f8, v3
	s_delay_alu instid0(VALU_DEP_1) | instskip(SKIP_1) | instid1(VALU_DEP_1)
	v_fma_f32 v2, v2, v3, -v8
	v_mul_f32_e32 v3, 0x37800000, v13
	v_dual_add_f32 v2, 0x402e1ebd, v2 :: v_dual_cndmask_b32 v3, v13, v3
	v_cmp_class_f32_e64 vcc_lo, v10, 0x260
	s_delay_alu instid0(VALU_DEP_2) | instskip(NEXT) | instid1(VALU_DEP_1)
	v_dual_sub_f32 v2, v2, v8 :: v_dual_cndmask_b32 v3, v3, v10
	v_mul_f32_e32 v2, 0.5, v2
	s_delay_alu instid0(VALU_DEP_1) | instskip(NEXT) | instid1(VALU_DEP_1)
	v_div_scale_f32 v8, null, v3, v3, v2
	v_rcp_f32_e32 v10, v8
	s_waitcnt_depctr 0xfff
	v_fma_f32 v13, -v8, v10, 1.0
	s_delay_alu instid0(VALU_DEP_1) | instskip(SKIP_1) | instid1(VALU_DEP_1)
	v_fmac_f32_e32 v10, v13, v10
	v_div_scale_f32 v13, vcc_lo, v2, v3, v2
	v_mul_f32_e32 v14, v13, v10
	s_delay_alu instid0(VALU_DEP_1) | instskip(NEXT) | instid1(VALU_DEP_1)
	v_fma_f32 v15, -v8, v14, v13
	v_fmac_f32_e32 v14, v15, v10
	s_delay_alu instid0(VALU_DEP_1) | instskip(NEXT) | instid1(VALU_DEP_1)
	v_fma_f32 v8, -v8, v14, v13
	v_div_fmas_f32 v8, v8, v10, v14
	s_delay_alu instid0(VALU_DEP_1)
	v_div_fixup_f32 v8, v8, v3, v2
.LBB12_66:
	s_or_b32 exec_lo, exec_lo, s2
.LBB12_67:
	s_delay_alu instid0(SALU_CYCLE_1)
	s_or_b32 exec_lo, exec_lo, s6
.LBB12_68:
	s_delay_alu instid0(SALU_CYCLE_1) | instskip(NEXT) | instid1(SALU_CYCLE_1)
	s_or_b32 exec_lo, exec_lo, s5
	s_or_b32 exec_lo, exec_lo, s4
	s_and_saveexec_b32 s1, s0
	s_delay_alu instid0(SALU_CYCLE_1)
	s_xor_b32 s0, exec_lo, s1
	s_cbranch_execz .LBB12_52
.LBB12_69:
	s_waitcnt vmcnt(0) lgkmcnt(0)
	v_dual_mov_b32 v10, 0 :: v_dual_mov_b32 v11, v12
	s_delay_alu instid0(VALU_DEP_1) | instskip(NEXT) | instid1(VALU_DEP_1)
	v_lshlrev_b64 v[2:3], 2, v[9:10]
	v_add_co_u32 v2, vcc_lo, v0, v2
	s_delay_alu instid0(VALU_DEP_2) | instskip(SKIP_2) | instid1(SALU_CYCLE_1)
	v_add_co_ci_u32_e32 v3, vcc_lo, v1, v3, vcc_lo
	flat_store_b32 v[2:3], v5
	s_or_b32 exec_lo, exec_lo, s0
	s_mov_b32 s0, exec_lo
	v_cmpx_lt_i32_e64 v11, v4
	s_cbranch_execz .LBB12_53
.LBB12_70:
	v_dual_mov_b32 v3, 0 :: v_dual_add_nc_u32 v2, s3, v11
	v_add_nc_u32_e32 v11, 0x100, v11
	s_delay_alu instid0(VALU_DEP_2) | instskip(NEXT) | instid1(VALU_DEP_1)
	v_lshlrev_b64 v[2:3], 2, v[2:3]
	v_add_co_u32 v2, vcc_lo, v0, v2
	s_delay_alu instid0(VALU_DEP_2) | instskip(SKIP_2) | instid1(SALU_CYCLE_1)
	v_add_co_ci_u32_e32 v3, vcc_lo, v1, v3, vcc_lo
	flat_store_b32 v[2:3], v6
	s_or_b32 exec_lo, exec_lo, s0
	s_mov_b32 s0, exec_lo
	v_cmpx_lt_i32_e64 v11, v4
	s_cbranch_execz .LBB12_54
.LBB12_71:
	v_dual_mov_b32 v3, 0 :: v_dual_add_nc_u32 v2, s3, v11
	v_add_nc_u32_e32 v11, 0x100, v11
	s_delay_alu instid0(VALU_DEP_2) | instskip(NEXT) | instid1(VALU_DEP_1)
	v_lshlrev_b64 v[2:3], 2, v[2:3]
	v_add_co_u32 v2, vcc_lo, v0, v2
	s_delay_alu instid0(VALU_DEP_2) | instskip(SKIP_2) | instid1(SALU_CYCLE_1)
	v_add_co_ci_u32_e32 v3, vcc_lo, v1, v3, vcc_lo
	flat_store_b32 v[2:3], v7
	s_or_b32 exec_lo, exec_lo, s0
	s_mov_b32 s0, exec_lo
	v_cmpx_lt_i32_e64 v11, v4
	s_cbranch_execz .LBB12_55
.LBB12_72:
	v_dual_mov_b32 v3, 0 :: v_dual_add_nc_u32 v2, s3, v11
	s_delay_alu instid0(VALU_DEP_1) | instskip(NEXT) | instid1(VALU_DEP_1)
	v_lshlrev_b64 v[2:3], 2, v[2:3]
	v_add_co_u32 v0, vcc_lo, v0, v2
	s_delay_alu instid0(VALU_DEP_2)
	v_add_co_ci_u32_e32 v1, vcc_lo, v1, v3, vcc_lo
	flat_store_b32 v[0:1], v8
	s_or_b32 exec_lo, exec_lo, s0
	s_waitcnt vmcnt(0) lgkmcnt(0)
	s_setpc_b64 s[30:31]
.Lfunc_end12:
	.size	_ZN2at6native25elementwise_kernel_helperILb0EZZZNS0_12_GLOBAL__N_137scaled_modified_bessel_k1_kernel_cudaERNS_18TensorIteratorBaseEENKUlvE_clEvENKUlvE0_clEvEUlfE_NS0_6memory8policies11unroll_baseILi256ESt5arrayIPcLm2EE23TrivialOffsetCalculatorILi1EjESF_NS8_15LoadWithoutCastENS8_16StoreWithoutCastELi4ELi1EEEEEvT0_T1_, .Lfunc_end12-_ZN2at6native25elementwise_kernel_helperILb0EZZZNS0_12_GLOBAL__N_137scaled_modified_bessel_k1_kernel_cudaERNS_18TensorIteratorBaseEENKUlvE_clEvENKUlvE0_clEvEUlfE_NS0_6memory8policies11unroll_baseILi256ESt5arrayIPcLm2EE23TrivialOffsetCalculatorILi1EjESF_NS8_15LoadWithoutCastENS8_16StoreWithoutCastELi4ELi1EEEEEvT0_T1_
                                        ; -- End function
	.section	.AMDGPU.csdata,"",@progbits
; Function info:
; codeLenInByte = 12836
; NumSgprs: 34
; NumVgprs: 32
; ScratchSize: 0
; MemoryBound: 0
	.text
	.p2align	2                               ; -- Begin function _ZN2at6native25elementwise_kernel_helperILb0EZZZNS0_12_GLOBAL__N_137scaled_modified_bessel_k1_kernel_cudaERNS_18TensorIteratorBaseEENKUlvE_clEvENKUlvE0_clEvEUlfE_NS0_6memory8policies10vectorizedILi4ESt5arrayIPcLm2EELi4EEEEEvT0_T1_
	.type	_ZN2at6native25elementwise_kernel_helperILb0EZZZNS0_12_GLOBAL__N_137scaled_modified_bessel_k1_kernel_cudaERNS_18TensorIteratorBaseEENKUlvE_clEvENKUlvE0_clEvEUlfE_NS0_6memory8policies10vectorizedILi4ESt5arrayIPcLm2EELi4EEEEEvT0_T1_,@function
_ZN2at6native25elementwise_kernel_helperILb0EZZZNS0_12_GLOBAL__N_137scaled_modified_bessel_k1_kernel_cudaERNS_18TensorIteratorBaseEENKUlvE_clEvENKUlvE0_clEvEUlfE_NS0_6memory8policies10vectorizedILi4ESt5arrayIPcLm2EELi4EEEEEvT0_T1_: ; @_ZN2at6native25elementwise_kernel_helperILb0EZZZNS0_12_GLOBAL__N_137scaled_modified_bessel_k1_kernel_cudaERNS_18TensorIteratorBaseEENKUlvE_clEvENKUlvE0_clEvEUlfE_NS0_6memory8policies10vectorizedILi4ESt5arrayIPcLm2EELi4EEEEEvT0_T1_
; %bb.0:
	s_waitcnt vmcnt(0) expcnt(0) lgkmcnt(0)
	s_lshl_b32 s0, s12, 10
	v_and_b32_e32 v4, 0x3ff, v31
	s_ashr_i32 s1, s0, 31
	s_mov_b32 s4, exec_lo
	s_lshl_b64 s[2:3], s[0:1], 2
	s_delay_alu instid0(VALU_DEP_1) | instskip(SKIP_2) | instid1(VALU_DEP_2)
	v_lshlrev_b32_e32 v10, 4, v4
	v_add_co_u32 v2, vcc_lo, v2, s2
	v_add_co_ci_u32_e32 v3, vcc_lo, s3, v3, vcc_lo
	v_add_co_u32 v2, vcc_lo, v2, v10
	s_delay_alu instid0(VALU_DEP_2)
	v_add_co_ci_u32_e32 v3, vcc_lo, 0, v3, vcc_lo
	flat_load_b128 v[6:9], v[2:3]
	v_dual_mov_b32 v3, 0x7f800000 :: v_dual_mov_b32 v2, 0x7f800000
	s_waitcnt vmcnt(0) lgkmcnt(0)
	v_cmpx_neq_f32_e32 0, v6
	s_cbranch_execz .LBB13_12
; %bb.1:
	v_mov_b32_e32 v2, 0x7fc00000
	s_mov_b32 s5, exec_lo
	v_cmpx_ngt_f32_e32 0, v6
	s_cbranch_execz .LBB13_11
; %bb.2:
	s_mov_b32 s0, exec_lo
	v_cmpx_ge_f32_e32 2.0, v6
	s_xor_b32 s6, exec_lo, s0
	s_cbranch_execz .LBB13_8
; %bb.3:
	v_mul_f32_e32 v2, 0.5, v6
	v_mul_f32_e32 v4, 0x3fb8aa3b, v6
	s_mov_b32 s0, exec_lo
                                        ; implicit-def: $vgpr11
                                        ; implicit-def: $vgpr5
	v_cmpx_ge_f32_e32 0x41000000, v6
	s_xor_b32 s0, exec_lo, s0
	s_cbranch_execz .LBB13_5
; %bb.4:
	v_add_f32_e32 v5, -2.0, v2
	v_rndne_f32_e32 v13, v4
	v_fma_f32 v14, 0x3fb8aa3b, v6, -v4
	s_mov_b32 s1, 0x224cf950
	v_cmp_ngt_f32_e32 vcc_lo, 0xc2ce8ed0, v6
	s_delay_alu instid0(VALU_DEP_3) | instskip(NEXT) | instid1(VALU_DEP_3)
	v_sub_f32_e32 v4, v4, v13
	v_fmamk_f32 v14, v6, 0x32a5705f, v14
	s_delay_alu instid0(VALU_DEP_1) | instskip(NEXT) | instid1(VALU_DEP_1)
	v_dual_fmaak_f32 v11, s1, v5, 0xa3c2be86 :: v_dual_add_f32 v4, v4, v14
	v_fmaak_f32 v12, v5, v11, 0xa24cf950
	s_delay_alu instid0(VALU_DEP_2) | instskip(NEXT) | instid1(VALU_DEP_1)
	v_exp_f32_e32 v4, v4
	v_add_f32_e32 v12, 0x25331f1f, v12
	s_delay_alu instid0(VALU_DEP_1) | instskip(NEXT) | instid1(VALU_DEP_1)
	v_fma_f32 v11, v5, v12, -v11
	v_add_f32_e32 v11, 0xa69f5554, v11
	s_delay_alu instid0(VALU_DEP_1) | instskip(NEXT) | instid1(VALU_DEP_1)
	v_fma_f32 v12, v5, v11, -v12
	;; [unrolled: 3-line block ×25, first 2 shown]
	v_add_f32_e32 v11, 0xbe34a688, v11
	s_delay_alu instid0(VALU_DEP_1) | instskip(SKIP_1) | instid1(VALU_DEP_2)
	v_fma_f32 v5, v5, v11, -v12
	v_cvt_i32_f32_e32 v11, v13
	v_add_f32_e32 v5, 0x3e81531c, v5
	s_delay_alu instid0(VALU_DEP_2) | instskip(NEXT) | instid1(VALU_DEP_2)
	v_ldexp_f32 v4, v4, v11
	v_sub_f32_e32 v5, v5, v12
	s_delay_alu instid0(VALU_DEP_2) | instskip(SKIP_1) | instid1(VALU_DEP_3)
	v_cndmask_b32_e32 v4, 0, v4, vcc_lo
	v_cmp_nlt_f32_e32 vcc_lo, 0x42b17218, v6
	v_mul_f32_e32 v5, 0.5, v5
	s_delay_alu instid0(VALU_DEP_1) | instskip(NEXT) | instid1(VALU_DEP_4)
	v_mul_f32_e32 v11, v6, v5
	v_cndmask_b32_e32 v5, 0x7f800000, v4, vcc_lo
                                        ; implicit-def: $vgpr4
	s_delay_alu instid0(VALU_DEP_1)
	v_mul_f32_e32 v11, v5, v11
.LBB13_5:
	s_and_not1_saveexec_b32 s1, s0
	s_cbranch_execz .LBB13_7
; %bb.6:
	v_div_scale_f32 v5, null, v6, v6, 0x42000000
	v_div_scale_f32 v13, vcc_lo, 0x42000000, v6, 0x42000000
	s_mov_b32 s0, 0x230aab6e
	s_delay_alu instid0(VALU_DEP_2) | instskip(SKIP_3) | instid1(VALU_DEP_1)
	v_rcp_f32_e32 v11, v5
	v_fma_f32 v15, 0x3fb8aa3b, v6, -v4
	s_waitcnt_depctr 0xfff
	v_fma_f32 v12, -v5, v11, 1.0
	v_fmac_f32_e32 v11, v12, v11
	s_delay_alu instid0(VALU_DEP_1) | instskip(NEXT) | instid1(VALU_DEP_1)
	v_mul_f32_e32 v12, v13, v11
	v_fma_f32 v14, -v5, v12, v13
	s_delay_alu instid0(VALU_DEP_1) | instskip(SKIP_1) | instid1(VALU_DEP_2)
	v_fmac_f32_e32 v12, v14, v11
	v_rndne_f32_e32 v14, v4
	v_fma_f32 v5, -v5, v12, v13
	s_delay_alu instid0(VALU_DEP_2) | instskip(SKIP_1) | instid1(VALU_DEP_3)
	v_sub_f32_e32 v4, v4, v14
	v_cvt_i32_f32_e32 v14, v14
	v_div_fmas_f32 v5, v5, v11, v12
	v_cmp_gt_f32_e32 vcc_lo, 0xf800000, v6
	v_fmamk_f32 v15, v6, 0x32a5705f, v15
	v_mul_f32_e32 v13, 0x4f800000, v6
	s_delay_alu instid0(VALU_DEP_4) | instskip(NEXT) | instid1(VALU_DEP_2)
	v_div_fixup_f32 v5, v5, v6, 0x42000000
	v_dual_add_f32 v4, v4, v15 :: v_dual_cndmask_b32 v13, v6, v13
	s_delay_alu instid0(VALU_DEP_2) | instskip(NEXT) | instid1(VALU_DEP_2)
	v_add_f32_e32 v5, -2.0, v5
	v_exp_f32_e32 v4, v4
	s_delay_alu instid0(VALU_DEP_2) | instskip(NEXT) | instid1(VALU_DEP_1)
	v_sqrt_f32_e32 v16, v13
	v_fmaak_f32 v11, s0, v5, 0x22a2dc57
	s_delay_alu instid0(VALU_DEP_1)
	v_fmaak_f32 v12, v5, v11, 0xa30aab6e
	s_waitcnt_depctr 0xfff
	v_ldexp_f32 v4, v4, v14
	v_add_nc_u32_e32 v15, -1, v16
	v_add_nc_u32_e32 v17, 1, v16
	v_add_f32_e32 v12, 0xa456751e, v12
	s_delay_alu instid0(VALU_DEP_3) | instskip(NEXT) | instid1(VALU_DEP_3)
	v_fma_f32 v18, -v15, v16, v13
	v_fma_f32 v19, -v17, v16, v13
	s_delay_alu instid0(VALU_DEP_3) | instskip(NEXT) | instid1(VALU_DEP_3)
	v_fma_f32 v11, v5, v12, -v11
	v_cmp_ge_f32_e64 s0, 0, v18
	s_delay_alu instid0(VALU_DEP_2) | instskip(NEXT) | instid1(VALU_DEP_2)
	v_add_f32_e32 v11, 0xa4140365, v11
	v_cndmask_b32_e64 v15, v16, v15, s0
	v_cmp_lt_f32_e64 s0, 0, v19
	s_delay_alu instid0(VALU_DEP_3) | instskip(NEXT) | instid1(VALU_DEP_1)
	v_fma_f32 v12, v5, v11, -v12
	v_add_f32_e32 v12, 0x25aac8b0, v12
	s_delay_alu instid0(VALU_DEP_1) | instskip(NEXT) | instid1(VALU_DEP_1)
	v_fma_f32 v11, v5, v12, -v11
	v_add_f32_e32 v11, 0x25beb473, v11
	s_delay_alu instid0(VALU_DEP_1) | instskip(NEXT) | instid1(VALU_DEP_1)
	;; [unrolled: 3-line block ×19, first 2 shown]
	v_fma_f32 v11, v5, v12, -v11
	v_add_f32_e32 v11, 0xbc1fed03, v11
	s_delay_alu instid0(VALU_DEP_1) | instskip(SKIP_2) | instid1(VALU_DEP_3)
	v_fma_f32 v5, v5, v11, -v12
	v_cndmask_b32_e64 v11, v15, v17, s0
	v_cmp_ngt_f32_e64 s0, 0xc2ce8ed0, v6
	v_add_f32_e32 v5, 0x3f4750c6, v5
	s_delay_alu instid0(VALU_DEP_3) | instskip(NEXT) | instid1(VALU_DEP_3)
	v_mul_f32_e32 v14, 0x37800000, v11
	v_cndmask_b32_e64 v4, 0, v4, s0
	v_cmp_nlt_f32_e64 s0, 0x42b17218, v6
	s_delay_alu instid0(VALU_DEP_4) | instskip(NEXT) | instid1(VALU_DEP_2)
	v_sub_f32_e32 v12, v5, v12
	v_cndmask_b32_e64 v5, 0x7f800000, v4, s0
	s_delay_alu instid0(VALU_DEP_2) | instskip(SKIP_1) | instid1(VALU_DEP_2)
	v_dual_cndmask_b32 v4, v11, v14 :: v_dual_mul_f32 v11, 0.5, v12
	v_cmp_class_f32_e64 vcc_lo, v13, 0x260
	v_dual_mul_f32 v11, v5, v11 :: v_dual_cndmask_b32 v4, v4, v13
	s_delay_alu instid0(VALU_DEP_1) | instskip(NEXT) | instid1(VALU_DEP_1)
	v_div_scale_f32 v12, null, v4, v4, v11
	v_rcp_f32_e32 v13, v12
	s_waitcnt_depctr 0xfff
	v_fma_f32 v14, -v12, v13, 1.0
	s_delay_alu instid0(VALU_DEP_1) | instskip(SKIP_1) | instid1(VALU_DEP_1)
	v_fmac_f32_e32 v13, v14, v13
	v_div_scale_f32 v14, vcc_lo, v11, v4, v11
	v_mul_f32_e32 v15, v14, v13
	s_delay_alu instid0(VALU_DEP_1) | instskip(NEXT) | instid1(VALU_DEP_1)
	v_fma_f32 v16, -v12, v15, v14
	v_fmac_f32_e32 v15, v16, v13
	s_delay_alu instid0(VALU_DEP_1) | instskip(NEXT) | instid1(VALU_DEP_1)
	v_fma_f32 v12, -v12, v15, v14
	v_div_fmas_f32 v12, v12, v13, v15
	s_delay_alu instid0(VALU_DEP_1)
	v_div_fixup_f32 v11, v12, v4, v11
.LBB13_7:
	s_or_b32 exec_lo, exec_lo, s1
	v_fma_f32 v4, v6, v6, -2.0
	s_mov_b32 s0, 0xa3019142
	v_cmp_gt_f32_e32 vcc_lo, 0x800000, v2
	s_delay_alu instid0(VALU_DEP_2) | instskip(NEXT) | instid1(VALU_DEP_1)
	v_fmaak_f32 v12, s0, v4, 0xa72eea8c
	v_fmaak_f32 v13, v4, v12, 0x23019142
	s_delay_alu instid0(VALU_DEP_1) | instskip(NEXT) | instid1(VALU_DEP_1)
	v_add_f32_e32 v13, 0xab3ba817, v13
	v_fma_f32 v12, v4, v13, -v12
	s_delay_alu instid0(VALU_DEP_1) | instskip(NEXT) | instid1(VALU_DEP_1)
	v_add_f32_e32 v12, 0xaf1b31de, v12
	v_fma_f32 v13, v4, v12, -v13
	s_delay_alu instid0(VALU_DEP_1) | instskip(NEXT) | instid1(VALU_DEP_1)
	v_add_f32_e32 v13, 0xb2be20e9, v13
	v_fma_f32 v12, v4, v13, -v12
	s_delay_alu instid0(VALU_DEP_1) | instskip(NEXT) | instid1(VALU_DEP_1)
	v_add_f32_e32 v12, 0xb6234d99, v12
	v_fma_f32 v13, v4, v12, -v13
	s_delay_alu instid0(VALU_DEP_1) | instskip(NEXT) | instid1(VALU_DEP_1)
	v_add_f32_e32 v13, 0xb9356f17, v13
	v_fma_f32 v12, v4, v13, -v12
	s_delay_alu instid0(VALU_DEP_1) | instskip(NEXT) | instid1(VALU_DEP_1)
	v_add_f32_e32 v12, 0xbbe4949d, v12
	v_fma_f32 v13, v4, v12, -v13
	s_delay_alu instid0(VALU_DEP_1) | instskip(NEXT) | instid1(VALU_DEP_1)
	v_add_f32_e32 v13, 0xbdfb1b92, v13
	v_fma_f32 v12, v4, v13, -v12
	s_delay_alu instid0(VALU_DEP_1) | instskip(NEXT) | instid1(VALU_DEP_1)
	v_add_f32_e32 v12, 0xbeb4d0dc, v12
	v_fma_f32 v4, v4, v12, -v13
	s_delay_alu instid0(VALU_DEP_1) | instskip(NEXT) | instid1(VALU_DEP_1)
	v_add_f32_e32 v4, 0x3fc33d0a, v4
	v_sub_f32_e32 v4, v4, v13
	v_cndmask_b32_e64 v13, 1.0, 0x4f800000, vcc_lo
	s_delay_alu instid0(VALU_DEP_2) | instskip(NEXT) | instid1(VALU_DEP_2)
	v_mul_f32_e32 v4, 0.5, v4
	v_mul_f32_e32 v2, v2, v13
	s_delay_alu instid0(VALU_DEP_2) | instskip(NEXT) | instid1(VALU_DEP_2)
	v_div_scale_f32 v12, null, v6, v6, v4
	v_log_f32_e32 v2, v2
	v_div_scale_f32 v15, s0, v4, v6, v4
	s_delay_alu instid0(VALU_DEP_2) | instskip(SKIP_3) | instid1(VALU_DEP_1)
	v_rcp_f32_e32 v14, v12
	s_waitcnt_depctr 0xfff
	v_cmp_gt_f32_e64 s1, 0x7f800000, |v2|
	v_fma_f32 v13, -v12, v14, 1.0
	v_fmac_f32_e32 v14, v13, v14
	v_mul_f32_e32 v13, 0x3f317217, v2
	s_delay_alu instid0(VALU_DEP_1) | instskip(NEXT) | instid1(VALU_DEP_1)
	v_fma_f32 v17, 0x3f317217, v2, -v13
	v_dual_fmamk_f32 v17, v2, 0x3377d1cf, v17 :: v_dual_mul_f32 v16, v15, v14
	s_delay_alu instid0(VALU_DEP_1) | instskip(NEXT) | instid1(VALU_DEP_2)
	v_add_f32_e32 v13, v13, v17
	v_fma_f32 v18, -v12, v16, v15
	s_delay_alu instid0(VALU_DEP_2) | instskip(NEXT) | instid1(VALU_DEP_2)
	v_cndmask_b32_e64 v2, v2, v13, s1
	v_fmac_f32_e32 v16, v18, v14
	v_cndmask_b32_e64 v13, 0, 0x41b17218, vcc_lo
	s_mov_b32 vcc_lo, s0
	s_delay_alu instid0(VALU_DEP_2) | instskip(NEXT) | instid1(VALU_DEP_2)
	v_fma_f32 v12, -v12, v16, v15
	v_sub_f32_e32 v2, v2, v13
	s_delay_alu instid0(VALU_DEP_2) | instskip(NEXT) | instid1(VALU_DEP_1)
	v_div_fmas_f32 v12, v12, v14, v16
	v_div_fixup_f32 v4, v12, v6, v4
	s_delay_alu instid0(VALU_DEP_1) | instskip(NEXT) | instid1(VALU_DEP_1)
	v_fmac_f32_e32 v4, v2, v11
	v_mul_f32_e32 v2, v5, v4
.LBB13_8:
	s_and_not1_saveexec_b32 s1, s6
	s_cbranch_execz .LBB13_10
; %bb.9:
	v_div_scale_f32 v2, null, v6, v6, 0x41000000
	v_div_scale_f32 v11, vcc_lo, 0x41000000, v6, 0x41000000
	s_mov_b32 s0, 0xa2d462ea
	s_delay_alu instid0(VALU_DEP_2) | instskip(SKIP_2) | instid1(VALU_DEP_1)
	v_rcp_f32_e32 v4, v2
	s_waitcnt_depctr 0xfff
	v_fma_f32 v5, -v2, v4, 1.0
	v_fmac_f32_e32 v4, v5, v4
	s_delay_alu instid0(VALU_DEP_1) | instskip(NEXT) | instid1(VALU_DEP_1)
	v_mul_f32_e32 v5, v11, v4
	v_fma_f32 v12, -v2, v5, v11
	s_delay_alu instid0(VALU_DEP_1) | instskip(NEXT) | instid1(VALU_DEP_1)
	v_fmac_f32_e32 v5, v12, v4
	v_fma_f32 v2, -v2, v5, v11
	v_mul_f32_e32 v11, 0x4f800000, v6
	s_delay_alu instid0(VALU_DEP_2) | instskip(SKIP_1) | instid1(VALU_DEP_2)
	v_div_fmas_f32 v2, v2, v4, v5
	v_cmp_gt_f32_e32 vcc_lo, 0xf800000, v6
	v_div_fixup_f32 v2, v2, v6, 0x41000000
	s_delay_alu instid0(VALU_DEP_4) | instskip(NEXT) | instid1(VALU_DEP_2)
	v_cndmask_b32_e32 v6, v6, v11, vcc_lo
	v_add_f32_e32 v2, -2.0, v2
	s_delay_alu instid0(VALU_DEP_2) | instskip(NEXT) | instid1(VALU_DEP_1)
	v_sqrt_f32_e32 v11, v6
	v_fmaak_f32 v4, s0, v2, 0x23a578d4
	s_waitcnt_depctr 0xfff
	v_dual_fmaak_f32 v5, v2, v4, 0x22d462ea :: v_dual_add_nc_u32 v12, -1, v11
	v_add_nc_u32_e32 v13, 1, v11
	s_delay_alu instid0(VALU_DEP_2) | instskip(NEXT) | instid1(VALU_DEP_3)
	v_add_f32_e32 v5, 0xa48330a9, v5
	v_fma_f32 v14, -v12, v11, v6
	s_delay_alu instid0(VALU_DEP_3) | instskip(NEXT) | instid1(VALU_DEP_3)
	v_fma_f32 v15, -v13, v11, v6
	v_fma_f32 v4, v2, v5, -v4
	s_delay_alu instid0(VALU_DEP_3) | instskip(NEXT) | instid1(VALU_DEP_2)
	v_cmp_ge_f32_e64 s0, 0, v14
	v_add_f32_e32 v4, 0x2553eaf2, v4
	s_delay_alu instid0(VALU_DEP_2) | instskip(SKIP_1) | instid1(VALU_DEP_3)
	v_cndmask_b32_e64 v11, v11, v12, s0
	v_cmp_lt_f32_e64 s0, 0, v15
	v_fma_f32 v5, v2, v4, -v5
	s_delay_alu instid0(VALU_DEP_2) | instskip(NEXT) | instid1(VALU_DEP_2)
	v_cndmask_b32_e64 v11, v11, v13, s0
	v_add_f32_e32 v5, 0xa62e951f, v5
	s_delay_alu instid0(VALU_DEP_1) | instskip(NEXT) | instid1(VALU_DEP_1)
	v_fma_f32 v4, v2, v5, -v4
	v_add_f32_e32 v4, 0x2712e76f, v4
	s_delay_alu instid0(VALU_DEP_1) | instskip(NEXT) | instid1(VALU_DEP_1)
	v_fma_f32 v5, v2, v4, -v5
	;; [unrolled: 3-line block ×19, first 2 shown]
	v_add_f32_e32 v4, 0x3dd4d5f8, v4
	s_delay_alu instid0(VALU_DEP_1) | instskip(SKIP_1) | instid1(VALU_DEP_2)
	v_fma_f32 v2, v2, v4, -v5
	v_mul_f32_e32 v4, 0x37800000, v11
	v_add_f32_e32 v2, 0x402e1ebd, v2
	s_delay_alu instid0(VALU_DEP_2) | instskip(SKIP_1) | instid1(VALU_DEP_3)
	v_cndmask_b32_e32 v4, v11, v4, vcc_lo
	v_cmp_class_f32_e64 vcc_lo, v6, 0x260
	v_sub_f32_e32 v2, v2, v5
	s_delay_alu instid0(VALU_DEP_3) | instskip(NEXT) | instid1(VALU_DEP_2)
	v_cndmask_b32_e32 v4, v4, v6, vcc_lo
	v_mul_f32_e32 v2, 0.5, v2
	s_delay_alu instid0(VALU_DEP_1) | instskip(NEXT) | instid1(VALU_DEP_1)
	v_div_scale_f32 v5, null, v4, v4, v2
	v_rcp_f32_e32 v6, v5
	s_waitcnt_depctr 0xfff
	v_fma_f32 v11, -v5, v6, 1.0
	s_delay_alu instid0(VALU_DEP_1) | instskip(SKIP_1) | instid1(VALU_DEP_1)
	v_fmac_f32_e32 v6, v11, v6
	v_div_scale_f32 v11, vcc_lo, v2, v4, v2
	v_mul_f32_e32 v12, v11, v6
	s_delay_alu instid0(VALU_DEP_1) | instskip(NEXT) | instid1(VALU_DEP_1)
	v_fma_f32 v13, -v5, v12, v11
	v_fmac_f32_e32 v12, v13, v6
	s_delay_alu instid0(VALU_DEP_1) | instskip(NEXT) | instid1(VALU_DEP_1)
	v_fma_f32 v5, -v5, v12, v11
	v_div_fmas_f32 v5, v5, v6, v12
	s_delay_alu instid0(VALU_DEP_1)
	v_div_fixup_f32 v2, v5, v4, v2
.LBB13_10:
	s_or_b32 exec_lo, exec_lo, s1
.LBB13_11:
	s_delay_alu instid0(SALU_CYCLE_1)
	s_or_b32 exec_lo, exec_lo, s5
.LBB13_12:
	s_delay_alu instid0(SALU_CYCLE_1) | instskip(NEXT) | instid1(SALU_CYCLE_1)
	s_or_b32 exec_lo, exec_lo, s4
	s_mov_b32 s4, exec_lo
	v_cmpx_neq_f32_e32 0, v7
	s_cbranch_execz .LBB13_24
; %bb.13:
	v_mov_b32_e32 v3, 0x7fc00000
	s_mov_b32 s5, exec_lo
	v_cmpx_ngt_f32_e32 0, v7
	s_cbranch_execz .LBB13_23
; %bb.14:
	s_mov_b32 s0, exec_lo
	v_cmpx_ge_f32_e32 2.0, v7
	s_xor_b32 s6, exec_lo, s0
	s_cbranch_execz .LBB13_20
; %bb.15:
	v_mul_f32_e32 v3, 0.5, v7
	v_mul_f32_e32 v4, 0x3fb8aa3b, v7
	s_mov_b32 s0, exec_lo
                                        ; implicit-def: $vgpr6
                                        ; implicit-def: $vgpr5
	v_cmpx_ge_f32_e32 0x41000000, v7
	s_xor_b32 s0, exec_lo, s0
	s_cbranch_execz .LBB13_17
; %bb.16:
	v_add_f32_e32 v5, -2.0, v3
	s_mov_b32 s1, 0x224cf950
	v_rndne_f32_e32 v12, v4
	v_fma_f32 v13, 0x3fb8aa3b, v7, -v4
	v_cmp_ngt_f32_e32 vcc_lo, 0xc2ce8ed0, v7
	v_fmaak_f32 v6, s1, v5, 0xa3c2be86
	s_delay_alu instid0(VALU_DEP_3) | instskip(NEXT) | instid1(VALU_DEP_1)
	v_dual_sub_f32 v4, v4, v12 :: v_dual_fmamk_f32 v13, v7, 0x32a5705f, v13
	v_dual_fmaak_f32 v11, v5, v6, 0xa24cf950 :: v_dual_add_f32 v4, v4, v13
	s_delay_alu instid0(VALU_DEP_1) | instskip(NEXT) | instid1(VALU_DEP_2)
	v_add_f32_e32 v11, 0x25331f1f, v11
	v_exp_f32_e32 v4, v4
	s_delay_alu instid0(VALU_DEP_1) | instskip(NEXT) | instid1(VALU_DEP_1)
	v_fma_f32 v6, v5, v11, -v6
	v_add_f32_e32 v6, 0xa69f5554, v6
	s_delay_alu instid0(VALU_DEP_1) | instskip(NEXT) | instid1(VALU_DEP_1)
	v_fma_f32 v11, v5, v6, -v11
	v_add_f32_e32 v11, 0x2808ebf8, v11
	s_delay_alu instid0(VALU_DEP_1) | instskip(NEXT) | instid1(VALU_DEP_1)
	v_fma_f32 v6, v5, v11, -v6
	v_add_f32_e32 v6, 0xa9631471, v6
	s_delay_alu instid0(VALU_DEP_1) | instskip(NEXT) | instid1(VALU_DEP_1)
	v_fma_f32 v11, v5, v6, -v11
	v_add_f32_e32 v11, 0x2ab57bc2, v11
	s_delay_alu instid0(VALU_DEP_1) | instskip(NEXT) | instid1(VALU_DEP_1)
	v_fma_f32 v6, v5, v11, -v6
	v_add_f32_e32 v6, 0xac0b9c1b, v6
	s_delay_alu instid0(VALU_DEP_1) | instskip(NEXT) | instid1(VALU_DEP_1)
	v_fma_f32 v11, v5, v6, -v11
	v_add_f32_e32 v11, 0x2d4e7716, v11
	s_delay_alu instid0(VALU_DEP_1) | instskip(NEXT) | instid1(VALU_DEP_1)
	v_fma_f32 v6, v5, v11, -v6
	v_add_f32_e32 v6, 0xae92881d, v6
	s_delay_alu instid0(VALU_DEP_1) | instskip(NEXT) | instid1(VALU_DEP_1)
	v_fma_f32 v11, v5, v6, -v11
	v_add_f32_e32 v11, 0x2fc751a6, v11
	s_delay_alu instid0(VALU_DEP_1) | instskip(NEXT) | instid1(VALU_DEP_1)
	v_fma_f32 v6, v5, v11, -v6
	v_add_f32_e32 v6, 0xb101b0d9, v6
	s_delay_alu instid0(VALU_DEP_1) | instskip(NEXT) | instid1(VALU_DEP_1)
	v_fma_f32 v11, v5, v6, -v11
	v_add_f32_e32 v11, 0x32212c70, v11
	s_delay_alu instid0(VALU_DEP_1) | instskip(NEXT) | instid1(VALU_DEP_1)
	v_fma_f32 v6, v5, v11, -v6
	v_add_f32_e32 v6, 0xb33ee9f1, v6
	s_delay_alu instid0(VALU_DEP_1) | instskip(NEXT) | instid1(VALU_DEP_1)
	v_fma_f32 v11, v5, v6, -v11
	v_add_f32_e32 v11, 0x34571a26, v11
	s_delay_alu instid0(VALU_DEP_1) | instskip(NEXT) | instid1(VALU_DEP_1)
	v_fma_f32 v6, v5, v11, -v6
	v_add_f32_e32 v6, 0xb56603cc, v6
	s_delay_alu instid0(VALU_DEP_1) | instskip(NEXT) | instid1(VALU_DEP_1)
	v_fma_f32 v11, v5, v6, -v11
	v_add_f32_e32 v11, 0x3668e277, v11
	s_delay_alu instid0(VALU_DEP_1) | instskip(NEXT) | instid1(VALU_DEP_1)
	v_fma_f32 v6, v5, v11, -v6
	v_add_f32_e32 v6, 0xb75eafce, v6
	s_delay_alu instid0(VALU_DEP_1) | instskip(NEXT) | instid1(VALU_DEP_1)
	v_fma_f32 v11, v5, v6, -v11
	v_add_f32_e32 v11, 0x38488daa, v11
	s_delay_alu instid0(VALU_DEP_1) | instskip(NEXT) | instid1(VALU_DEP_1)
	v_fma_f32 v6, v5, v11, -v6
	v_add_f32_e32 v6, 0xb9299e57, v6
	s_delay_alu instid0(VALU_DEP_1) | instskip(NEXT) | instid1(VALU_DEP_1)
	v_fma_f32 v11, v5, v6, -v11
	v_add_f32_e32 v11, 0x3a064aee, v11
	s_delay_alu instid0(VALU_DEP_1) | instskip(NEXT) | instid1(VALU_DEP_1)
	v_fma_f32 v6, v5, v11, -v6
	v_add_f32_e32 v6, 0xbac66310, v6
	s_delay_alu instid0(VALU_DEP_1) | instskip(NEXT) | instid1(VALU_DEP_1)
	v_fma_f32 v11, v5, v6, -v11
	v_add_f32_e32 v11, 0x3b88329a, v11
	s_delay_alu instid0(VALU_DEP_1) | instskip(NEXT) | instid1(VALU_DEP_1)
	v_fma_f32 v6, v5, v11, -v6
	v_add_f32_e32 v6, 0xbc2d14fc, v6
	s_delay_alu instid0(VALU_DEP_1) | instskip(NEXT) | instid1(VALU_DEP_1)
	v_fma_f32 v11, v5, v6, -v11
	v_add_f32_e32 v11, 0x3cca8f1f, v11
	s_delay_alu instid0(VALU_DEP_1) | instskip(NEXT) | instid1(VALU_DEP_1)
	v_fma_f32 v6, v5, v11, -v6
	v_add_f32_e32 v6, 0xbd58dde3, v6
	s_delay_alu instid0(VALU_DEP_1) | instskip(NEXT) | instid1(VALU_DEP_1)
	v_fma_f32 v11, v5, v6, -v11
	v_add_f32_e32 v11, 0x3dd236d7, v11
	s_delay_alu instid0(VALU_DEP_1) | instskip(NEXT) | instid1(VALU_DEP_1)
	v_fma_f32 v6, v5, v11, -v6
	v_add_f32_e32 v6, 0xbe34a688, v6
	s_delay_alu instid0(VALU_DEP_1) | instskip(SKIP_1) | instid1(VALU_DEP_2)
	v_fma_f32 v5, v5, v6, -v11
	v_cvt_i32_f32_e32 v6, v12
	v_add_f32_e32 v5, 0x3e81531c, v5
	s_delay_alu instid0(VALU_DEP_2) | instskip(NEXT) | instid1(VALU_DEP_1)
	v_ldexp_f32 v4, v4, v6
	v_dual_sub_f32 v5, v5, v11 :: v_dual_cndmask_b32 v4, 0, v4
	v_cmp_nlt_f32_e32 vcc_lo, 0x42b17218, v7
	s_delay_alu instid0(VALU_DEP_2) | instskip(NEXT) | instid1(VALU_DEP_1)
	v_mul_f32_e32 v5, 0.5, v5
	v_dual_mul_f32 v6, v7, v5 :: v_dual_cndmask_b32 v5, 0x7f800000, v4
                                        ; implicit-def: $vgpr4
	s_delay_alu instid0(VALU_DEP_1)
	v_mul_f32_e32 v6, v5, v6
.LBB13_17:
	s_and_not1_saveexec_b32 s1, s0
	s_cbranch_execz .LBB13_19
; %bb.18:
	v_div_scale_f32 v5, null, v7, v7, 0x42000000
	v_div_scale_f32 v12, vcc_lo, 0x42000000, v7, 0x42000000
	s_mov_b32 s0, 0x230aab6e
	s_delay_alu instid0(VALU_DEP_2) | instskip(SKIP_1) | instid1(VALU_DEP_1)
	v_rcp_f32_e32 v6, v5
	v_fma_f32 v14, 0x3fb8aa3b, v7, -v4
	v_fmamk_f32 v14, v7, 0x32a5705f, v14
	s_waitcnt_depctr 0xfff
	v_fma_f32 v11, -v5, v6, 1.0
	s_delay_alu instid0(VALU_DEP_1) | instskip(NEXT) | instid1(VALU_DEP_1)
	v_fmac_f32_e32 v6, v11, v6
	v_mul_f32_e32 v11, v12, v6
	s_delay_alu instid0(VALU_DEP_1) | instskip(NEXT) | instid1(VALU_DEP_1)
	v_fma_f32 v13, -v5, v11, v12
	v_fmac_f32_e32 v11, v13, v6
	v_rndne_f32_e32 v13, v4
	s_delay_alu instid0(VALU_DEP_2) | instskip(SKIP_1) | instid1(VALU_DEP_3)
	v_fma_f32 v5, -v5, v11, v12
	v_mul_f32_e32 v12, 0x4f800000, v7
	v_sub_f32_e32 v4, v4, v13
	v_cvt_i32_f32_e32 v13, v13
	s_delay_alu instid0(VALU_DEP_4) | instskip(SKIP_1) | instid1(VALU_DEP_4)
	v_div_fmas_f32 v5, v5, v6, v11
	v_cmp_gt_f32_e32 vcc_lo, 0xf800000, v7
	v_add_f32_e32 v4, v4, v14
	s_delay_alu instid0(VALU_DEP_3) | instskip(SKIP_1) | instid1(VALU_DEP_3)
	v_div_fixup_f32 v5, v5, v7, 0x42000000
	v_cndmask_b32_e32 v12, v7, v12, vcc_lo
	v_exp_f32_e32 v4, v4
	s_delay_alu instid0(VALU_DEP_2) | instskip(NEXT) | instid1(VALU_DEP_2)
	v_add_f32_e32 v5, -2.0, v5
	v_sqrt_f32_e32 v15, v12
	s_delay_alu instid0(VALU_DEP_1) | instskip(SKIP_3) | instid1(VALU_DEP_1)
	v_fmaak_f32 v6, s0, v5, 0x22a2dc57
	s_waitcnt_depctr 0xfff
	v_ldexp_f32 v4, v4, v13
	v_dual_fmaak_f32 v11, v5, v6, 0xa30aab6e :: v_dual_add_nc_u32 v16, 1, v15
	v_add_f32_e32 v11, 0xa456751e, v11
	s_delay_alu instid0(VALU_DEP_2) | instskip(NEXT) | instid1(VALU_DEP_2)
	v_fma_f32 v18, -v16, v15, v12
	v_fma_f32 v6, v5, v11, -v6
	s_delay_alu instid0(VALU_DEP_1) | instskip(NEXT) | instid1(VALU_DEP_1)
	v_add_f32_e32 v6, 0xa4140365, v6
	v_fma_f32 v11, v5, v6, -v11
	s_delay_alu instid0(VALU_DEP_1) | instskip(NEXT) | instid1(VALU_DEP_1)
	v_add_f32_e32 v11, 0x25aac8b0, v11
	;; [unrolled: 3-line block ×21, first 2 shown]
	v_fma_f32 v5, v5, v6, -v11
	s_delay_alu instid0(VALU_DEP_1) | instskip(NEXT) | instid1(VALU_DEP_1)
	v_dual_add_f32 v5, 0x3f4750c6, v5 :: v_dual_add_nc_u32 v14, -1, v15
	v_fma_f32 v17, -v14, v15, v12
	s_delay_alu instid0(VALU_DEP_2) | instskip(NEXT) | instid1(VALU_DEP_2)
	v_sub_f32_e32 v11, v5, v11
	v_cmp_ge_f32_e64 s0, 0, v17
	s_delay_alu instid0(VALU_DEP_1) | instskip(SKIP_1) | instid1(VALU_DEP_1)
	v_cndmask_b32_e64 v14, v15, v14, s0
	v_cmp_lt_f32_e64 s0, 0, v18
	v_cndmask_b32_e64 v6, v14, v16, s0
	v_cmp_ngt_f32_e64 s0, 0xc2ce8ed0, v7
	s_delay_alu instid0(VALU_DEP_2) | instskip(NEXT) | instid1(VALU_DEP_2)
	v_mul_f32_e32 v13, 0x37800000, v6
	v_cndmask_b32_e64 v4, 0, v4, s0
	v_cmp_nlt_f32_e64 s0, 0x42b17218, v7
	s_delay_alu instid0(VALU_DEP_1) | instskip(NEXT) | instid1(VALU_DEP_4)
	v_cndmask_b32_e64 v5, 0x7f800000, v4, s0
	v_cndmask_b32_e32 v4, v6, v13, vcc_lo
	v_mul_f32_e32 v6, 0.5, v11
	v_cmp_class_f32_e64 vcc_lo, v12, 0x260
	s_delay_alu instid0(VALU_DEP_2) | instskip(NEXT) | instid1(VALU_DEP_4)
	v_mul_f32_e32 v6, v5, v6
	v_cndmask_b32_e32 v4, v4, v12, vcc_lo
	s_delay_alu instid0(VALU_DEP_1) | instskip(NEXT) | instid1(VALU_DEP_1)
	v_div_scale_f32 v11, null, v4, v4, v6
	v_rcp_f32_e32 v12, v11
	s_waitcnt_depctr 0xfff
	v_fma_f32 v13, -v11, v12, 1.0
	s_delay_alu instid0(VALU_DEP_1) | instskip(SKIP_1) | instid1(VALU_DEP_1)
	v_fmac_f32_e32 v12, v13, v12
	v_div_scale_f32 v13, vcc_lo, v6, v4, v6
	v_mul_f32_e32 v14, v13, v12
	s_delay_alu instid0(VALU_DEP_1) | instskip(NEXT) | instid1(VALU_DEP_1)
	v_fma_f32 v15, -v11, v14, v13
	v_fmac_f32_e32 v14, v15, v12
	s_delay_alu instid0(VALU_DEP_1) | instskip(NEXT) | instid1(VALU_DEP_1)
	v_fma_f32 v11, -v11, v14, v13
	v_div_fmas_f32 v11, v11, v12, v14
	s_delay_alu instid0(VALU_DEP_1)
	v_div_fixup_f32 v6, v11, v4, v6
.LBB13_19:
	s_or_b32 exec_lo, exec_lo, s1
	v_fma_f32 v4, v7, v7, -2.0
	s_mov_b32 s0, 0xa3019142
	v_cmp_gt_f32_e32 vcc_lo, 0x800000, v3
	s_delay_alu instid0(VALU_DEP_2) | instskip(NEXT) | instid1(VALU_DEP_1)
	v_fmaak_f32 v11, s0, v4, 0xa72eea8c
	v_fmaak_f32 v12, v4, v11, 0x23019142
	s_delay_alu instid0(VALU_DEP_1) | instskip(NEXT) | instid1(VALU_DEP_1)
	v_add_f32_e32 v12, 0xab3ba817, v12
	v_fma_f32 v11, v4, v12, -v11
	s_delay_alu instid0(VALU_DEP_1) | instskip(NEXT) | instid1(VALU_DEP_1)
	v_add_f32_e32 v11, 0xaf1b31de, v11
	v_fma_f32 v12, v4, v11, -v12
	;; [unrolled: 3-line block ×8, first 2 shown]
	s_delay_alu instid0(VALU_DEP_1) | instskip(NEXT) | instid1(VALU_DEP_1)
	v_add_f32_e32 v4, 0x3fc33d0a, v4
	v_sub_f32_e32 v4, v4, v12
	v_cndmask_b32_e64 v12, 1.0, 0x4f800000, vcc_lo
	s_delay_alu instid0(VALU_DEP_2) | instskip(NEXT) | instid1(VALU_DEP_2)
	v_mul_f32_e32 v4, 0.5, v4
	v_mul_f32_e32 v3, v3, v12
	s_delay_alu instid0(VALU_DEP_2) | instskip(NEXT) | instid1(VALU_DEP_2)
	v_div_scale_f32 v11, null, v7, v7, v4
	v_log_f32_e32 v3, v3
	v_div_scale_f32 v14, s0, v4, v7, v4
	s_delay_alu instid0(VALU_DEP_2) | instskip(SKIP_3) | instid1(VALU_DEP_1)
	v_rcp_f32_e32 v13, v11
	s_waitcnt_depctr 0xfff
	v_cmp_gt_f32_e64 s1, 0x7f800000, |v3|
	v_fma_f32 v12, -v11, v13, 1.0
	v_dual_fmac_f32 v13, v12, v13 :: v_dual_mul_f32 v12, 0x3f317217, v3
	s_delay_alu instid0(VALU_DEP_1) | instskip(NEXT) | instid1(VALU_DEP_2)
	v_mul_f32_e32 v15, v14, v13
	v_fma_f32 v16, 0x3f317217, v3, -v12
	s_delay_alu instid0(VALU_DEP_2) | instskip(NEXT) | instid1(VALU_DEP_1)
	v_fma_f32 v17, -v11, v15, v14
	v_dual_fmamk_f32 v16, v3, 0x3377d1cf, v16 :: v_dual_fmac_f32 v15, v17, v13
	s_delay_alu instid0(VALU_DEP_1) | instskip(NEXT) | instid1(VALU_DEP_2)
	v_add_f32_e32 v12, v12, v16
	v_fma_f32 v11, -v11, v15, v14
	s_delay_alu instid0(VALU_DEP_2) | instskip(SKIP_2) | instid1(VALU_DEP_3)
	v_cndmask_b32_e64 v3, v3, v12, s1
	v_cndmask_b32_e64 v12, 0, 0x41b17218, vcc_lo
	s_mov_b32 vcc_lo, s0
	v_div_fmas_f32 v11, v11, v13, v15
	s_delay_alu instid0(VALU_DEP_2) | instskip(NEXT) | instid1(VALU_DEP_2)
	v_sub_f32_e32 v3, v3, v12
	v_div_fixup_f32 v4, v11, v7, v4
	s_delay_alu instid0(VALU_DEP_1) | instskip(NEXT) | instid1(VALU_DEP_1)
	v_fmac_f32_e32 v4, v3, v6
	v_mul_f32_e32 v3, v5, v4
.LBB13_20:
	s_and_not1_saveexec_b32 s1, s6
	s_cbranch_execz .LBB13_22
; %bb.21:
	v_div_scale_f32 v3, null, v7, v7, 0x41000000
	v_div_scale_f32 v6, vcc_lo, 0x41000000, v7, 0x41000000
	s_mov_b32 s0, 0xa2d462ea
	s_delay_alu instid0(VALU_DEP_2) | instskip(SKIP_2) | instid1(VALU_DEP_1)
	v_rcp_f32_e32 v4, v3
	s_waitcnt_depctr 0xfff
	v_fma_f32 v5, -v3, v4, 1.0
	v_fmac_f32_e32 v4, v5, v4
	s_delay_alu instid0(VALU_DEP_1) | instskip(NEXT) | instid1(VALU_DEP_1)
	v_mul_f32_e32 v5, v6, v4
	v_fma_f32 v11, -v3, v5, v6
	s_delay_alu instid0(VALU_DEP_1) | instskip(NEXT) | instid1(VALU_DEP_1)
	v_fmac_f32_e32 v5, v11, v4
	v_fma_f32 v3, -v3, v5, v6
	v_mul_f32_e32 v6, 0x4f800000, v7
	s_delay_alu instid0(VALU_DEP_2) | instskip(SKIP_1) | instid1(VALU_DEP_2)
	v_div_fmas_f32 v3, v3, v4, v5
	v_cmp_gt_f32_e32 vcc_lo, 0xf800000, v7
	v_div_fixup_f32 v3, v3, v7, 0x41000000
	s_delay_alu instid0(VALU_DEP_1) | instskip(NEXT) | instid1(VALU_DEP_1)
	v_dual_cndmask_b32 v6, v7, v6 :: v_dual_add_f32 v3, -2.0, v3
	v_sqrt_f32_e32 v7, v6
	s_delay_alu instid0(VALU_DEP_1) | instskip(SKIP_3) | instid1(VALU_DEP_2)
	v_fmaak_f32 v4, s0, v3, 0x23a578d4
	s_waitcnt_depctr 0xfff
	v_dual_fmaak_f32 v5, v3, v4, 0x22d462ea :: v_dual_add_nc_u32 v12, 1, v7
	v_add_nc_u32_e32 v11, -1, v7
	v_fma_f32 v14, -v12, v7, v6
	s_delay_alu instid0(VALU_DEP_2) | instskip(NEXT) | instid1(VALU_DEP_1)
	v_fma_f32 v13, -v11, v7, v6
	v_cmp_ge_f32_e64 s0, 0, v13
	s_delay_alu instid0(VALU_DEP_1) | instskip(NEXT) | instid1(VALU_DEP_4)
	v_cndmask_b32_e64 v7, v7, v11, s0
	v_cmp_lt_f32_e64 s0, 0, v14
	s_delay_alu instid0(VALU_DEP_1) | instskip(SKIP_1) | instid1(VALU_DEP_1)
	v_cndmask_b32_e64 v7, v7, v12, s0
	v_add_f32_e32 v5, 0xa48330a9, v5
	v_fma_f32 v4, v3, v5, -v4
	s_delay_alu instid0(VALU_DEP_1) | instskip(NEXT) | instid1(VALU_DEP_1)
	v_add_f32_e32 v4, 0x2553eaf2, v4
	v_fma_f32 v5, v3, v4, -v5
	s_delay_alu instid0(VALU_DEP_1) | instskip(NEXT) | instid1(VALU_DEP_1)
	;; [unrolled: 3-line block ×21, first 2 shown]
	v_add_f32_e32 v4, 0x3dd4d5f8, v4
	v_fma_f32 v3, v3, v4, -v5
	v_mul_f32_e32 v4, 0x37800000, v7
	s_delay_alu instid0(VALU_DEP_1) | instskip(SKIP_1) | instid1(VALU_DEP_2)
	v_dual_add_f32 v3, 0x402e1ebd, v3 :: v_dual_cndmask_b32 v4, v7, v4
	v_cmp_class_f32_e64 vcc_lo, v6, 0x260
	v_dual_sub_f32 v3, v3, v5 :: v_dual_cndmask_b32 v4, v4, v6
	s_delay_alu instid0(VALU_DEP_1) | instskip(NEXT) | instid1(VALU_DEP_1)
	v_mul_f32_e32 v3, 0.5, v3
	v_div_scale_f32 v5, null, v4, v4, v3
	s_delay_alu instid0(VALU_DEP_1) | instskip(SKIP_2) | instid1(VALU_DEP_1)
	v_rcp_f32_e32 v6, v5
	s_waitcnt_depctr 0xfff
	v_fma_f32 v7, -v5, v6, 1.0
	v_fmac_f32_e32 v6, v7, v6
	v_div_scale_f32 v7, vcc_lo, v3, v4, v3
	s_delay_alu instid0(VALU_DEP_1) | instskip(NEXT) | instid1(VALU_DEP_1)
	v_mul_f32_e32 v11, v7, v6
	v_fma_f32 v12, -v5, v11, v7
	s_delay_alu instid0(VALU_DEP_1) | instskip(NEXT) | instid1(VALU_DEP_1)
	v_fmac_f32_e32 v11, v12, v6
	v_fma_f32 v5, -v5, v11, v7
	s_delay_alu instid0(VALU_DEP_1) | instskip(NEXT) | instid1(VALU_DEP_1)
	v_div_fmas_f32 v5, v5, v6, v11
	v_div_fixup_f32 v3, v5, v4, v3
.LBB13_22:
	s_or_b32 exec_lo, exec_lo, s1
.LBB13_23:
	s_delay_alu instid0(SALU_CYCLE_1)
	s_or_b32 exec_lo, exec_lo, s5
.LBB13_24:
	s_delay_alu instid0(SALU_CYCLE_1)
	s_or_b32 exec_lo, exec_lo, s4
	v_dual_mov_b32 v5, 0x7f800000 :: v_dual_mov_b32 v4, 0x7f800000
	s_mov_b32 s4, exec_lo
	v_cmpx_neq_f32_e32 0, v8
	s_cbranch_execz .LBB13_36
; %bb.25:
	v_mov_b32_e32 v4, 0x7fc00000
	s_mov_b32 s5, exec_lo
	v_cmpx_ngt_f32_e32 0, v8
	s_cbranch_execz .LBB13_35
; %bb.26:
	s_mov_b32 s0, exec_lo
	v_cmpx_ge_f32_e32 2.0, v8
	s_xor_b32 s6, exec_lo, s0
	s_cbranch_execz .LBB13_32
; %bb.27:
	v_mul_f32_e32 v4, 0.5, v8
	v_mul_f32_e32 v6, 0x3fb8aa3b, v8
	s_mov_b32 s0, exec_lo
                                        ; implicit-def: $vgpr11
                                        ; implicit-def: $vgpr7
	v_cmpx_ge_f32_e32 0x41000000, v8
	s_xor_b32 s0, exec_lo, s0
	s_cbranch_execz .LBB13_29
; %bb.28:
	v_rndne_f32_e32 v13, v6
	v_add_f32_e32 v7, -2.0, v4
	v_fma_f32 v14, 0x3fb8aa3b, v8, -v6
	s_mov_b32 s1, 0x224cf950
	v_cmp_ngt_f32_e32 vcc_lo, 0xc2ce8ed0, v8
	v_sub_f32_e32 v6, v6, v13
	s_delay_alu instid0(VALU_DEP_3) | instskip(NEXT) | instid1(VALU_DEP_1)
	v_fmamk_f32 v14, v8, 0x32a5705f, v14
	v_dual_fmaak_f32 v11, s1, v7, 0xa3c2be86 :: v_dual_add_f32 v6, v6, v14
	s_delay_alu instid0(VALU_DEP_1) | instskip(NEXT) | instid1(VALU_DEP_2)
	v_fmaak_f32 v12, v7, v11, 0xa24cf950
	v_exp_f32_e32 v6, v6
	s_delay_alu instid0(VALU_DEP_1) | instskip(NEXT) | instid1(VALU_DEP_1)
	v_add_f32_e32 v12, 0x25331f1f, v12
	v_fma_f32 v11, v7, v12, -v11
	s_delay_alu instid0(VALU_DEP_1) | instskip(NEXT) | instid1(VALU_DEP_1)
	v_add_f32_e32 v11, 0xa69f5554, v11
	v_fma_f32 v12, v7, v11, -v12
	;; [unrolled: 3-line block ×26, first 2 shown]
	v_cvt_i32_f32_e32 v11, v13
	s_delay_alu instid0(VALU_DEP_2) | instskip(NEXT) | instid1(VALU_DEP_2)
	v_add_f32_e32 v7, 0x3e81531c, v7
	v_ldexp_f32 v6, v6, v11
	s_delay_alu instid0(VALU_DEP_1) | instskip(SKIP_1) | instid1(VALU_DEP_2)
	v_dual_sub_f32 v7, v7, v12 :: v_dual_cndmask_b32 v6, 0, v6
	v_cmp_nlt_f32_e32 vcc_lo, 0x42b17218, v8
	v_mul_f32_e32 v7, 0.5, v7
	s_delay_alu instid0(VALU_DEP_1) | instskip(NEXT) | instid1(VALU_DEP_4)
	v_mul_f32_e32 v11, v8, v7
	v_cndmask_b32_e32 v7, 0x7f800000, v6, vcc_lo
                                        ; implicit-def: $vgpr6
	s_delay_alu instid0(VALU_DEP_1)
	v_mul_f32_e32 v11, v7, v11
.LBB13_29:
	s_and_not1_saveexec_b32 s1, s0
	s_cbranch_execz .LBB13_31
; %bb.30:
	v_div_scale_f32 v7, null, v8, v8, 0x42000000
	v_div_scale_f32 v13, vcc_lo, 0x42000000, v8, 0x42000000
	s_mov_b32 s0, 0x230aab6e
	s_delay_alu instid0(VALU_DEP_2) | instskip(SKIP_3) | instid1(VALU_DEP_1)
	v_rcp_f32_e32 v11, v7
	v_fma_f32 v15, 0x3fb8aa3b, v8, -v6
	s_waitcnt_depctr 0xfff
	v_fma_f32 v12, -v7, v11, 1.0
	v_fmac_f32_e32 v11, v12, v11
	s_delay_alu instid0(VALU_DEP_1) | instskip(NEXT) | instid1(VALU_DEP_1)
	v_mul_f32_e32 v12, v13, v11
	v_fma_f32 v14, -v7, v12, v13
	s_delay_alu instid0(VALU_DEP_1) | instskip(SKIP_1) | instid1(VALU_DEP_2)
	v_fmac_f32_e32 v12, v14, v11
	v_rndne_f32_e32 v14, v6
	v_fma_f32 v7, -v7, v12, v13
	s_delay_alu instid0(VALU_DEP_2) | instskip(SKIP_1) | instid1(VALU_DEP_3)
	v_dual_mul_f32 v13, 0x4f800000, v8 :: v_dual_sub_f32 v6, v6, v14
	v_cvt_i32_f32_e32 v14, v14
	v_div_fmas_f32 v7, v7, v11, v12
	v_cmp_gt_f32_e32 vcc_lo, 0xf800000, v8
	v_fmamk_f32 v15, v8, 0x32a5705f, v15
	s_delay_alu instid0(VALU_DEP_3) | instskip(SKIP_1) | instid1(VALU_DEP_2)
	v_div_fixup_f32 v7, v7, v8, 0x42000000
	v_cndmask_b32_e32 v13, v8, v13, vcc_lo
	v_add_f32_e32 v7, -2.0, v7
	s_delay_alu instid0(VALU_DEP_2) | instskip(SKIP_1) | instid1(VALU_DEP_2)
	v_sqrt_f32_e32 v16, v13
	v_add_f32_e32 v6, v6, v15
	v_fmaak_f32 v11, s0, v7, 0x22a2dc57
	s_waitcnt_depctr 0xfff
	v_dual_fmaak_f32 v12, v7, v11, 0xa30aab6e :: v_dual_add_nc_u32 v15, -1, v16
	v_add_nc_u32_e32 v17, 1, v16
	v_exp_f32_e32 v6, v6
	s_delay_alu instid0(VALU_DEP_2) | instskip(NEXT) | instid1(VALU_DEP_3)
	v_add_f32_e32 v12, 0xa456751e, v12
	v_fma_f32 v18, -v15, v16, v13
	s_delay_alu instid0(VALU_DEP_3) | instskip(NEXT) | instid1(VALU_DEP_3)
	v_fma_f32 v19, -v17, v16, v13
	v_fma_f32 v11, v7, v12, -v11
	s_delay_alu instid0(VALU_DEP_3)
	v_cmp_ge_f32_e64 s0, 0, v18
	s_waitcnt_depctr 0xfff
	v_ldexp_f32 v6, v6, v14
	v_add_f32_e32 v11, 0xa4140365, v11
	v_cndmask_b32_e64 v15, v16, v15, s0
	v_cmp_lt_f32_e64 s0, 0, v19
	s_delay_alu instid0(VALU_DEP_3) | instskip(NEXT) | instid1(VALU_DEP_1)
	v_fma_f32 v12, v7, v11, -v12
	v_add_f32_e32 v12, 0x25aac8b0, v12
	s_delay_alu instid0(VALU_DEP_1) | instskip(NEXT) | instid1(VALU_DEP_1)
	v_fma_f32 v11, v7, v12, -v11
	v_add_f32_e32 v11, 0x25beb473, v11
	s_delay_alu instid0(VALU_DEP_1) | instskip(NEXT) | instid1(VALU_DEP_1)
	;; [unrolled: 3-line block ×19, first 2 shown]
	v_fma_f32 v11, v7, v12, -v11
	v_add_f32_e32 v11, 0xbc1fed03, v11
	s_delay_alu instid0(VALU_DEP_1) | instskip(SKIP_2) | instid1(VALU_DEP_3)
	v_fma_f32 v7, v7, v11, -v12
	v_cndmask_b32_e64 v11, v15, v17, s0
	v_cmp_ngt_f32_e64 s0, 0xc2ce8ed0, v8
	v_add_f32_e32 v7, 0x3f4750c6, v7
	s_delay_alu instid0(VALU_DEP_2) | instskip(SKIP_1) | instid1(VALU_DEP_3)
	v_cndmask_b32_e64 v6, 0, v6, s0
	v_cmp_nlt_f32_e64 s0, 0x42b17218, v8
	v_sub_f32_e32 v12, v7, v12
	v_mul_f32_e32 v14, 0x37800000, v11
	s_delay_alu instid0(VALU_DEP_3) | instskip(NEXT) | instid1(VALU_DEP_2)
	v_cndmask_b32_e64 v7, 0x7f800000, v6, s0
	v_dual_cndmask_b32 v6, v11, v14 :: v_dual_mul_f32 v11, 0.5, v12
	v_cmp_class_f32_e64 vcc_lo, v13, 0x260
	s_delay_alu instid0(VALU_DEP_2) | instskip(NEXT) | instid1(VALU_DEP_1)
	v_dual_mul_f32 v11, v7, v11 :: v_dual_cndmask_b32 v6, v6, v13
	v_div_scale_f32 v12, null, v6, v6, v11
	s_delay_alu instid0(VALU_DEP_1) | instskip(SKIP_2) | instid1(VALU_DEP_1)
	v_rcp_f32_e32 v13, v12
	s_waitcnt_depctr 0xfff
	v_fma_f32 v14, -v12, v13, 1.0
	v_fmac_f32_e32 v13, v14, v13
	v_div_scale_f32 v14, vcc_lo, v11, v6, v11
	s_delay_alu instid0(VALU_DEP_1) | instskip(NEXT) | instid1(VALU_DEP_1)
	v_mul_f32_e32 v15, v14, v13
	v_fma_f32 v16, -v12, v15, v14
	s_delay_alu instid0(VALU_DEP_1) | instskip(NEXT) | instid1(VALU_DEP_1)
	v_fmac_f32_e32 v15, v16, v13
	v_fma_f32 v12, -v12, v15, v14
	s_delay_alu instid0(VALU_DEP_1) | instskip(NEXT) | instid1(VALU_DEP_1)
	v_div_fmas_f32 v12, v12, v13, v15
	v_div_fixup_f32 v11, v12, v6, v11
.LBB13_31:
	s_or_b32 exec_lo, exec_lo, s1
	v_fma_f32 v6, v8, v8, -2.0
	s_mov_b32 s0, 0xa3019142
	v_cmp_gt_f32_e32 vcc_lo, 0x800000, v4
	s_delay_alu instid0(VALU_DEP_2) | instskip(NEXT) | instid1(VALU_DEP_1)
	v_fmaak_f32 v12, s0, v6, 0xa72eea8c
	v_fmaak_f32 v13, v6, v12, 0x23019142
	s_delay_alu instid0(VALU_DEP_1) | instskip(NEXT) | instid1(VALU_DEP_1)
	v_add_f32_e32 v13, 0xab3ba817, v13
	v_fma_f32 v12, v6, v13, -v12
	s_delay_alu instid0(VALU_DEP_1) | instskip(NEXT) | instid1(VALU_DEP_1)
	v_add_f32_e32 v12, 0xaf1b31de, v12
	v_fma_f32 v13, v6, v12, -v13
	;; [unrolled: 3-line block ×8, first 2 shown]
	s_delay_alu instid0(VALU_DEP_1) | instskip(NEXT) | instid1(VALU_DEP_1)
	v_add_f32_e32 v6, 0x3fc33d0a, v6
	v_sub_f32_e32 v6, v6, v13
	v_cndmask_b32_e64 v13, 1.0, 0x4f800000, vcc_lo
	s_delay_alu instid0(VALU_DEP_2) | instskip(NEXT) | instid1(VALU_DEP_2)
	v_mul_f32_e32 v6, 0.5, v6
	v_mul_f32_e32 v4, v4, v13
	s_delay_alu instid0(VALU_DEP_2) | instskip(NEXT) | instid1(VALU_DEP_2)
	v_div_scale_f32 v12, null, v8, v8, v6
	v_log_f32_e32 v4, v4
	v_div_scale_f32 v15, s0, v6, v8, v6
	s_delay_alu instid0(VALU_DEP_2) | instskip(SKIP_3) | instid1(VALU_DEP_1)
	v_rcp_f32_e32 v14, v12
	s_waitcnt_depctr 0xfff
	v_cmp_gt_f32_e64 s1, 0x7f800000, |v4|
	v_fma_f32 v13, -v12, v14, 1.0
	v_dual_fmac_f32 v14, v13, v14 :: v_dual_mul_f32 v13, 0x3f317217, v4
	s_delay_alu instid0(VALU_DEP_1) | instskip(NEXT) | instid1(VALU_DEP_1)
	v_fma_f32 v17, 0x3f317217, v4, -v13
	v_dual_fmamk_f32 v17, v4, 0x3377d1cf, v17 :: v_dual_mul_f32 v16, v15, v14
	s_delay_alu instid0(VALU_DEP_1) | instskip(NEXT) | instid1(VALU_DEP_2)
	v_add_f32_e32 v13, v13, v17
	v_fma_f32 v18, -v12, v16, v15
	s_delay_alu instid0(VALU_DEP_2) | instskip(NEXT) | instid1(VALU_DEP_2)
	v_cndmask_b32_e64 v4, v4, v13, s1
	v_fmac_f32_e32 v16, v18, v14
	v_cndmask_b32_e64 v13, 0, 0x41b17218, vcc_lo
	s_mov_b32 vcc_lo, s0
	s_delay_alu instid0(VALU_DEP_2) | instskip(NEXT) | instid1(VALU_DEP_2)
	v_fma_f32 v12, -v12, v16, v15
	v_sub_f32_e32 v4, v4, v13
	s_delay_alu instid0(VALU_DEP_2) | instskip(NEXT) | instid1(VALU_DEP_1)
	v_div_fmas_f32 v12, v12, v14, v16
	v_div_fixup_f32 v6, v12, v8, v6
	s_delay_alu instid0(VALU_DEP_1) | instskip(NEXT) | instid1(VALU_DEP_1)
	v_fmac_f32_e32 v6, v4, v11
	v_mul_f32_e32 v4, v7, v6
.LBB13_32:
	s_and_not1_saveexec_b32 s1, s6
	s_cbranch_execz .LBB13_34
; %bb.33:
	v_div_scale_f32 v4, null, v8, v8, 0x41000000
	v_div_scale_f32 v11, vcc_lo, 0x41000000, v8, 0x41000000
	s_mov_b32 s0, 0xa2d462ea
	s_delay_alu instid0(VALU_DEP_2) | instskip(SKIP_2) | instid1(VALU_DEP_1)
	v_rcp_f32_e32 v6, v4
	s_waitcnt_depctr 0xfff
	v_fma_f32 v7, -v4, v6, 1.0
	v_fmac_f32_e32 v6, v7, v6
	s_delay_alu instid0(VALU_DEP_1) | instskip(NEXT) | instid1(VALU_DEP_1)
	v_mul_f32_e32 v7, v11, v6
	v_fma_f32 v12, -v4, v7, v11
	s_delay_alu instid0(VALU_DEP_1) | instskip(NEXT) | instid1(VALU_DEP_1)
	v_fmac_f32_e32 v7, v12, v6
	v_fma_f32 v4, -v4, v7, v11
	v_mul_f32_e32 v11, 0x4f800000, v8
	s_delay_alu instid0(VALU_DEP_2) | instskip(SKIP_1) | instid1(VALU_DEP_2)
	v_div_fmas_f32 v4, v4, v6, v7
	v_cmp_gt_f32_e32 vcc_lo, 0xf800000, v8
	v_div_fixup_f32 v4, v4, v8, 0x41000000
	s_delay_alu instid0(VALU_DEP_4) | instskip(NEXT) | instid1(VALU_DEP_2)
	v_cndmask_b32_e32 v8, v8, v11, vcc_lo
	v_add_f32_e32 v4, -2.0, v4
	s_delay_alu instid0(VALU_DEP_2) | instskip(NEXT) | instid1(VALU_DEP_1)
	v_sqrt_f32_e32 v11, v8
	v_fmaak_f32 v6, s0, v4, 0x23a578d4
	s_waitcnt_depctr 0xfff
	v_dual_fmaak_f32 v7, v4, v6, 0x22d462ea :: v_dual_add_nc_u32 v12, -1, v11
	v_add_nc_u32_e32 v13, 1, v11
	s_delay_alu instid0(VALU_DEP_2) | instskip(NEXT) | instid1(VALU_DEP_3)
	v_add_f32_e32 v7, 0xa48330a9, v7
	v_fma_f32 v14, -v12, v11, v8
	s_delay_alu instid0(VALU_DEP_3) | instskip(NEXT) | instid1(VALU_DEP_3)
	v_fma_f32 v15, -v13, v11, v8
	v_fma_f32 v6, v4, v7, -v6
	s_delay_alu instid0(VALU_DEP_3) | instskip(NEXT) | instid1(VALU_DEP_2)
	v_cmp_ge_f32_e64 s0, 0, v14
	v_add_f32_e32 v6, 0x2553eaf2, v6
	s_delay_alu instid0(VALU_DEP_2) | instskip(SKIP_1) | instid1(VALU_DEP_3)
	v_cndmask_b32_e64 v11, v11, v12, s0
	v_cmp_lt_f32_e64 s0, 0, v15
	v_fma_f32 v7, v4, v6, -v7
	s_delay_alu instid0(VALU_DEP_2) | instskip(NEXT) | instid1(VALU_DEP_2)
	v_cndmask_b32_e64 v11, v11, v13, s0
	v_add_f32_e32 v7, 0xa62e951f, v7
	s_delay_alu instid0(VALU_DEP_1) | instskip(NEXT) | instid1(VALU_DEP_1)
	v_fma_f32 v6, v4, v7, -v6
	v_add_f32_e32 v6, 0x2712e76f, v6
	s_delay_alu instid0(VALU_DEP_1) | instskip(NEXT) | instid1(VALU_DEP_1)
	v_fma_f32 v7, v4, v6, -v7
	;; [unrolled: 3-line block ×19, first 2 shown]
	v_add_f32_e32 v6, 0x3dd4d5f8, v6
	s_delay_alu instid0(VALU_DEP_1) | instskip(SKIP_1) | instid1(VALU_DEP_2)
	v_fma_f32 v4, v4, v6, -v7
	v_mul_f32_e32 v6, 0x37800000, v11
	v_add_f32_e32 v4, 0x402e1ebd, v4
	s_delay_alu instid0(VALU_DEP_2) | instskip(SKIP_1) | instid1(VALU_DEP_3)
	v_cndmask_b32_e32 v6, v11, v6, vcc_lo
	v_cmp_class_f32_e64 vcc_lo, v8, 0x260
	v_sub_f32_e32 v4, v4, v7
	s_delay_alu instid0(VALU_DEP_3) | instskip(NEXT) | instid1(VALU_DEP_2)
	v_cndmask_b32_e32 v6, v6, v8, vcc_lo
	v_mul_f32_e32 v4, 0.5, v4
	s_delay_alu instid0(VALU_DEP_1) | instskip(NEXT) | instid1(VALU_DEP_1)
	v_div_scale_f32 v7, null, v6, v6, v4
	v_rcp_f32_e32 v8, v7
	s_waitcnt_depctr 0xfff
	v_fma_f32 v11, -v7, v8, 1.0
	s_delay_alu instid0(VALU_DEP_1) | instskip(SKIP_1) | instid1(VALU_DEP_1)
	v_fmac_f32_e32 v8, v11, v8
	v_div_scale_f32 v11, vcc_lo, v4, v6, v4
	v_mul_f32_e32 v12, v11, v8
	s_delay_alu instid0(VALU_DEP_1) | instskip(NEXT) | instid1(VALU_DEP_1)
	v_fma_f32 v13, -v7, v12, v11
	v_fmac_f32_e32 v12, v13, v8
	s_delay_alu instid0(VALU_DEP_1) | instskip(NEXT) | instid1(VALU_DEP_1)
	v_fma_f32 v7, -v7, v12, v11
	v_div_fmas_f32 v7, v7, v8, v12
	s_delay_alu instid0(VALU_DEP_1)
	v_div_fixup_f32 v4, v7, v6, v4
.LBB13_34:
	s_or_b32 exec_lo, exec_lo, s1
.LBB13_35:
	s_delay_alu instid0(SALU_CYCLE_1)
	s_or_b32 exec_lo, exec_lo, s5
.LBB13_36:
	s_delay_alu instid0(SALU_CYCLE_1) | instskip(NEXT) | instid1(SALU_CYCLE_1)
	s_or_b32 exec_lo, exec_lo, s4
	s_mov_b32 s4, exec_lo
	v_cmpx_neq_f32_e32 0, v9
	s_cbranch_execz .LBB13_48
; %bb.37:
	v_mov_b32_e32 v5, 0x7fc00000
	s_mov_b32 s5, exec_lo
	v_cmpx_ngt_f32_e32 0, v9
	s_cbranch_execz .LBB13_47
; %bb.38:
	s_mov_b32 s0, exec_lo
	v_cmpx_ge_f32_e32 2.0, v9
	s_xor_b32 s6, exec_lo, s0
	s_cbranch_execz .LBB13_44
; %bb.39:
	v_mul_f32_e32 v5, 0.5, v9
	v_mul_f32_e32 v6, 0x3fb8aa3b, v9
	s_mov_b32 s0, exec_lo
                                        ; implicit-def: $vgpr8
                                        ; implicit-def: $vgpr7
	v_cmpx_ge_f32_e32 0x41000000, v9
	s_xor_b32 s0, exec_lo, s0
	s_cbranch_execz .LBB13_41
; %bb.40:
	v_add_f32_e32 v7, -2.0, v5
	s_mov_b32 s1, 0x224cf950
	v_rndne_f32_e32 v12, v6
	v_fma_f32 v13, 0x3fb8aa3b, v9, -v6
	v_cmp_ngt_f32_e32 vcc_lo, 0xc2ce8ed0, v9
	v_fmaak_f32 v8, s1, v7, 0xa3c2be86
	s_delay_alu instid0(VALU_DEP_3) | instskip(NEXT) | instid1(VALU_DEP_1)
	v_dual_sub_f32 v6, v6, v12 :: v_dual_fmamk_f32 v13, v9, 0x32a5705f, v13
	v_dual_fmaak_f32 v11, v7, v8, 0xa24cf950 :: v_dual_add_f32 v6, v6, v13
	s_delay_alu instid0(VALU_DEP_1) | instskip(NEXT) | instid1(VALU_DEP_2)
	v_add_f32_e32 v11, 0x25331f1f, v11
	v_exp_f32_e32 v6, v6
	s_delay_alu instid0(VALU_DEP_1) | instskip(NEXT) | instid1(VALU_DEP_1)
	v_fma_f32 v8, v7, v11, -v8
	v_add_f32_e32 v8, 0xa69f5554, v8
	s_delay_alu instid0(VALU_DEP_1) | instskip(NEXT) | instid1(VALU_DEP_1)
	v_fma_f32 v11, v7, v8, -v11
	v_add_f32_e32 v11, 0x2808ebf8, v11
	;; [unrolled: 3-line block ×25, first 2 shown]
	s_delay_alu instid0(VALU_DEP_1) | instskip(SKIP_1) | instid1(VALU_DEP_2)
	v_fma_f32 v7, v7, v8, -v11
	v_cvt_i32_f32_e32 v8, v12
	v_add_f32_e32 v7, 0x3e81531c, v7
	s_delay_alu instid0(VALU_DEP_2) | instskip(NEXT) | instid1(VALU_DEP_1)
	v_ldexp_f32 v6, v6, v8
	v_dual_sub_f32 v7, v7, v11 :: v_dual_cndmask_b32 v6, 0, v6
	v_cmp_nlt_f32_e32 vcc_lo, 0x42b17218, v9
	s_delay_alu instid0(VALU_DEP_2) | instskip(NEXT) | instid1(VALU_DEP_1)
	v_mul_f32_e32 v7, 0.5, v7
	v_dual_mul_f32 v8, v9, v7 :: v_dual_cndmask_b32 v7, 0x7f800000, v6
                                        ; implicit-def: $vgpr6
	s_delay_alu instid0(VALU_DEP_1)
	v_mul_f32_e32 v8, v7, v8
.LBB13_41:
	s_and_not1_saveexec_b32 s1, s0
	s_cbranch_execz .LBB13_43
; %bb.42:
	v_div_scale_f32 v7, null, v9, v9, 0x42000000
	v_div_scale_f32 v12, vcc_lo, 0x42000000, v9, 0x42000000
	s_mov_b32 s0, 0x230aab6e
	s_delay_alu instid0(VALU_DEP_2) | instskip(SKIP_1) | instid1(VALU_DEP_1)
	v_rcp_f32_e32 v8, v7
	v_fma_f32 v14, 0x3fb8aa3b, v9, -v6
	v_fmamk_f32 v14, v9, 0x32a5705f, v14
	s_waitcnt_depctr 0xfff
	v_fma_f32 v11, -v7, v8, 1.0
	s_delay_alu instid0(VALU_DEP_1) | instskip(NEXT) | instid1(VALU_DEP_1)
	v_fmac_f32_e32 v8, v11, v8
	v_mul_f32_e32 v11, v12, v8
	s_delay_alu instid0(VALU_DEP_1) | instskip(NEXT) | instid1(VALU_DEP_1)
	v_fma_f32 v13, -v7, v11, v12
	v_fmac_f32_e32 v11, v13, v8
	v_rndne_f32_e32 v13, v6
	s_delay_alu instid0(VALU_DEP_2) | instskip(SKIP_1) | instid1(VALU_DEP_3)
	v_fma_f32 v7, -v7, v11, v12
	v_mul_f32_e32 v12, 0x4f800000, v9
	v_sub_f32_e32 v6, v6, v13
	v_cvt_i32_f32_e32 v13, v13
	s_delay_alu instid0(VALU_DEP_4) | instskip(SKIP_1) | instid1(VALU_DEP_4)
	v_div_fmas_f32 v7, v7, v8, v11
	v_cmp_gt_f32_e32 vcc_lo, 0xf800000, v9
	v_add_f32_e32 v6, v6, v14
	s_delay_alu instid0(VALU_DEP_3) | instskip(SKIP_1) | instid1(VALU_DEP_3)
	v_div_fixup_f32 v7, v7, v9, 0x42000000
	v_cndmask_b32_e32 v12, v9, v12, vcc_lo
	v_exp_f32_e32 v6, v6
	s_delay_alu instid0(VALU_DEP_2) | instskip(NEXT) | instid1(VALU_DEP_2)
	v_add_f32_e32 v7, -2.0, v7
	v_sqrt_f32_e32 v15, v12
	s_delay_alu instid0(VALU_DEP_1) | instskip(SKIP_4) | instid1(VALU_DEP_2)
	v_fmaak_f32 v8, s0, v7, 0x22a2dc57
	s_waitcnt_depctr 0xfff
	v_ldexp_f32 v6, v6, v13
	v_dual_fmaak_f32 v11, v7, v8, 0xa30aab6e :: v_dual_add_nc_u32 v14, -1, v15
	v_add_nc_u32_e32 v16, 1, v15
	v_add_f32_e32 v11, 0xa456751e, v11
	s_delay_alu instid0(VALU_DEP_3) | instskip(NEXT) | instid1(VALU_DEP_3)
	v_fma_f32 v17, -v14, v15, v12
	v_fma_f32 v18, -v16, v15, v12
	s_delay_alu instid0(VALU_DEP_3) | instskip(NEXT) | instid1(VALU_DEP_3)
	v_fma_f32 v8, v7, v11, -v8
	v_cmp_ge_f32_e64 s0, 0, v17
	s_delay_alu instid0(VALU_DEP_2) | instskip(NEXT) | instid1(VALU_DEP_2)
	v_add_f32_e32 v8, 0xa4140365, v8
	v_cndmask_b32_e64 v14, v15, v14, s0
	v_cmp_lt_f32_e64 s0, 0, v18
	s_delay_alu instid0(VALU_DEP_3) | instskip(NEXT) | instid1(VALU_DEP_1)
	v_fma_f32 v11, v7, v8, -v11
	v_add_f32_e32 v11, 0x25aac8b0, v11
	s_delay_alu instid0(VALU_DEP_1) | instskip(NEXT) | instid1(VALU_DEP_1)
	v_fma_f32 v8, v7, v11, -v8
	v_add_f32_e32 v8, 0x25beb473, v8
	s_delay_alu instid0(VALU_DEP_1) | instskip(NEXT) | instid1(VALU_DEP_1)
	;; [unrolled: 3-line block ×19, first 2 shown]
	v_fma_f32 v8, v7, v11, -v8
	v_add_f32_e32 v8, 0xbc1fed03, v8
	s_delay_alu instid0(VALU_DEP_1) | instskip(SKIP_2) | instid1(VALU_DEP_3)
	v_fma_f32 v7, v7, v8, -v11
	v_cndmask_b32_e64 v8, v14, v16, s0
	v_cmp_ngt_f32_e64 s0, 0xc2ce8ed0, v9
	v_add_f32_e32 v7, 0x3f4750c6, v7
	s_delay_alu instid0(VALU_DEP_3) | instskip(NEXT) | instid1(VALU_DEP_3)
	v_mul_f32_e32 v13, 0x37800000, v8
	v_cndmask_b32_e64 v6, 0, v6, s0
	v_cmp_nlt_f32_e64 s0, 0x42b17218, v9
	s_delay_alu instid0(VALU_DEP_4) | instskip(NEXT) | instid1(VALU_DEP_2)
	v_sub_f32_e32 v11, v7, v11
	v_cndmask_b32_e64 v7, 0x7f800000, v6, s0
	v_cndmask_b32_e32 v6, v8, v13, vcc_lo
	s_delay_alu instid0(VALU_DEP_3) | instskip(SKIP_1) | instid1(VALU_DEP_2)
	v_mul_f32_e32 v8, 0.5, v11
	v_cmp_class_f32_e64 vcc_lo, v12, 0x260
	v_mul_f32_e32 v8, v7, v8
	s_delay_alu instid0(VALU_DEP_4) | instskip(NEXT) | instid1(VALU_DEP_1)
	v_cndmask_b32_e32 v6, v6, v12, vcc_lo
	v_div_scale_f32 v11, null, v6, v6, v8
	s_delay_alu instid0(VALU_DEP_1) | instskip(SKIP_2) | instid1(VALU_DEP_1)
	v_rcp_f32_e32 v12, v11
	s_waitcnt_depctr 0xfff
	v_fma_f32 v13, -v11, v12, 1.0
	v_fmac_f32_e32 v12, v13, v12
	v_div_scale_f32 v13, vcc_lo, v8, v6, v8
	s_delay_alu instid0(VALU_DEP_1) | instskip(NEXT) | instid1(VALU_DEP_1)
	v_mul_f32_e32 v14, v13, v12
	v_fma_f32 v15, -v11, v14, v13
	s_delay_alu instid0(VALU_DEP_1) | instskip(NEXT) | instid1(VALU_DEP_1)
	v_fmac_f32_e32 v14, v15, v12
	v_fma_f32 v11, -v11, v14, v13
	s_delay_alu instid0(VALU_DEP_1) | instskip(NEXT) | instid1(VALU_DEP_1)
	v_div_fmas_f32 v11, v11, v12, v14
	v_div_fixup_f32 v8, v11, v6, v8
.LBB13_43:
	s_or_b32 exec_lo, exec_lo, s1
	v_fma_f32 v6, v9, v9, -2.0
	s_mov_b32 s0, 0xa3019142
	v_cmp_gt_f32_e32 vcc_lo, 0x800000, v5
	s_delay_alu instid0(VALU_DEP_2) | instskip(NEXT) | instid1(VALU_DEP_1)
	v_fmaak_f32 v11, s0, v6, 0xa72eea8c
	v_fmaak_f32 v12, v6, v11, 0x23019142
	s_delay_alu instid0(VALU_DEP_1) | instskip(NEXT) | instid1(VALU_DEP_1)
	v_add_f32_e32 v12, 0xab3ba817, v12
	v_fma_f32 v11, v6, v12, -v11
	s_delay_alu instid0(VALU_DEP_1) | instskip(NEXT) | instid1(VALU_DEP_1)
	v_add_f32_e32 v11, 0xaf1b31de, v11
	v_fma_f32 v12, v6, v11, -v12
	s_delay_alu instid0(VALU_DEP_1) | instskip(NEXT) | instid1(VALU_DEP_1)
	v_add_f32_e32 v12, 0xb2be20e9, v12
	v_fma_f32 v11, v6, v12, -v11
	s_delay_alu instid0(VALU_DEP_1) | instskip(NEXT) | instid1(VALU_DEP_1)
	v_add_f32_e32 v11, 0xb6234d99, v11
	v_fma_f32 v12, v6, v11, -v12
	s_delay_alu instid0(VALU_DEP_1) | instskip(NEXT) | instid1(VALU_DEP_1)
	v_add_f32_e32 v12, 0xb9356f17, v12
	v_fma_f32 v11, v6, v12, -v11
	s_delay_alu instid0(VALU_DEP_1) | instskip(NEXT) | instid1(VALU_DEP_1)
	v_add_f32_e32 v11, 0xbbe4949d, v11
	v_fma_f32 v12, v6, v11, -v12
	s_delay_alu instid0(VALU_DEP_1) | instskip(NEXT) | instid1(VALU_DEP_1)
	v_add_f32_e32 v12, 0xbdfb1b92, v12
	v_fma_f32 v11, v6, v12, -v11
	s_delay_alu instid0(VALU_DEP_1) | instskip(NEXT) | instid1(VALU_DEP_1)
	v_add_f32_e32 v11, 0xbeb4d0dc, v11
	v_fma_f32 v6, v6, v11, -v12
	s_delay_alu instid0(VALU_DEP_1) | instskip(NEXT) | instid1(VALU_DEP_1)
	v_add_f32_e32 v6, 0x3fc33d0a, v6
	v_sub_f32_e32 v6, v6, v12
	v_cndmask_b32_e64 v12, 1.0, 0x4f800000, vcc_lo
	s_delay_alu instid0(VALU_DEP_1) | instskip(NEXT) | instid1(VALU_DEP_1)
	v_dual_mul_f32 v6, 0.5, v6 :: v_dual_mul_f32 v5, v5, v12
	v_div_scale_f32 v11, null, v9, v9, v6
	s_delay_alu instid0(VALU_DEP_2) | instskip(SKIP_1) | instid1(VALU_DEP_2)
	v_log_f32_e32 v5, v5
	v_div_scale_f32 v14, s0, v6, v9, v6
	v_rcp_f32_e32 v13, v11
	s_waitcnt_depctr 0xfff
	v_cmp_gt_f32_e64 s1, 0x7f800000, |v5|
	v_fma_f32 v12, -v11, v13, 1.0
	s_delay_alu instid0(VALU_DEP_1) | instskip(SKIP_1) | instid1(VALU_DEP_1)
	v_fmac_f32_e32 v13, v12, v13
	v_mul_f32_e32 v12, 0x3f317217, v5
	v_fma_f32 v16, 0x3f317217, v5, -v12
	s_delay_alu instid0(VALU_DEP_1) | instskip(NEXT) | instid1(VALU_DEP_1)
	v_dual_fmamk_f32 v16, v5, 0x3377d1cf, v16 :: v_dual_mul_f32 v15, v14, v13
	v_add_f32_e32 v12, v12, v16
	s_delay_alu instid0(VALU_DEP_2) | instskip(NEXT) | instid1(VALU_DEP_2)
	v_fma_f32 v17, -v11, v15, v14
	v_cndmask_b32_e64 v5, v5, v12, s1
	s_delay_alu instid0(VALU_DEP_2) | instskip(SKIP_2) | instid1(VALU_DEP_2)
	v_fmac_f32_e32 v15, v17, v13
	v_cndmask_b32_e64 v12, 0, 0x41b17218, vcc_lo
	s_mov_b32 vcc_lo, s0
	v_fma_f32 v11, -v11, v15, v14
	s_delay_alu instid0(VALU_DEP_2) | instskip(NEXT) | instid1(VALU_DEP_2)
	v_sub_f32_e32 v5, v5, v12
	v_div_fmas_f32 v11, v11, v13, v15
	s_delay_alu instid0(VALU_DEP_1) | instskip(NEXT) | instid1(VALU_DEP_1)
	v_div_fixup_f32 v6, v11, v9, v6
	v_fmac_f32_e32 v6, v5, v8
	s_delay_alu instid0(VALU_DEP_1)
	v_mul_f32_e32 v5, v7, v6
                                        ; implicit-def: $vgpr6_vgpr7_vgpr8_vgpr9
.LBB13_44:
	s_and_not1_saveexec_b32 s1, s6
	s_cbranch_execz .LBB13_46
; %bb.45:
	v_div_scale_f32 v5, null, v9, v9, 0x41000000
	v_div_scale_f32 v8, vcc_lo, 0x41000000, v9, 0x41000000
	s_mov_b32 s0, 0xa2d462ea
	s_delay_alu instid0(VALU_DEP_2) | instskip(SKIP_2) | instid1(VALU_DEP_1)
	v_rcp_f32_e32 v6, v5
	s_waitcnt_depctr 0xfff
	v_fma_f32 v7, -v5, v6, 1.0
	v_fmac_f32_e32 v6, v7, v6
	s_delay_alu instid0(VALU_DEP_1) | instskip(NEXT) | instid1(VALU_DEP_1)
	v_mul_f32_e32 v7, v8, v6
	v_fma_f32 v11, -v5, v7, v8
	s_delay_alu instid0(VALU_DEP_1) | instskip(NEXT) | instid1(VALU_DEP_1)
	v_fmac_f32_e32 v7, v11, v6
	v_fma_f32 v5, -v5, v7, v8
	v_mul_f32_e32 v8, 0x4f800000, v9
	s_delay_alu instid0(VALU_DEP_2) | instskip(SKIP_1) | instid1(VALU_DEP_2)
	v_div_fmas_f32 v5, v5, v6, v7
	v_cmp_gt_f32_e32 vcc_lo, 0xf800000, v9
	v_div_fixup_f32 v5, v5, v9, 0x41000000
	s_delay_alu instid0(VALU_DEP_1) | instskip(NEXT) | instid1(VALU_DEP_1)
	v_dual_cndmask_b32 v8, v9, v8 :: v_dual_add_f32 v5, -2.0, v5
	v_sqrt_f32_e32 v9, v8
	s_delay_alu instid0(VALU_DEP_1) | instskip(SKIP_3) | instid1(VALU_DEP_2)
	v_fmaak_f32 v6, s0, v5, 0x23a578d4
	s_waitcnt_depctr 0xfff
	v_dual_fmaak_f32 v7, v5, v6, 0x22d462ea :: v_dual_add_nc_u32 v12, 1, v9
	v_add_nc_u32_e32 v11, -1, v9
	v_fma_f32 v14, -v12, v9, v8
	s_delay_alu instid0(VALU_DEP_2) | instskip(NEXT) | instid1(VALU_DEP_1)
	v_fma_f32 v13, -v11, v9, v8
	v_cmp_ge_f32_e64 s0, 0, v13
	s_delay_alu instid0(VALU_DEP_1) | instskip(NEXT) | instid1(VALU_DEP_4)
	v_cndmask_b32_e64 v9, v9, v11, s0
	v_cmp_lt_f32_e64 s0, 0, v14
	s_delay_alu instid0(VALU_DEP_1) | instskip(SKIP_1) | instid1(VALU_DEP_1)
	v_cndmask_b32_e64 v9, v9, v12, s0
	v_add_f32_e32 v7, 0xa48330a9, v7
	v_fma_f32 v6, v5, v7, -v6
	s_delay_alu instid0(VALU_DEP_1) | instskip(NEXT) | instid1(VALU_DEP_1)
	v_add_f32_e32 v6, 0x2553eaf2, v6
	v_fma_f32 v7, v5, v6, -v7
	s_delay_alu instid0(VALU_DEP_1) | instskip(NEXT) | instid1(VALU_DEP_1)
	;; [unrolled: 3-line block ×21, first 2 shown]
	v_add_f32_e32 v6, 0x3dd4d5f8, v6
	v_fma_f32 v5, v5, v6, -v7
	v_mul_f32_e32 v6, 0x37800000, v9
	s_delay_alu instid0(VALU_DEP_1) | instskip(SKIP_1) | instid1(VALU_DEP_2)
	v_dual_add_f32 v5, 0x402e1ebd, v5 :: v_dual_cndmask_b32 v6, v9, v6
	v_cmp_class_f32_e64 vcc_lo, v8, 0x260
	v_dual_sub_f32 v5, v5, v7 :: v_dual_cndmask_b32 v6, v6, v8
	s_delay_alu instid0(VALU_DEP_1) | instskip(NEXT) | instid1(VALU_DEP_1)
	v_mul_f32_e32 v5, 0.5, v5
	v_div_scale_f32 v7, null, v6, v6, v5
	s_delay_alu instid0(VALU_DEP_1) | instskip(SKIP_2) | instid1(VALU_DEP_1)
	v_rcp_f32_e32 v8, v7
	s_waitcnt_depctr 0xfff
	v_fma_f32 v9, -v7, v8, 1.0
	v_fmac_f32_e32 v8, v9, v8
	v_div_scale_f32 v9, vcc_lo, v5, v6, v5
	s_delay_alu instid0(VALU_DEP_1) | instskip(NEXT) | instid1(VALU_DEP_1)
	v_mul_f32_e32 v11, v9, v8
	v_fma_f32 v12, -v7, v11, v9
	s_delay_alu instid0(VALU_DEP_1) | instskip(NEXT) | instid1(VALU_DEP_1)
	v_fmac_f32_e32 v11, v12, v8
	v_fma_f32 v7, -v7, v11, v9
	s_delay_alu instid0(VALU_DEP_1) | instskip(NEXT) | instid1(VALU_DEP_1)
	v_div_fmas_f32 v7, v7, v8, v11
	v_div_fixup_f32 v5, v7, v6, v5
.LBB13_46:
	s_or_b32 exec_lo, exec_lo, s1
.LBB13_47:
	s_delay_alu instid0(SALU_CYCLE_1)
	s_or_b32 exec_lo, exec_lo, s5
.LBB13_48:
	s_delay_alu instid0(SALU_CYCLE_1) | instskip(SKIP_2) | instid1(VALU_DEP_2)
	s_or_b32 exec_lo, exec_lo, s4
	v_add_co_u32 v0, vcc_lo, v0, s2
	v_add_co_ci_u32_e32 v1, vcc_lo, s3, v1, vcc_lo
	v_add_co_u32 v0, vcc_lo, v0, v10
	s_delay_alu instid0(VALU_DEP_2)
	v_add_co_ci_u32_e32 v1, vcc_lo, 0, v1, vcc_lo
	flat_store_b128 v[0:1], v[2:5]
	s_waitcnt lgkmcnt(0)
	s_setpc_b64 s[30:31]
.Lfunc_end13:
	.size	_ZN2at6native25elementwise_kernel_helperILb0EZZZNS0_12_GLOBAL__N_137scaled_modified_bessel_k1_kernel_cudaERNS_18TensorIteratorBaseEENKUlvE_clEvENKUlvE0_clEvEUlfE_NS0_6memory8policies10vectorizedILi4ESt5arrayIPcLm2EELi4EEEEEvT0_T1_, .Lfunc_end13-_ZN2at6native25elementwise_kernel_helperILb0EZZZNS0_12_GLOBAL__N_137scaled_modified_bessel_k1_kernel_cudaERNS_18TensorIteratorBaseEENKUlvE_clEvENKUlvE0_clEvEUlfE_NS0_6memory8policies10vectorizedILi4ESt5arrayIPcLm2EELi4EEEEEvT0_T1_
                                        ; -- End function
	.section	.AMDGPU.csdata,"",@progbits
; Function info:
; codeLenInByte = 12036
; NumSgprs: 34
; NumVgprs: 32
; ScratchSize: 0
; MemoryBound: 0
	.section	.text._ZN2at6native29vectorized_elementwise_kernelILi16EZZZNS0_12_GLOBAL__N_137scaled_modified_bessel_k1_kernel_cudaERNS_18TensorIteratorBaseEENKUlvE_clEvENKUlvE0_clEvEUlfE_St5arrayIPcLm2EEEEviT0_T1_,"axG",@progbits,_ZN2at6native29vectorized_elementwise_kernelILi16EZZZNS0_12_GLOBAL__N_137scaled_modified_bessel_k1_kernel_cudaERNS_18TensorIteratorBaseEENKUlvE_clEvENKUlvE0_clEvEUlfE_St5arrayIPcLm2EEEEviT0_T1_,comdat
	.globl	_ZN2at6native29vectorized_elementwise_kernelILi16EZZZNS0_12_GLOBAL__N_137scaled_modified_bessel_k1_kernel_cudaERNS_18TensorIteratorBaseEENKUlvE_clEvENKUlvE0_clEvEUlfE_St5arrayIPcLm2EEEEviT0_T1_ ; -- Begin function _ZN2at6native29vectorized_elementwise_kernelILi16EZZZNS0_12_GLOBAL__N_137scaled_modified_bessel_k1_kernel_cudaERNS_18TensorIteratorBaseEENKUlvE_clEvENKUlvE0_clEvEUlfE_St5arrayIPcLm2EEEEviT0_T1_
	.p2align	8
	.type	_ZN2at6native29vectorized_elementwise_kernelILi16EZZZNS0_12_GLOBAL__N_137scaled_modified_bessel_k1_kernel_cudaERNS_18TensorIteratorBaseEENKUlvE_clEvENKUlvE0_clEvEUlfE_St5arrayIPcLm2EEEEviT0_T1_,@function
_ZN2at6native29vectorized_elementwise_kernelILi16EZZZNS0_12_GLOBAL__N_137scaled_modified_bessel_k1_kernel_cudaERNS_18TensorIteratorBaseEENKUlvE_clEvENKUlvE0_clEvEUlfE_St5arrayIPcLm2EEEEviT0_T1_: ; @_ZN2at6native29vectorized_elementwise_kernelILi16EZZZNS0_12_GLOBAL__N_137scaled_modified_bessel_k1_kernel_cudaERNS_18TensorIteratorBaseEENKUlvE_clEvENKUlvE0_clEvEUlfE_St5arrayIPcLm2EEEEviT0_T1_
; %bb.0:
	s_clause 0x1
	s_load_b32 s2, s[0:1], 0x0
	s_load_b128 s[8:11], s[0:1], 0x8
	s_lshl_b32 s0, s15, 10
	v_mov_b32_e32 v31, v0
	s_mov_b32 s12, s15
	s_mov_b32 s32, 0
	s_waitcnt lgkmcnt(0)
	s_sub_i32 s7, s2, s0
	s_mov_b32 s0, -1
	s_cmpk_gt_i32 s7, 0x3ff
	s_cbranch_scc1 .LBB14_3
; %bb.1:
	s_and_not1_b32 vcc_lo, exec_lo, s0
	s_cbranch_vccz .LBB14_4
.LBB14_2:
	s_endpgm
.LBB14_3:
	v_dual_mov_b32 v0, s8 :: v_dual_mov_b32 v1, s9
	v_dual_mov_b32 v2, s10 :: v_dual_mov_b32 v3, s11
	s_getpc_b64 s[0:1]
	s_add_u32 s0, s0, _ZN2at6native25elementwise_kernel_helperILb0EZZZNS0_12_GLOBAL__N_137scaled_modified_bessel_k1_kernel_cudaERNS_18TensorIteratorBaseEENKUlvE_clEvENKUlvE0_clEvEUlfE_NS0_6memory8policies10vectorizedILi4ESt5arrayIPcLm2EELi4EEEEEvT0_T1_@rel32@lo+4
	s_addc_u32 s1, s1, _ZN2at6native25elementwise_kernel_helperILb0EZZZNS0_12_GLOBAL__N_137scaled_modified_bessel_k1_kernel_cudaERNS_18TensorIteratorBaseEENKUlvE_clEvENKUlvE0_clEvEUlfE_NS0_6memory8policies10vectorizedILi4ESt5arrayIPcLm2EELi4EEEEEvT0_T1_@rel32@hi+12
	s_delay_alu instid0(SALU_CYCLE_1)
	s_swappc_b64 s[30:31], s[0:1]
	s_cbranch_execnz .LBB14_2
.LBB14_4:
	v_dual_mov_b32 v0, s8 :: v_dual_mov_b32 v1, s9
	v_dual_mov_b32 v2, s10 :: v_dual_mov_b32 v3, s11
	v_mov_b32_e32 v4, s7
	s_getpc_b64 s[0:1]
	s_add_u32 s0, s0, _ZN2at6native25elementwise_kernel_helperILb0EZZZNS0_12_GLOBAL__N_137scaled_modified_bessel_k1_kernel_cudaERNS_18TensorIteratorBaseEENKUlvE_clEvENKUlvE0_clEvEUlfE_NS0_6memory8policies11unroll_baseILi256ESt5arrayIPcLm2EE23TrivialOffsetCalculatorILi1EjESF_NS8_15LoadWithoutCastENS8_16StoreWithoutCastELi4ELi1EEEEEvT0_T1_@rel32@lo+4
	s_addc_u32 s1, s1, _ZN2at6native25elementwise_kernel_helperILb0EZZZNS0_12_GLOBAL__N_137scaled_modified_bessel_k1_kernel_cudaERNS_18TensorIteratorBaseEENKUlvE_clEvENKUlvE0_clEvEUlfE_NS0_6memory8policies11unroll_baseILi256ESt5arrayIPcLm2EE23TrivialOffsetCalculatorILi1EjESF_NS8_15LoadWithoutCastENS8_16StoreWithoutCastELi4ELi1EEEEEvT0_T1_@rel32@hi+12
	s_delay_alu instid0(SALU_CYCLE_1)
	s_swappc_b64 s[30:31], s[0:1]
	s_endpgm
	.section	.rodata,"a",@progbits
	.p2align	6, 0x0
	.amdhsa_kernel _ZN2at6native29vectorized_elementwise_kernelILi16EZZZNS0_12_GLOBAL__N_137scaled_modified_bessel_k1_kernel_cudaERNS_18TensorIteratorBaseEENKUlvE_clEvENKUlvE0_clEvEUlfE_St5arrayIPcLm2EEEEviT0_T1_
		.amdhsa_group_segment_fixed_size 0
		.amdhsa_private_segment_fixed_size 0
		.amdhsa_kernarg_size 24
		.amdhsa_user_sgpr_count 15
		.amdhsa_user_sgpr_dispatch_ptr 0
		.amdhsa_user_sgpr_queue_ptr 0
		.amdhsa_user_sgpr_kernarg_segment_ptr 1
		.amdhsa_user_sgpr_dispatch_id 0
		.amdhsa_user_sgpr_private_segment_size 0
		.amdhsa_wavefront_size32 1
		.amdhsa_uses_dynamic_stack 0
		.amdhsa_enable_private_segment 0
		.amdhsa_system_sgpr_workgroup_id_x 1
		.amdhsa_system_sgpr_workgroup_id_y 0
		.amdhsa_system_sgpr_workgroup_id_z 0
		.amdhsa_system_sgpr_workgroup_info 0
		.amdhsa_system_vgpr_workitem_id 0
		.amdhsa_next_free_vgpr 32
		.amdhsa_next_free_sgpr 33
		.amdhsa_reserve_vcc 1
		.amdhsa_float_round_mode_32 0
		.amdhsa_float_round_mode_16_64 0
		.amdhsa_float_denorm_mode_32 3
		.amdhsa_float_denorm_mode_16_64 3
		.amdhsa_dx10_clamp 1
		.amdhsa_ieee_mode 1
		.amdhsa_fp16_overflow 0
		.amdhsa_workgroup_processor_mode 1
		.amdhsa_memory_ordered 1
		.amdhsa_forward_progress 0
		.amdhsa_shared_vgpr_count 0
		.amdhsa_exception_fp_ieee_invalid_op 0
		.amdhsa_exception_fp_denorm_src 0
		.amdhsa_exception_fp_ieee_div_zero 0
		.amdhsa_exception_fp_ieee_overflow 0
		.amdhsa_exception_fp_ieee_underflow 0
		.amdhsa_exception_fp_ieee_inexact 0
		.amdhsa_exception_int_div_zero 0
	.end_amdhsa_kernel
	.section	.text._ZN2at6native29vectorized_elementwise_kernelILi16EZZZNS0_12_GLOBAL__N_137scaled_modified_bessel_k1_kernel_cudaERNS_18TensorIteratorBaseEENKUlvE_clEvENKUlvE0_clEvEUlfE_St5arrayIPcLm2EEEEviT0_T1_,"axG",@progbits,_ZN2at6native29vectorized_elementwise_kernelILi16EZZZNS0_12_GLOBAL__N_137scaled_modified_bessel_k1_kernel_cudaERNS_18TensorIteratorBaseEENKUlvE_clEvENKUlvE0_clEvEUlfE_St5arrayIPcLm2EEEEviT0_T1_,comdat
.Lfunc_end14:
	.size	_ZN2at6native29vectorized_elementwise_kernelILi16EZZZNS0_12_GLOBAL__N_137scaled_modified_bessel_k1_kernel_cudaERNS_18TensorIteratorBaseEENKUlvE_clEvENKUlvE0_clEvEUlfE_St5arrayIPcLm2EEEEviT0_T1_, .Lfunc_end14-_ZN2at6native29vectorized_elementwise_kernelILi16EZZZNS0_12_GLOBAL__N_137scaled_modified_bessel_k1_kernel_cudaERNS_18TensorIteratorBaseEENKUlvE_clEvENKUlvE0_clEvEUlfE_St5arrayIPcLm2EEEEviT0_T1_
                                        ; -- End function
	.section	.AMDGPU.csdata,"",@progbits
; Kernel info:
; codeLenInByte = 168
; NumSgprs: 35
; NumVgprs: 32
; ScratchSize: 0
; MemoryBound: 0
; FloatMode: 240
; IeeeMode: 1
; LDSByteSize: 0 bytes/workgroup (compile time only)
; SGPRBlocks: 4
; VGPRBlocks: 3
; NumSGPRsForWavesPerEU: 35
; NumVGPRsForWavesPerEU: 32
; Occupancy: 16
; WaveLimiterHint : 0
; COMPUTE_PGM_RSRC2:SCRATCH_EN: 0
; COMPUTE_PGM_RSRC2:USER_SGPR: 15
; COMPUTE_PGM_RSRC2:TRAP_HANDLER: 0
; COMPUTE_PGM_RSRC2:TGID_X_EN: 1
; COMPUTE_PGM_RSRC2:TGID_Y_EN: 0
; COMPUTE_PGM_RSRC2:TGID_Z_EN: 0
; COMPUTE_PGM_RSRC2:TIDIG_COMP_CNT: 0
	.section	.text._ZN2at6native29vectorized_elementwise_kernelILi8EZZZNS0_12_GLOBAL__N_137scaled_modified_bessel_k1_kernel_cudaERNS_18TensorIteratorBaseEENKUlvE_clEvENKUlvE0_clEvEUlfE_St5arrayIPcLm2EEEEviT0_T1_,"axG",@progbits,_ZN2at6native29vectorized_elementwise_kernelILi8EZZZNS0_12_GLOBAL__N_137scaled_modified_bessel_k1_kernel_cudaERNS_18TensorIteratorBaseEENKUlvE_clEvENKUlvE0_clEvEUlfE_St5arrayIPcLm2EEEEviT0_T1_,comdat
	.globl	_ZN2at6native29vectorized_elementwise_kernelILi8EZZZNS0_12_GLOBAL__N_137scaled_modified_bessel_k1_kernel_cudaERNS_18TensorIteratorBaseEENKUlvE_clEvENKUlvE0_clEvEUlfE_St5arrayIPcLm2EEEEviT0_T1_ ; -- Begin function _ZN2at6native29vectorized_elementwise_kernelILi8EZZZNS0_12_GLOBAL__N_137scaled_modified_bessel_k1_kernel_cudaERNS_18TensorIteratorBaseEENKUlvE_clEvENKUlvE0_clEvEUlfE_St5arrayIPcLm2EEEEviT0_T1_
	.p2align	8
	.type	_ZN2at6native29vectorized_elementwise_kernelILi8EZZZNS0_12_GLOBAL__N_137scaled_modified_bessel_k1_kernel_cudaERNS_18TensorIteratorBaseEENKUlvE_clEvENKUlvE0_clEvEUlfE_St5arrayIPcLm2EEEEviT0_T1_,@function
_ZN2at6native29vectorized_elementwise_kernelILi8EZZZNS0_12_GLOBAL__N_137scaled_modified_bessel_k1_kernel_cudaERNS_18TensorIteratorBaseEENKUlvE_clEvENKUlvE0_clEvEUlfE_St5arrayIPcLm2EEEEviT0_T1_: ; @_ZN2at6native29vectorized_elementwise_kernelILi8EZZZNS0_12_GLOBAL__N_137scaled_modified_bessel_k1_kernel_cudaERNS_18TensorIteratorBaseEENKUlvE_clEvENKUlvE0_clEvEUlfE_St5arrayIPcLm2EEEEviT0_T1_
; %bb.0:
	s_clause 0x1
	s_load_b32 s2, s[0:1], 0x0
	s_load_b128 s[8:11], s[0:1], 0x8
	s_lshl_b32 s0, s15, 10
	v_mov_b32_e32 v31, v0
	s_mov_b32 s12, s15
	s_mov_b32 s32, 0
	s_waitcnt lgkmcnt(0)
	s_sub_i32 s7, s2, s0
	s_mov_b32 s0, -1
	s_cmpk_gt_i32 s7, 0x3ff
	s_cbranch_scc1 .LBB15_3
; %bb.1:
	s_and_not1_b32 vcc_lo, exec_lo, s0
	s_cbranch_vccz .LBB15_4
.LBB15_2:
	s_endpgm
.LBB15_3:
	v_dual_mov_b32 v0, s8 :: v_dual_mov_b32 v1, s9
	v_dual_mov_b32 v2, s10 :: v_dual_mov_b32 v3, s11
	s_getpc_b64 s[0:1]
	s_add_u32 s0, s0, _ZN2at6native25elementwise_kernel_helperILb0EZZZNS0_12_GLOBAL__N_137scaled_modified_bessel_k1_kernel_cudaERNS_18TensorIteratorBaseEENKUlvE_clEvENKUlvE0_clEvEUlfE_NS0_6memory8policies10vectorizedILi4ESt5arrayIPcLm2EELi4EEEEEvT0_T1_@rel32@lo+4
	s_addc_u32 s1, s1, _ZN2at6native25elementwise_kernel_helperILb0EZZZNS0_12_GLOBAL__N_137scaled_modified_bessel_k1_kernel_cudaERNS_18TensorIteratorBaseEENKUlvE_clEvENKUlvE0_clEvEUlfE_NS0_6memory8policies10vectorizedILi4ESt5arrayIPcLm2EELi4EEEEEvT0_T1_@rel32@hi+12
	s_delay_alu instid0(SALU_CYCLE_1)
	s_swappc_b64 s[30:31], s[0:1]
	s_cbranch_execnz .LBB15_2
.LBB15_4:
	v_dual_mov_b32 v0, s8 :: v_dual_mov_b32 v1, s9
	v_dual_mov_b32 v2, s10 :: v_dual_mov_b32 v3, s11
	v_mov_b32_e32 v4, s7
	s_getpc_b64 s[0:1]
	s_add_u32 s0, s0, _ZN2at6native25elementwise_kernel_helperILb0EZZZNS0_12_GLOBAL__N_137scaled_modified_bessel_k1_kernel_cudaERNS_18TensorIteratorBaseEENKUlvE_clEvENKUlvE0_clEvEUlfE_NS0_6memory8policies11unroll_baseILi256ESt5arrayIPcLm2EE23TrivialOffsetCalculatorILi1EjESF_NS8_15LoadWithoutCastENS8_16StoreWithoutCastELi4ELi1EEEEEvT0_T1_@rel32@lo+4
	s_addc_u32 s1, s1, _ZN2at6native25elementwise_kernel_helperILb0EZZZNS0_12_GLOBAL__N_137scaled_modified_bessel_k1_kernel_cudaERNS_18TensorIteratorBaseEENKUlvE_clEvENKUlvE0_clEvEUlfE_NS0_6memory8policies11unroll_baseILi256ESt5arrayIPcLm2EE23TrivialOffsetCalculatorILi1EjESF_NS8_15LoadWithoutCastENS8_16StoreWithoutCastELi4ELi1EEEEEvT0_T1_@rel32@hi+12
	s_delay_alu instid0(SALU_CYCLE_1)
	s_swappc_b64 s[30:31], s[0:1]
	s_endpgm
	.section	.rodata,"a",@progbits
	.p2align	6, 0x0
	.amdhsa_kernel _ZN2at6native29vectorized_elementwise_kernelILi8EZZZNS0_12_GLOBAL__N_137scaled_modified_bessel_k1_kernel_cudaERNS_18TensorIteratorBaseEENKUlvE_clEvENKUlvE0_clEvEUlfE_St5arrayIPcLm2EEEEviT0_T1_
		.amdhsa_group_segment_fixed_size 0
		.amdhsa_private_segment_fixed_size 0
		.amdhsa_kernarg_size 24
		.amdhsa_user_sgpr_count 15
		.amdhsa_user_sgpr_dispatch_ptr 0
		.amdhsa_user_sgpr_queue_ptr 0
		.amdhsa_user_sgpr_kernarg_segment_ptr 1
		.amdhsa_user_sgpr_dispatch_id 0
		.amdhsa_user_sgpr_private_segment_size 0
		.amdhsa_wavefront_size32 1
		.amdhsa_uses_dynamic_stack 0
		.amdhsa_enable_private_segment 0
		.amdhsa_system_sgpr_workgroup_id_x 1
		.amdhsa_system_sgpr_workgroup_id_y 0
		.amdhsa_system_sgpr_workgroup_id_z 0
		.amdhsa_system_sgpr_workgroup_info 0
		.amdhsa_system_vgpr_workitem_id 0
		.amdhsa_next_free_vgpr 32
		.amdhsa_next_free_sgpr 33
		.amdhsa_reserve_vcc 1
		.amdhsa_float_round_mode_32 0
		.amdhsa_float_round_mode_16_64 0
		.amdhsa_float_denorm_mode_32 3
		.amdhsa_float_denorm_mode_16_64 3
		.amdhsa_dx10_clamp 1
		.amdhsa_ieee_mode 1
		.amdhsa_fp16_overflow 0
		.amdhsa_workgroup_processor_mode 1
		.amdhsa_memory_ordered 1
		.amdhsa_forward_progress 0
		.amdhsa_shared_vgpr_count 0
		.amdhsa_exception_fp_ieee_invalid_op 0
		.amdhsa_exception_fp_denorm_src 0
		.amdhsa_exception_fp_ieee_div_zero 0
		.amdhsa_exception_fp_ieee_overflow 0
		.amdhsa_exception_fp_ieee_underflow 0
		.amdhsa_exception_fp_ieee_inexact 0
		.amdhsa_exception_int_div_zero 0
	.end_amdhsa_kernel
	.section	.text._ZN2at6native29vectorized_elementwise_kernelILi8EZZZNS0_12_GLOBAL__N_137scaled_modified_bessel_k1_kernel_cudaERNS_18TensorIteratorBaseEENKUlvE_clEvENKUlvE0_clEvEUlfE_St5arrayIPcLm2EEEEviT0_T1_,"axG",@progbits,_ZN2at6native29vectorized_elementwise_kernelILi8EZZZNS0_12_GLOBAL__N_137scaled_modified_bessel_k1_kernel_cudaERNS_18TensorIteratorBaseEENKUlvE_clEvENKUlvE0_clEvEUlfE_St5arrayIPcLm2EEEEviT0_T1_,comdat
.Lfunc_end15:
	.size	_ZN2at6native29vectorized_elementwise_kernelILi8EZZZNS0_12_GLOBAL__N_137scaled_modified_bessel_k1_kernel_cudaERNS_18TensorIteratorBaseEENKUlvE_clEvENKUlvE0_clEvEUlfE_St5arrayIPcLm2EEEEviT0_T1_, .Lfunc_end15-_ZN2at6native29vectorized_elementwise_kernelILi8EZZZNS0_12_GLOBAL__N_137scaled_modified_bessel_k1_kernel_cudaERNS_18TensorIteratorBaseEENKUlvE_clEvENKUlvE0_clEvEUlfE_St5arrayIPcLm2EEEEviT0_T1_
                                        ; -- End function
	.section	.AMDGPU.csdata,"",@progbits
; Kernel info:
; codeLenInByte = 168
; NumSgprs: 35
; NumVgprs: 32
; ScratchSize: 0
; MemoryBound: 0
; FloatMode: 240
; IeeeMode: 1
; LDSByteSize: 0 bytes/workgroup (compile time only)
; SGPRBlocks: 4
; VGPRBlocks: 3
; NumSGPRsForWavesPerEU: 35
; NumVGPRsForWavesPerEU: 32
; Occupancy: 16
; WaveLimiterHint : 0
; COMPUTE_PGM_RSRC2:SCRATCH_EN: 0
; COMPUTE_PGM_RSRC2:USER_SGPR: 15
; COMPUTE_PGM_RSRC2:TRAP_HANDLER: 0
; COMPUTE_PGM_RSRC2:TGID_X_EN: 1
; COMPUTE_PGM_RSRC2:TGID_Y_EN: 0
; COMPUTE_PGM_RSRC2:TGID_Z_EN: 0
; COMPUTE_PGM_RSRC2:TIDIG_COMP_CNT: 0
	.section	.text._ZN2at6native29vectorized_elementwise_kernelILi4EZZZNS0_12_GLOBAL__N_137scaled_modified_bessel_k1_kernel_cudaERNS_18TensorIteratorBaseEENKUlvE_clEvENKUlvE0_clEvEUlfE_St5arrayIPcLm2EEEEviT0_T1_,"axG",@progbits,_ZN2at6native29vectorized_elementwise_kernelILi4EZZZNS0_12_GLOBAL__N_137scaled_modified_bessel_k1_kernel_cudaERNS_18TensorIteratorBaseEENKUlvE_clEvENKUlvE0_clEvEUlfE_St5arrayIPcLm2EEEEviT0_T1_,comdat
	.globl	_ZN2at6native29vectorized_elementwise_kernelILi4EZZZNS0_12_GLOBAL__N_137scaled_modified_bessel_k1_kernel_cudaERNS_18TensorIteratorBaseEENKUlvE_clEvENKUlvE0_clEvEUlfE_St5arrayIPcLm2EEEEviT0_T1_ ; -- Begin function _ZN2at6native29vectorized_elementwise_kernelILi4EZZZNS0_12_GLOBAL__N_137scaled_modified_bessel_k1_kernel_cudaERNS_18TensorIteratorBaseEENKUlvE_clEvENKUlvE0_clEvEUlfE_St5arrayIPcLm2EEEEviT0_T1_
	.p2align	8
	.type	_ZN2at6native29vectorized_elementwise_kernelILi4EZZZNS0_12_GLOBAL__N_137scaled_modified_bessel_k1_kernel_cudaERNS_18TensorIteratorBaseEENKUlvE_clEvENKUlvE0_clEvEUlfE_St5arrayIPcLm2EEEEviT0_T1_,@function
_ZN2at6native29vectorized_elementwise_kernelILi4EZZZNS0_12_GLOBAL__N_137scaled_modified_bessel_k1_kernel_cudaERNS_18TensorIteratorBaseEENKUlvE_clEvENKUlvE0_clEvEUlfE_St5arrayIPcLm2EEEEviT0_T1_: ; @_ZN2at6native29vectorized_elementwise_kernelILi4EZZZNS0_12_GLOBAL__N_137scaled_modified_bessel_k1_kernel_cudaERNS_18TensorIteratorBaseEENKUlvE_clEvENKUlvE0_clEvEUlfE_St5arrayIPcLm2EEEEviT0_T1_
; %bb.0:
	s_clause 0x1
	s_load_b32 s2, s[0:1], 0x0
	s_load_b128 s[8:11], s[0:1], 0x8
	s_lshl_b32 s0, s15, 10
	v_mov_b32_e32 v31, v0
	s_mov_b32 s12, s15
	s_mov_b32 s32, 0
	s_waitcnt lgkmcnt(0)
	s_sub_i32 s7, s2, s0
	s_mov_b32 s0, -1
	s_cmpk_gt_i32 s7, 0x3ff
	s_cbranch_scc1 .LBB16_3
; %bb.1:
	s_and_not1_b32 vcc_lo, exec_lo, s0
	s_cbranch_vccz .LBB16_4
.LBB16_2:
	s_endpgm
.LBB16_3:
	v_dual_mov_b32 v0, s8 :: v_dual_mov_b32 v1, s9
	v_dual_mov_b32 v2, s10 :: v_dual_mov_b32 v3, s11
	s_getpc_b64 s[0:1]
	s_add_u32 s0, s0, _ZN2at6native25elementwise_kernel_helperILb0EZZZNS0_12_GLOBAL__N_137scaled_modified_bessel_k1_kernel_cudaERNS_18TensorIteratorBaseEENKUlvE_clEvENKUlvE0_clEvEUlfE_NS0_6memory8policies10vectorizedILi4ESt5arrayIPcLm2EELi4EEEEEvT0_T1_@rel32@lo+4
	s_addc_u32 s1, s1, _ZN2at6native25elementwise_kernel_helperILb0EZZZNS0_12_GLOBAL__N_137scaled_modified_bessel_k1_kernel_cudaERNS_18TensorIteratorBaseEENKUlvE_clEvENKUlvE0_clEvEUlfE_NS0_6memory8policies10vectorizedILi4ESt5arrayIPcLm2EELi4EEEEEvT0_T1_@rel32@hi+12
	s_delay_alu instid0(SALU_CYCLE_1)
	s_swappc_b64 s[30:31], s[0:1]
	s_cbranch_execnz .LBB16_2
.LBB16_4:
	v_dual_mov_b32 v0, s8 :: v_dual_mov_b32 v1, s9
	v_dual_mov_b32 v2, s10 :: v_dual_mov_b32 v3, s11
	v_mov_b32_e32 v4, s7
	s_getpc_b64 s[0:1]
	s_add_u32 s0, s0, _ZN2at6native25elementwise_kernel_helperILb0EZZZNS0_12_GLOBAL__N_137scaled_modified_bessel_k1_kernel_cudaERNS_18TensorIteratorBaseEENKUlvE_clEvENKUlvE0_clEvEUlfE_NS0_6memory8policies11unroll_baseILi256ESt5arrayIPcLm2EE23TrivialOffsetCalculatorILi1EjESF_NS8_15LoadWithoutCastENS8_16StoreWithoutCastELi4ELi1EEEEEvT0_T1_@rel32@lo+4
	s_addc_u32 s1, s1, _ZN2at6native25elementwise_kernel_helperILb0EZZZNS0_12_GLOBAL__N_137scaled_modified_bessel_k1_kernel_cudaERNS_18TensorIteratorBaseEENKUlvE_clEvENKUlvE0_clEvEUlfE_NS0_6memory8policies11unroll_baseILi256ESt5arrayIPcLm2EE23TrivialOffsetCalculatorILi1EjESF_NS8_15LoadWithoutCastENS8_16StoreWithoutCastELi4ELi1EEEEEvT0_T1_@rel32@hi+12
	s_delay_alu instid0(SALU_CYCLE_1)
	s_swappc_b64 s[30:31], s[0:1]
	s_endpgm
	.section	.rodata,"a",@progbits
	.p2align	6, 0x0
	.amdhsa_kernel _ZN2at6native29vectorized_elementwise_kernelILi4EZZZNS0_12_GLOBAL__N_137scaled_modified_bessel_k1_kernel_cudaERNS_18TensorIteratorBaseEENKUlvE_clEvENKUlvE0_clEvEUlfE_St5arrayIPcLm2EEEEviT0_T1_
		.amdhsa_group_segment_fixed_size 0
		.amdhsa_private_segment_fixed_size 0
		.amdhsa_kernarg_size 24
		.amdhsa_user_sgpr_count 15
		.amdhsa_user_sgpr_dispatch_ptr 0
		.amdhsa_user_sgpr_queue_ptr 0
		.amdhsa_user_sgpr_kernarg_segment_ptr 1
		.amdhsa_user_sgpr_dispatch_id 0
		.amdhsa_user_sgpr_private_segment_size 0
		.amdhsa_wavefront_size32 1
		.amdhsa_uses_dynamic_stack 0
		.amdhsa_enable_private_segment 0
		.amdhsa_system_sgpr_workgroup_id_x 1
		.amdhsa_system_sgpr_workgroup_id_y 0
		.amdhsa_system_sgpr_workgroup_id_z 0
		.amdhsa_system_sgpr_workgroup_info 0
		.amdhsa_system_vgpr_workitem_id 0
		.amdhsa_next_free_vgpr 32
		.amdhsa_next_free_sgpr 33
		.amdhsa_reserve_vcc 1
		.amdhsa_float_round_mode_32 0
		.amdhsa_float_round_mode_16_64 0
		.amdhsa_float_denorm_mode_32 3
		.amdhsa_float_denorm_mode_16_64 3
		.amdhsa_dx10_clamp 1
		.amdhsa_ieee_mode 1
		.amdhsa_fp16_overflow 0
		.amdhsa_workgroup_processor_mode 1
		.amdhsa_memory_ordered 1
		.amdhsa_forward_progress 0
		.amdhsa_shared_vgpr_count 0
		.amdhsa_exception_fp_ieee_invalid_op 0
		.amdhsa_exception_fp_denorm_src 0
		.amdhsa_exception_fp_ieee_div_zero 0
		.amdhsa_exception_fp_ieee_overflow 0
		.amdhsa_exception_fp_ieee_underflow 0
		.amdhsa_exception_fp_ieee_inexact 0
		.amdhsa_exception_int_div_zero 0
	.end_amdhsa_kernel
	.section	.text._ZN2at6native29vectorized_elementwise_kernelILi4EZZZNS0_12_GLOBAL__N_137scaled_modified_bessel_k1_kernel_cudaERNS_18TensorIteratorBaseEENKUlvE_clEvENKUlvE0_clEvEUlfE_St5arrayIPcLm2EEEEviT0_T1_,"axG",@progbits,_ZN2at6native29vectorized_elementwise_kernelILi4EZZZNS0_12_GLOBAL__N_137scaled_modified_bessel_k1_kernel_cudaERNS_18TensorIteratorBaseEENKUlvE_clEvENKUlvE0_clEvEUlfE_St5arrayIPcLm2EEEEviT0_T1_,comdat
.Lfunc_end16:
	.size	_ZN2at6native29vectorized_elementwise_kernelILi4EZZZNS0_12_GLOBAL__N_137scaled_modified_bessel_k1_kernel_cudaERNS_18TensorIteratorBaseEENKUlvE_clEvENKUlvE0_clEvEUlfE_St5arrayIPcLm2EEEEviT0_T1_, .Lfunc_end16-_ZN2at6native29vectorized_elementwise_kernelILi4EZZZNS0_12_GLOBAL__N_137scaled_modified_bessel_k1_kernel_cudaERNS_18TensorIteratorBaseEENKUlvE_clEvENKUlvE0_clEvEUlfE_St5arrayIPcLm2EEEEviT0_T1_
                                        ; -- End function
	.section	.AMDGPU.csdata,"",@progbits
; Kernel info:
; codeLenInByte = 168
; NumSgprs: 35
; NumVgprs: 32
; ScratchSize: 0
; MemoryBound: 0
; FloatMode: 240
; IeeeMode: 1
; LDSByteSize: 0 bytes/workgroup (compile time only)
; SGPRBlocks: 4
; VGPRBlocks: 3
; NumSGPRsForWavesPerEU: 35
; NumVGPRsForWavesPerEU: 32
; Occupancy: 16
; WaveLimiterHint : 0
; COMPUTE_PGM_RSRC2:SCRATCH_EN: 0
; COMPUTE_PGM_RSRC2:USER_SGPR: 15
; COMPUTE_PGM_RSRC2:TRAP_HANDLER: 0
; COMPUTE_PGM_RSRC2:TGID_X_EN: 1
; COMPUTE_PGM_RSRC2:TGID_Y_EN: 0
; COMPUTE_PGM_RSRC2:TGID_Z_EN: 0
; COMPUTE_PGM_RSRC2:TIDIG_COMP_CNT: 0
	.section	.text._ZN2at6native29vectorized_elementwise_kernelILi2EZZZNS0_12_GLOBAL__N_137scaled_modified_bessel_k1_kernel_cudaERNS_18TensorIteratorBaseEENKUlvE_clEvENKUlvE0_clEvEUlfE_St5arrayIPcLm2EEEEviT0_T1_,"axG",@progbits,_ZN2at6native29vectorized_elementwise_kernelILi2EZZZNS0_12_GLOBAL__N_137scaled_modified_bessel_k1_kernel_cudaERNS_18TensorIteratorBaseEENKUlvE_clEvENKUlvE0_clEvEUlfE_St5arrayIPcLm2EEEEviT0_T1_,comdat
	.globl	_ZN2at6native29vectorized_elementwise_kernelILi2EZZZNS0_12_GLOBAL__N_137scaled_modified_bessel_k1_kernel_cudaERNS_18TensorIteratorBaseEENKUlvE_clEvENKUlvE0_clEvEUlfE_St5arrayIPcLm2EEEEviT0_T1_ ; -- Begin function _ZN2at6native29vectorized_elementwise_kernelILi2EZZZNS0_12_GLOBAL__N_137scaled_modified_bessel_k1_kernel_cudaERNS_18TensorIteratorBaseEENKUlvE_clEvENKUlvE0_clEvEUlfE_St5arrayIPcLm2EEEEviT0_T1_
	.p2align	8
	.type	_ZN2at6native29vectorized_elementwise_kernelILi2EZZZNS0_12_GLOBAL__N_137scaled_modified_bessel_k1_kernel_cudaERNS_18TensorIteratorBaseEENKUlvE_clEvENKUlvE0_clEvEUlfE_St5arrayIPcLm2EEEEviT0_T1_,@function
_ZN2at6native29vectorized_elementwise_kernelILi2EZZZNS0_12_GLOBAL__N_137scaled_modified_bessel_k1_kernel_cudaERNS_18TensorIteratorBaseEENKUlvE_clEvENKUlvE0_clEvEUlfE_St5arrayIPcLm2EEEEviT0_T1_: ; @_ZN2at6native29vectorized_elementwise_kernelILi2EZZZNS0_12_GLOBAL__N_137scaled_modified_bessel_k1_kernel_cudaERNS_18TensorIteratorBaseEENKUlvE_clEvENKUlvE0_clEvEUlfE_St5arrayIPcLm2EEEEviT0_T1_
; %bb.0:
	s_clause 0x1
	s_load_b32 s2, s[0:1], 0x0
	s_load_b128 s[4:7], s[0:1], 0x8
	s_lshl_b32 s0, s15, 10
	s_mov_b32 s1, -1
	s_mov_b32 s32, 0
	s_waitcnt lgkmcnt(0)
	s_sub_i32 s8, s2, s0
	s_delay_alu instid0(SALU_CYCLE_1)
	s_cmpk_gt_i32 s8, 0x3ff
	s_cbranch_scc1 .LBB17_3
; %bb.1:
	s_and_b32 vcc_lo, exec_lo, s1
	s_cbranch_vccnz .LBB17_52
.LBB17_2:
	s_nop 0
	s_sendmsg sendmsg(MSG_DEALLOC_VGPRS)
	s_endpgm
.LBB17_3:
	s_ashr_i32 s1, s0, 31
	v_dual_mov_b32 v2, 0x7f800000 :: v_dual_lshlrev_b32 v7, 3, v0
	s_lshl_b64 s[2:3], s[0:1], 2
	v_mov_b32_e32 v1, 0x7f800000
	s_add_u32 s0, s6, s2
	s_addc_u32 s1, s7, s3
	s_clause 0x1
	global_load_b64 v[5:6], v7, s[0:1]
	global_load_b64 v[3:4], v7, s[0:1] offset:2048
	s_mov_b32 s9, exec_lo
	s_waitcnt vmcnt(1)
	v_cmpx_neq_f32_e32 0, v5
	s_cbranch_execz .LBB17_15
; %bb.4:
	v_mov_b32_e32 v1, 0x7fc00000
	s_mov_b32 s10, exec_lo
	v_cmpx_ngt_f32_e32 0, v5
	s_cbranch_execz .LBB17_14
; %bb.5:
	s_mov_b32 s0, exec_lo
	v_cmpx_ge_f32_e32 2.0, v5
	s_xor_b32 s11, exec_lo, s0
	s_cbranch_execz .LBB17_11
; %bb.6:
	v_mul_f32_e32 v1, 0.5, v5
	v_mul_f32_e32 v8, 0x3fb8aa3b, v5
	s_mov_b32 s0, exec_lo
                                        ; implicit-def: $vgpr10
                                        ; implicit-def: $vgpr9
	v_cmpx_ge_f32_e32 0x41000000, v5
	s_xor_b32 s0, exec_lo, s0
	s_cbranch_execz .LBB17_8
; %bb.7:
	v_add_f32_e32 v9, -2.0, v1
	s_mov_b32 s1, 0x224cf950
	v_rndne_f32_e32 v12, v8
	v_fma_f32 v13, 0x3fb8aa3b, v5, -v8
	v_cmp_ngt_f32_e32 vcc_lo, 0xc2ce8ed0, v5
	v_fmaak_f32 v10, s1, v9, 0xa3c2be86
	s_delay_alu instid0(VALU_DEP_3) | instskip(NEXT) | instid1(VALU_DEP_1)
	v_dual_sub_f32 v8, v8, v12 :: v_dual_fmamk_f32 v13, v5, 0x32a5705f, v13
	v_dual_fmaak_f32 v11, v9, v10, 0xa24cf950 :: v_dual_add_f32 v8, v8, v13
	s_delay_alu instid0(VALU_DEP_1) | instskip(NEXT) | instid1(VALU_DEP_2)
	v_add_f32_e32 v11, 0x25331f1f, v11
	v_exp_f32_e32 v8, v8
	s_delay_alu instid0(VALU_DEP_1) | instskip(NEXT) | instid1(VALU_DEP_1)
	v_fma_f32 v10, v9, v11, -v10
	v_add_f32_e32 v10, 0xa69f5554, v10
	s_delay_alu instid0(VALU_DEP_1) | instskip(NEXT) | instid1(VALU_DEP_1)
	v_fma_f32 v11, v9, v10, -v11
	v_add_f32_e32 v11, 0x2808ebf8, v11
	;; [unrolled: 3-line block ×25, first 2 shown]
	s_delay_alu instid0(VALU_DEP_1) | instskip(SKIP_1) | instid1(VALU_DEP_2)
	v_fma_f32 v9, v9, v10, -v11
	v_cvt_i32_f32_e32 v10, v12
	v_add_f32_e32 v9, 0x3e81531c, v9
	s_delay_alu instid0(VALU_DEP_2) | instskip(NEXT) | instid1(VALU_DEP_1)
	v_ldexp_f32 v8, v8, v10
	v_dual_sub_f32 v9, v9, v11 :: v_dual_cndmask_b32 v8, 0, v8
	v_cmp_nlt_f32_e32 vcc_lo, 0x42b17218, v5
	s_delay_alu instid0(VALU_DEP_2) | instskip(NEXT) | instid1(VALU_DEP_1)
	v_mul_f32_e32 v9, 0.5, v9
	v_dual_mul_f32 v10, v5, v9 :: v_dual_cndmask_b32 v9, 0x7f800000, v8
                                        ; implicit-def: $vgpr8
	s_delay_alu instid0(VALU_DEP_1)
	v_mul_f32_e32 v10, v9, v10
.LBB17_8:
	s_and_not1_saveexec_b32 s1, s0
	s_cbranch_execz .LBB17_10
; %bb.9:
	v_div_scale_f32 v9, null, v5, v5, 0x42000000
	v_div_scale_f32 v12, vcc_lo, 0x42000000, v5, 0x42000000
	s_mov_b32 s0, 0x230aab6e
	s_delay_alu instid0(VALU_DEP_2) | instskip(SKIP_1) | instid1(VALU_DEP_1)
	v_rcp_f32_e32 v10, v9
	v_fma_f32 v14, 0x3fb8aa3b, v5, -v8
	v_fmamk_f32 v14, v5, 0x32a5705f, v14
	s_waitcnt_depctr 0xfff
	v_fma_f32 v11, -v9, v10, 1.0
	s_delay_alu instid0(VALU_DEP_1) | instskip(NEXT) | instid1(VALU_DEP_1)
	v_fmac_f32_e32 v10, v11, v10
	v_mul_f32_e32 v11, v12, v10
	s_delay_alu instid0(VALU_DEP_1) | instskip(NEXT) | instid1(VALU_DEP_1)
	v_fma_f32 v13, -v9, v11, v12
	v_fmac_f32_e32 v11, v13, v10
	v_rndne_f32_e32 v13, v8
	s_delay_alu instid0(VALU_DEP_2) | instskip(SKIP_1) | instid1(VALU_DEP_3)
	v_fma_f32 v9, -v9, v11, v12
	v_mul_f32_e32 v12, 0x4f800000, v5
	v_sub_f32_e32 v8, v8, v13
	v_cvt_i32_f32_e32 v13, v13
	s_delay_alu instid0(VALU_DEP_4) | instskip(SKIP_1) | instid1(VALU_DEP_4)
	v_div_fmas_f32 v9, v9, v10, v11
	v_cmp_gt_f32_e32 vcc_lo, 0xf800000, v5
	v_add_f32_e32 v8, v8, v14
	s_delay_alu instid0(VALU_DEP_3) | instskip(SKIP_1) | instid1(VALU_DEP_3)
	v_div_fixup_f32 v9, v9, v5, 0x42000000
	v_cndmask_b32_e32 v12, v5, v12, vcc_lo
	v_exp_f32_e32 v8, v8
	s_delay_alu instid0(VALU_DEP_2) | instskip(NEXT) | instid1(VALU_DEP_2)
	v_add_f32_e32 v9, -2.0, v9
	v_sqrt_f32_e32 v15, v12
	s_delay_alu instid0(VALU_DEP_1) | instskip(SKIP_3) | instid1(VALU_DEP_1)
	v_fmaak_f32 v10, s0, v9, 0x22a2dc57
	s_waitcnt_depctr 0xfff
	v_ldexp_f32 v8, v8, v13
	v_dual_fmaak_f32 v11, v9, v10, 0xa30aab6e :: v_dual_add_nc_u32 v16, 1, v15
	v_add_f32_e32 v11, 0xa456751e, v11
	s_delay_alu instid0(VALU_DEP_2) | instskip(NEXT) | instid1(VALU_DEP_2)
	v_fma_f32 v18, -v16, v15, v12
	v_fma_f32 v10, v9, v11, -v10
	s_delay_alu instid0(VALU_DEP_1) | instskip(NEXT) | instid1(VALU_DEP_1)
	v_add_f32_e32 v10, 0xa4140365, v10
	v_fma_f32 v11, v9, v10, -v11
	s_delay_alu instid0(VALU_DEP_1) | instskip(NEXT) | instid1(VALU_DEP_1)
	v_add_f32_e32 v11, 0x25aac8b0, v11
	;; [unrolled: 3-line block ×21, first 2 shown]
	v_fma_f32 v9, v9, v10, -v11
	s_delay_alu instid0(VALU_DEP_1) | instskip(NEXT) | instid1(VALU_DEP_1)
	v_dual_add_f32 v9, 0x3f4750c6, v9 :: v_dual_add_nc_u32 v14, -1, v15
	v_fma_f32 v17, -v14, v15, v12
	s_delay_alu instid0(VALU_DEP_2) | instskip(NEXT) | instid1(VALU_DEP_2)
	v_sub_f32_e32 v11, v9, v11
	v_cmp_ge_f32_e64 s0, 0, v17
	s_delay_alu instid0(VALU_DEP_1) | instskip(SKIP_1) | instid1(VALU_DEP_1)
	v_cndmask_b32_e64 v14, v15, v14, s0
	v_cmp_lt_f32_e64 s0, 0, v18
	v_cndmask_b32_e64 v10, v14, v16, s0
	v_cmp_ngt_f32_e64 s0, 0xc2ce8ed0, v5
	s_delay_alu instid0(VALU_DEP_2) | instskip(NEXT) | instid1(VALU_DEP_2)
	v_mul_f32_e32 v13, 0x37800000, v10
	v_cndmask_b32_e64 v8, 0, v8, s0
	v_cmp_nlt_f32_e64 s0, 0x42b17218, v5
	s_delay_alu instid0(VALU_DEP_1) | instskip(NEXT) | instid1(VALU_DEP_4)
	v_cndmask_b32_e64 v9, 0x7f800000, v8, s0
	v_cndmask_b32_e32 v8, v10, v13, vcc_lo
	v_mul_f32_e32 v10, 0.5, v11
	v_cmp_class_f32_e64 vcc_lo, v12, 0x260
	s_delay_alu instid0(VALU_DEP_2) | instskip(NEXT) | instid1(VALU_DEP_4)
	v_mul_f32_e32 v10, v9, v10
	v_cndmask_b32_e32 v8, v8, v12, vcc_lo
	s_delay_alu instid0(VALU_DEP_1) | instskip(NEXT) | instid1(VALU_DEP_1)
	v_div_scale_f32 v11, null, v8, v8, v10
	v_rcp_f32_e32 v12, v11
	s_waitcnt_depctr 0xfff
	v_fma_f32 v13, -v11, v12, 1.0
	s_delay_alu instid0(VALU_DEP_1) | instskip(SKIP_1) | instid1(VALU_DEP_1)
	v_fmac_f32_e32 v12, v13, v12
	v_div_scale_f32 v13, vcc_lo, v10, v8, v10
	v_mul_f32_e32 v14, v13, v12
	s_delay_alu instid0(VALU_DEP_1) | instskip(NEXT) | instid1(VALU_DEP_1)
	v_fma_f32 v15, -v11, v14, v13
	v_fmac_f32_e32 v14, v15, v12
	s_delay_alu instid0(VALU_DEP_1) | instskip(NEXT) | instid1(VALU_DEP_1)
	v_fma_f32 v11, -v11, v14, v13
	v_div_fmas_f32 v11, v11, v12, v14
	s_delay_alu instid0(VALU_DEP_1)
	v_div_fixup_f32 v10, v11, v8, v10
.LBB17_10:
	s_or_b32 exec_lo, exec_lo, s1
	v_fma_f32 v8, v5, v5, -2.0
	s_mov_b32 s0, 0xa3019142
	v_cmp_gt_f32_e32 vcc_lo, 0x800000, v1
	s_delay_alu instid0(VALU_DEP_2) | instskip(NEXT) | instid1(VALU_DEP_1)
	v_fmaak_f32 v11, s0, v8, 0xa72eea8c
	v_fmaak_f32 v12, v8, v11, 0x23019142
	s_delay_alu instid0(VALU_DEP_1) | instskip(NEXT) | instid1(VALU_DEP_1)
	v_add_f32_e32 v12, 0xab3ba817, v12
	v_fma_f32 v11, v8, v12, -v11
	s_delay_alu instid0(VALU_DEP_1) | instskip(NEXT) | instid1(VALU_DEP_1)
	v_add_f32_e32 v11, 0xaf1b31de, v11
	v_fma_f32 v12, v8, v11, -v12
	;; [unrolled: 3-line block ×8, first 2 shown]
	s_delay_alu instid0(VALU_DEP_1) | instskip(NEXT) | instid1(VALU_DEP_1)
	v_add_f32_e32 v8, 0x3fc33d0a, v8
	v_sub_f32_e32 v8, v8, v12
	v_cndmask_b32_e64 v12, 1.0, 0x4f800000, vcc_lo
	s_delay_alu instid0(VALU_DEP_2) | instskip(NEXT) | instid1(VALU_DEP_2)
	v_mul_f32_e32 v8, 0.5, v8
	v_mul_f32_e32 v1, v1, v12
	s_delay_alu instid0(VALU_DEP_2) | instskip(NEXT) | instid1(VALU_DEP_2)
	v_div_scale_f32 v11, null, v5, v5, v8
	v_log_f32_e32 v1, v1
	v_div_scale_f32 v14, s0, v8, v5, v8
	s_delay_alu instid0(VALU_DEP_2) | instskip(SKIP_3) | instid1(VALU_DEP_1)
	v_rcp_f32_e32 v13, v11
	s_waitcnt_depctr 0xfff
	v_cmp_gt_f32_e64 s1, 0x7f800000, |v1|
	v_fma_f32 v12, -v11, v13, 1.0
	v_fmac_f32_e32 v13, v12, v13
	v_mul_f32_e32 v12, 0x3f317217, v1
	s_delay_alu instid0(VALU_DEP_2) | instskip(NEXT) | instid1(VALU_DEP_2)
	v_mul_f32_e32 v15, v14, v13
	v_fma_f32 v16, 0x3f317217, v1, -v12
	s_delay_alu instid0(VALU_DEP_2) | instskip(NEXT) | instid1(VALU_DEP_2)
	v_fma_f32 v17, -v11, v15, v14
	v_fmamk_f32 v16, v1, 0x3377d1cf, v16
	s_delay_alu instid0(VALU_DEP_1) | instskip(NEXT) | instid1(VALU_DEP_1)
	v_dual_fmac_f32 v15, v17, v13 :: v_dual_add_f32 v12, v12, v16
	v_fma_f32 v11, -v11, v15, v14
	s_delay_alu instid0(VALU_DEP_2) | instskip(SKIP_2) | instid1(VALU_DEP_3)
	v_cndmask_b32_e64 v1, v1, v12, s1
	v_cndmask_b32_e64 v12, 0, 0x41b17218, vcc_lo
	s_mov_b32 vcc_lo, s0
	v_div_fmas_f32 v11, v11, v13, v15
	s_delay_alu instid0(VALU_DEP_2) | instskip(NEXT) | instid1(VALU_DEP_2)
	v_sub_f32_e32 v1, v1, v12
	v_div_fixup_f32 v8, v11, v5, v8
	s_delay_alu instid0(VALU_DEP_1) | instskip(NEXT) | instid1(VALU_DEP_1)
	v_fmac_f32_e32 v8, v1, v10
	v_mul_f32_e32 v1, v9, v8
.LBB17_11:
	s_and_not1_saveexec_b32 s1, s11
	s_cbranch_execz .LBB17_13
; %bb.12:
	v_div_scale_f32 v1, null, v5, v5, 0x41000000
	v_div_scale_f32 v10, vcc_lo, 0x41000000, v5, 0x41000000
	s_mov_b32 s0, 0xa2d462ea
	s_delay_alu instid0(VALU_DEP_2) | instskip(SKIP_2) | instid1(VALU_DEP_1)
	v_rcp_f32_e32 v8, v1
	s_waitcnt_depctr 0xfff
	v_fma_f32 v9, -v1, v8, 1.0
	v_fmac_f32_e32 v8, v9, v8
	s_delay_alu instid0(VALU_DEP_1) | instskip(NEXT) | instid1(VALU_DEP_1)
	v_mul_f32_e32 v9, v10, v8
	v_fma_f32 v11, -v1, v9, v10
	s_delay_alu instid0(VALU_DEP_1) | instskip(NEXT) | instid1(VALU_DEP_1)
	v_fmac_f32_e32 v9, v11, v8
	v_fma_f32 v1, -v1, v9, v10
	v_mul_f32_e32 v10, 0x4f800000, v5
	s_delay_alu instid0(VALU_DEP_2) | instskip(SKIP_1) | instid1(VALU_DEP_2)
	v_div_fmas_f32 v1, v1, v8, v9
	v_cmp_gt_f32_e32 vcc_lo, 0xf800000, v5
	v_div_fixup_f32 v1, v1, v5, 0x41000000
	s_delay_alu instid0(VALU_DEP_4) | instskip(NEXT) | instid1(VALU_DEP_2)
	v_cndmask_b32_e32 v5, v5, v10, vcc_lo
	v_add_f32_e32 v1, -2.0, v1
	s_delay_alu instid0(VALU_DEP_2) | instskip(NEXT) | instid1(VALU_DEP_1)
	v_sqrt_f32_e32 v10, v5
	v_fmaak_f32 v8, s0, v1, 0x23a578d4
	s_waitcnt_depctr 0xfff
	v_dual_fmaak_f32 v9, v1, v8, 0x22d462ea :: v_dual_add_nc_u32 v12, 1, v10
	v_add_nc_u32_e32 v11, -1, v10
	s_delay_alu instid0(VALU_DEP_2) | instskip(NEXT) | instid1(VALU_DEP_2)
	v_fma_f32 v14, -v12, v10, v5
	v_fma_f32 v13, -v11, v10, v5
	s_delay_alu instid0(VALU_DEP_1) | instskip(NEXT) | instid1(VALU_DEP_1)
	v_cmp_ge_f32_e64 s0, 0, v13
	v_cndmask_b32_e64 v10, v10, v11, s0
	s_delay_alu instid0(VALU_DEP_4) | instskip(NEXT) | instid1(VALU_DEP_1)
	v_cmp_lt_f32_e64 s0, 0, v14
	v_cndmask_b32_e64 v10, v10, v12, s0
	v_add_f32_e32 v9, 0xa48330a9, v9
	s_delay_alu instid0(VALU_DEP_1) | instskip(NEXT) | instid1(VALU_DEP_1)
	v_fma_f32 v8, v1, v9, -v8
	v_add_f32_e32 v8, 0x2553eaf2, v8
	s_delay_alu instid0(VALU_DEP_1) | instskip(NEXT) | instid1(VALU_DEP_1)
	v_fma_f32 v9, v1, v8, -v9
	;; [unrolled: 3-line block ×21, first 2 shown]
	v_add_f32_e32 v8, 0x3dd4d5f8, v8
	s_delay_alu instid0(VALU_DEP_1) | instskip(SKIP_1) | instid1(VALU_DEP_1)
	v_fma_f32 v1, v1, v8, -v9
	v_mul_f32_e32 v8, 0x37800000, v10
	v_dual_add_f32 v1, 0x402e1ebd, v1 :: v_dual_cndmask_b32 v8, v10, v8
	v_cmp_class_f32_e64 vcc_lo, v5, 0x260
	s_delay_alu instid0(VALU_DEP_2) | instskip(NEXT) | instid1(VALU_DEP_3)
	v_sub_f32_e32 v1, v1, v9
	v_cndmask_b32_e32 v5, v8, v5, vcc_lo
	s_delay_alu instid0(VALU_DEP_2) | instskip(NEXT) | instid1(VALU_DEP_1)
	v_mul_f32_e32 v1, 0.5, v1
	v_div_scale_f32 v8, null, v5, v5, v1
	s_delay_alu instid0(VALU_DEP_1) | instskip(SKIP_2) | instid1(VALU_DEP_1)
	v_rcp_f32_e32 v9, v8
	s_waitcnt_depctr 0xfff
	v_fma_f32 v10, -v8, v9, 1.0
	v_fmac_f32_e32 v9, v10, v9
	v_div_scale_f32 v10, vcc_lo, v1, v5, v1
	s_delay_alu instid0(VALU_DEP_1) | instskip(NEXT) | instid1(VALU_DEP_1)
	v_mul_f32_e32 v11, v10, v9
	v_fma_f32 v12, -v8, v11, v10
	s_delay_alu instid0(VALU_DEP_1) | instskip(NEXT) | instid1(VALU_DEP_1)
	v_fmac_f32_e32 v11, v12, v9
	v_fma_f32 v8, -v8, v11, v10
	s_delay_alu instid0(VALU_DEP_1) | instskip(NEXT) | instid1(VALU_DEP_1)
	v_div_fmas_f32 v8, v8, v9, v11
	v_div_fixup_f32 v1, v8, v5, v1
.LBB17_13:
	s_or_b32 exec_lo, exec_lo, s1
.LBB17_14:
	s_delay_alu instid0(SALU_CYCLE_1)
	s_or_b32 exec_lo, exec_lo, s10
.LBB17_15:
	s_delay_alu instid0(SALU_CYCLE_1) | instskip(NEXT) | instid1(SALU_CYCLE_1)
	s_or_b32 exec_lo, exec_lo, s9
	s_mov_b32 s9, exec_lo
	v_cmpx_neq_f32_e32 0, v6
	s_cbranch_execz .LBB17_27
; %bb.16:
	v_mov_b32_e32 v2, 0x7fc00000
	s_mov_b32 s10, exec_lo
	v_cmpx_ngt_f32_e32 0, v6
	s_cbranch_execz .LBB17_26
; %bb.17:
	s_mov_b32 s0, exec_lo
	v_cmpx_ge_f32_e32 2.0, v6
	s_xor_b32 s11, exec_lo, s0
	s_cbranch_execz .LBB17_23
; %bb.18:
	v_mul_f32_e32 v2, 0.5, v6
	v_mul_f32_e32 v5, 0x3fb8aa3b, v6
	s_mov_b32 s0, exec_lo
                                        ; implicit-def: $vgpr9
                                        ; implicit-def: $vgpr8
	v_cmpx_ge_f32_e32 0x41000000, v6
	s_xor_b32 s0, exec_lo, s0
	s_cbranch_execz .LBB17_20
; %bb.19:
	v_add_f32_e32 v8, -2.0, v2
	s_mov_b32 s1, 0x224cf950
	v_rndne_f32_e32 v11, v5
	v_fma_f32 v12, 0x3fb8aa3b, v6, -v5
	v_cmp_ngt_f32_e32 vcc_lo, 0xc2ce8ed0, v6
	v_fmaak_f32 v9, s1, v8, 0xa3c2be86
	s_delay_alu instid0(VALU_DEP_3) | instskip(NEXT) | instid1(VALU_DEP_1)
	v_dual_sub_f32 v5, v5, v11 :: v_dual_fmamk_f32 v12, v6, 0x32a5705f, v12
	v_dual_fmaak_f32 v10, v8, v9, 0xa24cf950 :: v_dual_add_f32 v5, v5, v12
	s_delay_alu instid0(VALU_DEP_1) | instskip(NEXT) | instid1(VALU_DEP_2)
	v_add_f32_e32 v10, 0x25331f1f, v10
	v_exp_f32_e32 v5, v5
	s_delay_alu instid0(VALU_DEP_1) | instskip(NEXT) | instid1(VALU_DEP_1)
	v_fma_f32 v9, v8, v10, -v9
	v_add_f32_e32 v9, 0xa69f5554, v9
	s_delay_alu instid0(VALU_DEP_1) | instskip(NEXT) | instid1(VALU_DEP_1)
	v_fma_f32 v10, v8, v9, -v10
	v_add_f32_e32 v10, 0x2808ebf8, v10
	s_delay_alu instid0(VALU_DEP_1) | instskip(NEXT) | instid1(VALU_DEP_1)
	v_fma_f32 v9, v8, v10, -v9
	v_add_f32_e32 v9, 0xa9631471, v9
	s_delay_alu instid0(VALU_DEP_1) | instskip(NEXT) | instid1(VALU_DEP_1)
	v_fma_f32 v10, v8, v9, -v10
	v_add_f32_e32 v10, 0x2ab57bc2, v10
	s_delay_alu instid0(VALU_DEP_1) | instskip(NEXT) | instid1(VALU_DEP_1)
	v_fma_f32 v9, v8, v10, -v9
	v_add_f32_e32 v9, 0xac0b9c1b, v9
	s_delay_alu instid0(VALU_DEP_1) | instskip(NEXT) | instid1(VALU_DEP_1)
	v_fma_f32 v10, v8, v9, -v10
	v_add_f32_e32 v10, 0x2d4e7716, v10
	s_delay_alu instid0(VALU_DEP_1) | instskip(NEXT) | instid1(VALU_DEP_1)
	v_fma_f32 v9, v8, v10, -v9
	v_add_f32_e32 v9, 0xae92881d, v9
	s_delay_alu instid0(VALU_DEP_1) | instskip(NEXT) | instid1(VALU_DEP_1)
	v_fma_f32 v10, v8, v9, -v10
	v_add_f32_e32 v10, 0x2fc751a6, v10
	s_delay_alu instid0(VALU_DEP_1) | instskip(NEXT) | instid1(VALU_DEP_1)
	v_fma_f32 v9, v8, v10, -v9
	v_add_f32_e32 v9, 0xb101b0d9, v9
	s_delay_alu instid0(VALU_DEP_1) | instskip(NEXT) | instid1(VALU_DEP_1)
	v_fma_f32 v10, v8, v9, -v10
	v_add_f32_e32 v10, 0x32212c70, v10
	s_delay_alu instid0(VALU_DEP_1) | instskip(NEXT) | instid1(VALU_DEP_1)
	v_fma_f32 v9, v8, v10, -v9
	v_add_f32_e32 v9, 0xb33ee9f1, v9
	s_delay_alu instid0(VALU_DEP_1) | instskip(NEXT) | instid1(VALU_DEP_1)
	v_fma_f32 v10, v8, v9, -v10
	v_add_f32_e32 v10, 0x34571a26, v10
	s_delay_alu instid0(VALU_DEP_1) | instskip(NEXT) | instid1(VALU_DEP_1)
	v_fma_f32 v9, v8, v10, -v9
	v_add_f32_e32 v9, 0xb56603cc, v9
	s_delay_alu instid0(VALU_DEP_1) | instskip(NEXT) | instid1(VALU_DEP_1)
	v_fma_f32 v10, v8, v9, -v10
	v_add_f32_e32 v10, 0x3668e277, v10
	s_delay_alu instid0(VALU_DEP_1) | instskip(NEXT) | instid1(VALU_DEP_1)
	v_fma_f32 v9, v8, v10, -v9
	v_add_f32_e32 v9, 0xb75eafce, v9
	s_delay_alu instid0(VALU_DEP_1) | instskip(NEXT) | instid1(VALU_DEP_1)
	v_fma_f32 v10, v8, v9, -v10
	v_add_f32_e32 v10, 0x38488daa, v10
	s_delay_alu instid0(VALU_DEP_1) | instskip(NEXT) | instid1(VALU_DEP_1)
	v_fma_f32 v9, v8, v10, -v9
	v_add_f32_e32 v9, 0xb9299e57, v9
	s_delay_alu instid0(VALU_DEP_1) | instskip(NEXT) | instid1(VALU_DEP_1)
	v_fma_f32 v10, v8, v9, -v10
	v_add_f32_e32 v10, 0x3a064aee, v10
	s_delay_alu instid0(VALU_DEP_1) | instskip(NEXT) | instid1(VALU_DEP_1)
	v_fma_f32 v9, v8, v10, -v9
	v_add_f32_e32 v9, 0xbac66310, v9
	s_delay_alu instid0(VALU_DEP_1) | instskip(NEXT) | instid1(VALU_DEP_1)
	v_fma_f32 v10, v8, v9, -v10
	v_add_f32_e32 v10, 0x3b88329a, v10
	s_delay_alu instid0(VALU_DEP_1) | instskip(NEXT) | instid1(VALU_DEP_1)
	v_fma_f32 v9, v8, v10, -v9
	v_add_f32_e32 v9, 0xbc2d14fc, v9
	s_delay_alu instid0(VALU_DEP_1) | instskip(NEXT) | instid1(VALU_DEP_1)
	v_fma_f32 v10, v8, v9, -v10
	v_add_f32_e32 v10, 0x3cca8f1f, v10
	s_delay_alu instid0(VALU_DEP_1) | instskip(NEXT) | instid1(VALU_DEP_1)
	v_fma_f32 v9, v8, v10, -v9
	v_add_f32_e32 v9, 0xbd58dde3, v9
	s_delay_alu instid0(VALU_DEP_1) | instskip(NEXT) | instid1(VALU_DEP_1)
	v_fma_f32 v10, v8, v9, -v10
	v_add_f32_e32 v10, 0x3dd236d7, v10
	s_delay_alu instid0(VALU_DEP_1) | instskip(NEXT) | instid1(VALU_DEP_1)
	v_fma_f32 v9, v8, v10, -v9
	v_add_f32_e32 v9, 0xbe34a688, v9
	s_delay_alu instid0(VALU_DEP_1) | instskip(SKIP_1) | instid1(VALU_DEP_2)
	v_fma_f32 v8, v8, v9, -v10
	v_cvt_i32_f32_e32 v9, v11
	v_add_f32_e32 v8, 0x3e81531c, v8
	s_delay_alu instid0(VALU_DEP_2) | instskip(NEXT) | instid1(VALU_DEP_1)
	v_ldexp_f32 v5, v5, v9
	v_dual_sub_f32 v8, v8, v10 :: v_dual_cndmask_b32 v5, 0, v5
	v_cmp_nlt_f32_e32 vcc_lo, 0x42b17218, v6
	s_delay_alu instid0(VALU_DEP_2) | instskip(NEXT) | instid1(VALU_DEP_1)
	v_mul_f32_e32 v8, 0.5, v8
	v_dual_mul_f32 v9, v6, v8 :: v_dual_cndmask_b32 v8, 0x7f800000, v5
                                        ; implicit-def: $vgpr5
	s_delay_alu instid0(VALU_DEP_1)
	v_mul_f32_e32 v9, v8, v9
.LBB17_20:
	s_and_not1_saveexec_b32 s1, s0
	s_cbranch_execz .LBB17_22
; %bb.21:
	v_div_scale_f32 v8, null, v6, v6, 0x42000000
	v_div_scale_f32 v11, vcc_lo, 0x42000000, v6, 0x42000000
	s_mov_b32 s0, 0x230aab6e
	s_delay_alu instid0(VALU_DEP_2) | instskip(SKIP_1) | instid1(VALU_DEP_1)
	v_rcp_f32_e32 v9, v8
	v_fma_f32 v13, 0x3fb8aa3b, v6, -v5
	v_fmamk_f32 v13, v6, 0x32a5705f, v13
	s_waitcnt_depctr 0xfff
	v_fma_f32 v10, -v8, v9, 1.0
	s_delay_alu instid0(VALU_DEP_1) | instskip(NEXT) | instid1(VALU_DEP_1)
	v_fmac_f32_e32 v9, v10, v9
	v_mul_f32_e32 v10, v11, v9
	s_delay_alu instid0(VALU_DEP_1) | instskip(NEXT) | instid1(VALU_DEP_1)
	v_fma_f32 v12, -v8, v10, v11
	v_fmac_f32_e32 v10, v12, v9
	v_rndne_f32_e32 v12, v5
	s_delay_alu instid0(VALU_DEP_2) | instskip(SKIP_1) | instid1(VALU_DEP_3)
	v_fma_f32 v8, -v8, v10, v11
	v_mul_f32_e32 v11, 0x4f800000, v6
	v_sub_f32_e32 v5, v5, v12
	v_cvt_i32_f32_e32 v12, v12
	s_delay_alu instid0(VALU_DEP_4) | instskip(SKIP_1) | instid1(VALU_DEP_4)
	v_div_fmas_f32 v8, v8, v9, v10
	v_cmp_gt_f32_e32 vcc_lo, 0xf800000, v6
	v_add_f32_e32 v5, v5, v13
	s_delay_alu instid0(VALU_DEP_3) | instskip(SKIP_1) | instid1(VALU_DEP_3)
	v_div_fixup_f32 v8, v8, v6, 0x42000000
	v_cndmask_b32_e32 v11, v6, v11, vcc_lo
	v_exp_f32_e32 v5, v5
	s_delay_alu instid0(VALU_DEP_2) | instskip(NEXT) | instid1(VALU_DEP_2)
	v_add_f32_e32 v8, -2.0, v8
	v_sqrt_f32_e32 v14, v11
	s_delay_alu instid0(VALU_DEP_1) | instskip(SKIP_3) | instid1(VALU_DEP_1)
	v_fmaak_f32 v9, s0, v8, 0x22a2dc57
	s_waitcnt_depctr 0xfff
	v_ldexp_f32 v5, v5, v12
	v_dual_fmaak_f32 v10, v8, v9, 0xa30aab6e :: v_dual_add_nc_u32 v15, 1, v14
	v_add_f32_e32 v10, 0xa456751e, v10
	s_delay_alu instid0(VALU_DEP_2) | instskip(NEXT) | instid1(VALU_DEP_2)
	v_fma_f32 v17, -v15, v14, v11
	v_fma_f32 v9, v8, v10, -v9
	s_delay_alu instid0(VALU_DEP_1) | instskip(NEXT) | instid1(VALU_DEP_1)
	v_add_f32_e32 v9, 0xa4140365, v9
	v_fma_f32 v10, v8, v9, -v10
	s_delay_alu instid0(VALU_DEP_1) | instskip(NEXT) | instid1(VALU_DEP_1)
	v_add_f32_e32 v10, 0x25aac8b0, v10
	;; [unrolled: 3-line block ×21, first 2 shown]
	v_fma_f32 v8, v8, v9, -v10
	s_delay_alu instid0(VALU_DEP_1) | instskip(NEXT) | instid1(VALU_DEP_1)
	v_dual_add_f32 v8, 0x3f4750c6, v8 :: v_dual_add_nc_u32 v13, -1, v14
	v_fma_f32 v16, -v13, v14, v11
	s_delay_alu instid0(VALU_DEP_2) | instskip(NEXT) | instid1(VALU_DEP_2)
	v_sub_f32_e32 v10, v8, v10
	v_cmp_ge_f32_e64 s0, 0, v16
	s_delay_alu instid0(VALU_DEP_1) | instskip(SKIP_1) | instid1(VALU_DEP_1)
	v_cndmask_b32_e64 v13, v14, v13, s0
	v_cmp_lt_f32_e64 s0, 0, v17
	v_cndmask_b32_e64 v9, v13, v15, s0
	v_cmp_ngt_f32_e64 s0, 0xc2ce8ed0, v6
	s_delay_alu instid0(VALU_DEP_2) | instskip(NEXT) | instid1(VALU_DEP_2)
	v_mul_f32_e32 v12, 0x37800000, v9
	v_cndmask_b32_e64 v5, 0, v5, s0
	v_cmp_nlt_f32_e64 s0, 0x42b17218, v6
	s_delay_alu instid0(VALU_DEP_1) | instskip(NEXT) | instid1(VALU_DEP_4)
	v_cndmask_b32_e64 v8, 0x7f800000, v5, s0
	v_cndmask_b32_e32 v5, v9, v12, vcc_lo
	v_mul_f32_e32 v9, 0.5, v10
	v_cmp_class_f32_e64 vcc_lo, v11, 0x260
	s_delay_alu instid0(VALU_DEP_2) | instskip(NEXT) | instid1(VALU_DEP_4)
	v_mul_f32_e32 v9, v8, v9
	v_cndmask_b32_e32 v5, v5, v11, vcc_lo
	s_delay_alu instid0(VALU_DEP_1) | instskip(NEXT) | instid1(VALU_DEP_1)
	v_div_scale_f32 v10, null, v5, v5, v9
	v_rcp_f32_e32 v11, v10
	s_waitcnt_depctr 0xfff
	v_fma_f32 v12, -v10, v11, 1.0
	s_delay_alu instid0(VALU_DEP_1) | instskip(SKIP_1) | instid1(VALU_DEP_1)
	v_fmac_f32_e32 v11, v12, v11
	v_div_scale_f32 v12, vcc_lo, v9, v5, v9
	v_mul_f32_e32 v13, v12, v11
	s_delay_alu instid0(VALU_DEP_1) | instskip(NEXT) | instid1(VALU_DEP_1)
	v_fma_f32 v14, -v10, v13, v12
	v_fmac_f32_e32 v13, v14, v11
	s_delay_alu instid0(VALU_DEP_1) | instskip(NEXT) | instid1(VALU_DEP_1)
	v_fma_f32 v10, -v10, v13, v12
	v_div_fmas_f32 v10, v10, v11, v13
	s_delay_alu instid0(VALU_DEP_1)
	v_div_fixup_f32 v9, v10, v5, v9
.LBB17_22:
	s_or_b32 exec_lo, exec_lo, s1
	v_fma_f32 v5, v6, v6, -2.0
	s_mov_b32 s0, 0xa3019142
	v_cmp_gt_f32_e32 vcc_lo, 0x800000, v2
	s_delay_alu instid0(VALU_DEP_2) | instskip(NEXT) | instid1(VALU_DEP_1)
	v_fmaak_f32 v10, s0, v5, 0xa72eea8c
	v_fmaak_f32 v11, v5, v10, 0x23019142
	s_delay_alu instid0(VALU_DEP_1) | instskip(NEXT) | instid1(VALU_DEP_1)
	v_add_f32_e32 v11, 0xab3ba817, v11
	v_fma_f32 v10, v5, v11, -v10
	s_delay_alu instid0(VALU_DEP_1) | instskip(NEXT) | instid1(VALU_DEP_1)
	v_add_f32_e32 v10, 0xaf1b31de, v10
	v_fma_f32 v11, v5, v10, -v11
	s_delay_alu instid0(VALU_DEP_1) | instskip(NEXT) | instid1(VALU_DEP_1)
	v_add_f32_e32 v11, 0xb2be20e9, v11
	v_fma_f32 v10, v5, v11, -v10
	s_delay_alu instid0(VALU_DEP_1) | instskip(NEXT) | instid1(VALU_DEP_1)
	v_add_f32_e32 v10, 0xb6234d99, v10
	v_fma_f32 v11, v5, v10, -v11
	s_delay_alu instid0(VALU_DEP_1) | instskip(NEXT) | instid1(VALU_DEP_1)
	v_add_f32_e32 v11, 0xb9356f17, v11
	v_fma_f32 v10, v5, v11, -v10
	s_delay_alu instid0(VALU_DEP_1) | instskip(NEXT) | instid1(VALU_DEP_1)
	v_add_f32_e32 v10, 0xbbe4949d, v10
	v_fma_f32 v11, v5, v10, -v11
	s_delay_alu instid0(VALU_DEP_1) | instskip(NEXT) | instid1(VALU_DEP_1)
	v_add_f32_e32 v11, 0xbdfb1b92, v11
	v_fma_f32 v10, v5, v11, -v10
	s_delay_alu instid0(VALU_DEP_1) | instskip(NEXT) | instid1(VALU_DEP_1)
	v_add_f32_e32 v10, 0xbeb4d0dc, v10
	v_fma_f32 v5, v5, v10, -v11
	s_delay_alu instid0(VALU_DEP_1) | instskip(NEXT) | instid1(VALU_DEP_1)
	v_add_f32_e32 v5, 0x3fc33d0a, v5
	v_sub_f32_e32 v5, v5, v11
	v_cndmask_b32_e64 v11, 1.0, 0x4f800000, vcc_lo
	s_delay_alu instid0(VALU_DEP_1) | instskip(NEXT) | instid1(VALU_DEP_1)
	v_dual_mul_f32 v5, 0.5, v5 :: v_dual_mul_f32 v2, v2, v11
	v_div_scale_f32 v10, null, v6, v6, v5
	s_delay_alu instid0(VALU_DEP_2) | instskip(SKIP_1) | instid1(VALU_DEP_2)
	v_log_f32_e32 v2, v2
	v_div_scale_f32 v13, s0, v5, v6, v5
	v_rcp_f32_e32 v12, v10
	s_waitcnt_depctr 0xfff
	v_cmp_gt_f32_e64 s1, 0x7f800000, |v2|
	v_fma_f32 v11, -v10, v12, 1.0
	s_delay_alu instid0(VALU_DEP_1) | instskip(NEXT) | instid1(VALU_DEP_1)
	v_dual_fmac_f32 v12, v11, v12 :: v_dual_mul_f32 v11, 0x3f317217, v2
	v_mul_f32_e32 v14, v13, v12
	s_delay_alu instid0(VALU_DEP_2) | instskip(NEXT) | instid1(VALU_DEP_2)
	v_fma_f32 v15, 0x3f317217, v2, -v11
	v_fma_f32 v16, -v10, v14, v13
	s_delay_alu instid0(VALU_DEP_1) | instskip(NEXT) | instid1(VALU_DEP_1)
	v_dual_fmamk_f32 v15, v2, 0x3377d1cf, v15 :: v_dual_fmac_f32 v14, v16, v12
	v_add_f32_e32 v11, v11, v15
	s_delay_alu instid0(VALU_DEP_2) | instskip(NEXT) | instid1(VALU_DEP_2)
	v_fma_f32 v10, -v10, v14, v13
	v_cndmask_b32_e64 v2, v2, v11, s1
	v_cndmask_b32_e64 v11, 0, 0x41b17218, vcc_lo
	s_mov_b32 vcc_lo, s0
	s_delay_alu instid0(VALU_DEP_3) | instskip(NEXT) | instid1(VALU_DEP_2)
	v_div_fmas_f32 v10, v10, v12, v14
	v_sub_f32_e32 v2, v2, v11
	s_delay_alu instid0(VALU_DEP_2) | instskip(NEXT) | instid1(VALU_DEP_1)
	v_div_fixup_f32 v5, v10, v6, v5
	v_fmac_f32_e32 v5, v2, v9
	s_delay_alu instid0(VALU_DEP_1)
	v_mul_f32_e32 v2, v8, v5
                                        ; implicit-def: $vgpr5_vgpr6
.LBB17_23:
	s_and_not1_saveexec_b32 s1, s11
	s_cbranch_execz .LBB17_25
; %bb.24:
	v_div_scale_f32 v2, null, v6, v6, 0x41000000
	v_div_scale_f32 v9, vcc_lo, 0x41000000, v6, 0x41000000
	s_mov_b32 s0, 0xa2d462ea
	s_delay_alu instid0(VALU_DEP_2) | instskip(SKIP_2) | instid1(VALU_DEP_1)
	v_rcp_f32_e32 v5, v2
	s_waitcnt_depctr 0xfff
	v_fma_f32 v8, -v2, v5, 1.0
	v_fmac_f32_e32 v5, v8, v5
	s_delay_alu instid0(VALU_DEP_1) | instskip(NEXT) | instid1(VALU_DEP_1)
	v_mul_f32_e32 v8, v9, v5
	v_fma_f32 v10, -v2, v8, v9
	s_delay_alu instid0(VALU_DEP_1) | instskip(NEXT) | instid1(VALU_DEP_1)
	v_fmac_f32_e32 v8, v10, v5
	v_fma_f32 v2, -v2, v8, v9
	v_mul_f32_e32 v9, 0x4f800000, v6
	s_delay_alu instid0(VALU_DEP_2) | instskip(SKIP_1) | instid1(VALU_DEP_2)
	v_div_fmas_f32 v2, v2, v5, v8
	v_cmp_gt_f32_e32 vcc_lo, 0xf800000, v6
	v_div_fixup_f32 v2, v2, v6, 0x41000000
	s_delay_alu instid0(VALU_DEP_4) | instskip(NEXT) | instid1(VALU_DEP_2)
	v_cndmask_b32_e32 v6, v6, v9, vcc_lo
	v_add_f32_e32 v2, -2.0, v2
	s_delay_alu instid0(VALU_DEP_2) | instskip(NEXT) | instid1(VALU_DEP_1)
	v_sqrt_f32_e32 v9, v6
	v_fmaak_f32 v5, s0, v2, 0x23a578d4
	s_delay_alu instid0(VALU_DEP_1) | instskip(SKIP_3) | instid1(VALU_DEP_2)
	v_fmaak_f32 v8, v2, v5, 0x22d462ea
	s_waitcnt_depctr 0xfff
	v_add_nc_u32_e32 v10, -1, v9
	v_dual_add_f32 v8, 0xa48330a9, v8 :: v_dual_add_nc_u32 v11, 1, v9
	v_fma_f32 v12, -v10, v9, v6
	s_delay_alu instid0(VALU_DEP_2) | instskip(NEXT) | instid1(VALU_DEP_3)
	v_fma_f32 v13, -v11, v9, v6
	v_fma_f32 v5, v2, v8, -v5
	s_delay_alu instid0(VALU_DEP_3) | instskip(NEXT) | instid1(VALU_DEP_2)
	v_cmp_ge_f32_e64 s0, 0, v12
	v_add_f32_e32 v5, 0x2553eaf2, v5
	s_delay_alu instid0(VALU_DEP_2) | instskip(SKIP_1) | instid1(VALU_DEP_3)
	v_cndmask_b32_e64 v9, v9, v10, s0
	v_cmp_lt_f32_e64 s0, 0, v13
	v_fma_f32 v8, v2, v5, -v8
	s_delay_alu instid0(VALU_DEP_2) | instskip(NEXT) | instid1(VALU_DEP_2)
	v_cndmask_b32_e64 v9, v9, v11, s0
	v_add_f32_e32 v8, 0xa62e951f, v8
	s_delay_alu instid0(VALU_DEP_1) | instskip(NEXT) | instid1(VALU_DEP_1)
	v_fma_f32 v5, v2, v8, -v5
	v_add_f32_e32 v5, 0x2712e76f, v5
	s_delay_alu instid0(VALU_DEP_1) | instskip(NEXT) | instid1(VALU_DEP_1)
	v_fma_f32 v8, v2, v5, -v8
	;; [unrolled: 3-line block ×19, first 2 shown]
	v_add_f32_e32 v5, 0x3dd4d5f8, v5
	s_delay_alu instid0(VALU_DEP_1) | instskip(SKIP_1) | instid1(VALU_DEP_1)
	v_fma_f32 v2, v2, v5, -v8
	v_mul_f32_e32 v5, 0x37800000, v9
	v_dual_add_f32 v2, 0x402e1ebd, v2 :: v_dual_cndmask_b32 v5, v9, v5
	v_cmp_class_f32_e64 vcc_lo, v6, 0x260
	s_delay_alu instid0(VALU_DEP_2) | instskip(NEXT) | instid1(VALU_DEP_1)
	v_dual_sub_f32 v2, v2, v8 :: v_dual_cndmask_b32 v5, v5, v6
	v_mul_f32_e32 v2, 0.5, v2
	s_delay_alu instid0(VALU_DEP_1) | instskip(NEXT) | instid1(VALU_DEP_1)
	v_div_scale_f32 v6, null, v5, v5, v2
	v_rcp_f32_e32 v8, v6
	s_waitcnt_depctr 0xfff
	v_fma_f32 v9, -v6, v8, 1.0
	s_delay_alu instid0(VALU_DEP_1) | instskip(SKIP_1) | instid1(VALU_DEP_1)
	v_fmac_f32_e32 v8, v9, v8
	v_div_scale_f32 v9, vcc_lo, v2, v5, v2
	v_mul_f32_e32 v10, v9, v8
	s_delay_alu instid0(VALU_DEP_1) | instskip(NEXT) | instid1(VALU_DEP_1)
	v_fma_f32 v11, -v6, v10, v9
	v_fmac_f32_e32 v10, v11, v8
	s_delay_alu instid0(VALU_DEP_1) | instskip(NEXT) | instid1(VALU_DEP_1)
	v_fma_f32 v6, -v6, v10, v9
	v_div_fmas_f32 v6, v6, v8, v10
	s_delay_alu instid0(VALU_DEP_1)
	v_div_fixup_f32 v2, v6, v5, v2
.LBB17_25:
	s_or_b32 exec_lo, exec_lo, s1
.LBB17_26:
	s_delay_alu instid0(SALU_CYCLE_1)
	s_or_b32 exec_lo, exec_lo, s10
.LBB17_27:
	s_delay_alu instid0(SALU_CYCLE_1)
	s_or_b32 exec_lo, exec_lo, s9
	v_dual_mov_b32 v6, 0x7f800000 :: v_dual_mov_b32 v5, 0x7f800000
	s_mov_b32 s9, exec_lo
	s_waitcnt vmcnt(0)
	v_cmpx_neq_f32_e32 0, v3
	s_cbranch_execz .LBB17_39
; %bb.28:
	v_mov_b32_e32 v5, 0x7fc00000
	s_mov_b32 s10, exec_lo
	v_cmpx_ngt_f32_e32 0, v3
	s_cbranch_execz .LBB17_38
; %bb.29:
	s_mov_b32 s0, exec_lo
	v_cmpx_ge_f32_e32 2.0, v3
	s_xor_b32 s11, exec_lo, s0
	s_cbranch_execz .LBB17_35
; %bb.30:
	v_mul_f32_e32 v5, 0.5, v3
	v_mul_f32_e32 v8, 0x3fb8aa3b, v3
	s_mov_b32 s0, exec_lo
                                        ; implicit-def: $vgpr10
                                        ; implicit-def: $vgpr9
	v_cmpx_ge_f32_e32 0x41000000, v3
	s_xor_b32 s0, exec_lo, s0
	s_cbranch_execz .LBB17_32
; %bb.31:
	v_add_f32_e32 v9, -2.0, v5
	s_mov_b32 s1, 0x224cf950
	v_rndne_f32_e32 v12, v8
	v_fma_f32 v13, 0x3fb8aa3b, v3, -v8
	v_cmp_ngt_f32_e32 vcc_lo, 0xc2ce8ed0, v3
	v_fmaak_f32 v10, s1, v9, 0xa3c2be86
	s_delay_alu instid0(VALU_DEP_3) | instskip(NEXT) | instid1(VALU_DEP_1)
	v_dual_sub_f32 v8, v8, v12 :: v_dual_fmamk_f32 v13, v3, 0x32a5705f, v13
	v_dual_fmaak_f32 v11, v9, v10, 0xa24cf950 :: v_dual_add_f32 v8, v8, v13
	s_delay_alu instid0(VALU_DEP_1) | instskip(NEXT) | instid1(VALU_DEP_2)
	v_add_f32_e32 v11, 0x25331f1f, v11
	v_exp_f32_e32 v8, v8
	s_delay_alu instid0(VALU_DEP_1) | instskip(NEXT) | instid1(VALU_DEP_1)
	v_fma_f32 v10, v9, v11, -v10
	v_add_f32_e32 v10, 0xa69f5554, v10
	s_delay_alu instid0(VALU_DEP_1) | instskip(NEXT) | instid1(VALU_DEP_1)
	v_fma_f32 v11, v9, v10, -v11
	v_add_f32_e32 v11, 0x2808ebf8, v11
	;; [unrolled: 3-line block ×25, first 2 shown]
	s_delay_alu instid0(VALU_DEP_1) | instskip(SKIP_1) | instid1(VALU_DEP_2)
	v_fma_f32 v9, v9, v10, -v11
	v_cvt_i32_f32_e32 v10, v12
	v_add_f32_e32 v9, 0x3e81531c, v9
	s_delay_alu instid0(VALU_DEP_2) | instskip(NEXT) | instid1(VALU_DEP_1)
	v_ldexp_f32 v8, v8, v10
	v_dual_sub_f32 v9, v9, v11 :: v_dual_cndmask_b32 v8, 0, v8
	v_cmp_nlt_f32_e32 vcc_lo, 0x42b17218, v3
	s_delay_alu instid0(VALU_DEP_2) | instskip(NEXT) | instid1(VALU_DEP_1)
	v_mul_f32_e32 v9, 0.5, v9
	v_dual_mul_f32 v10, v3, v9 :: v_dual_cndmask_b32 v9, 0x7f800000, v8
                                        ; implicit-def: $vgpr8
	s_delay_alu instid0(VALU_DEP_1)
	v_mul_f32_e32 v10, v9, v10
.LBB17_32:
	s_and_not1_saveexec_b32 s1, s0
	s_cbranch_execz .LBB17_34
; %bb.33:
	v_div_scale_f32 v9, null, v3, v3, 0x42000000
	v_div_scale_f32 v12, vcc_lo, 0x42000000, v3, 0x42000000
	s_mov_b32 s0, 0x230aab6e
	s_delay_alu instid0(VALU_DEP_2) | instskip(SKIP_1) | instid1(VALU_DEP_1)
	v_rcp_f32_e32 v10, v9
	v_fma_f32 v14, 0x3fb8aa3b, v3, -v8
	v_fmamk_f32 v14, v3, 0x32a5705f, v14
	s_waitcnt_depctr 0xfff
	v_fma_f32 v11, -v9, v10, 1.0
	s_delay_alu instid0(VALU_DEP_1) | instskip(NEXT) | instid1(VALU_DEP_1)
	v_fmac_f32_e32 v10, v11, v10
	v_mul_f32_e32 v11, v12, v10
	s_delay_alu instid0(VALU_DEP_1) | instskip(NEXT) | instid1(VALU_DEP_1)
	v_fma_f32 v13, -v9, v11, v12
	v_fmac_f32_e32 v11, v13, v10
	v_rndne_f32_e32 v13, v8
	s_delay_alu instid0(VALU_DEP_2) | instskip(SKIP_1) | instid1(VALU_DEP_3)
	v_fma_f32 v9, -v9, v11, v12
	v_mul_f32_e32 v12, 0x4f800000, v3
	v_sub_f32_e32 v8, v8, v13
	v_cvt_i32_f32_e32 v13, v13
	s_delay_alu instid0(VALU_DEP_4) | instskip(SKIP_1) | instid1(VALU_DEP_4)
	v_div_fmas_f32 v9, v9, v10, v11
	v_cmp_gt_f32_e32 vcc_lo, 0xf800000, v3
	v_add_f32_e32 v8, v8, v14
	s_delay_alu instid0(VALU_DEP_3) | instskip(SKIP_1) | instid1(VALU_DEP_3)
	v_div_fixup_f32 v9, v9, v3, 0x42000000
	v_cndmask_b32_e32 v12, v3, v12, vcc_lo
	v_exp_f32_e32 v8, v8
	s_delay_alu instid0(VALU_DEP_2) | instskip(NEXT) | instid1(VALU_DEP_2)
	v_add_f32_e32 v9, -2.0, v9
	v_sqrt_f32_e32 v15, v12
	s_delay_alu instid0(VALU_DEP_1) | instskip(SKIP_3) | instid1(VALU_DEP_1)
	v_fmaak_f32 v10, s0, v9, 0x22a2dc57
	s_waitcnt_depctr 0xfff
	v_ldexp_f32 v8, v8, v13
	v_dual_fmaak_f32 v11, v9, v10, 0xa30aab6e :: v_dual_add_nc_u32 v16, 1, v15
	v_add_f32_e32 v11, 0xa456751e, v11
	s_delay_alu instid0(VALU_DEP_2) | instskip(NEXT) | instid1(VALU_DEP_2)
	v_fma_f32 v18, -v16, v15, v12
	v_fma_f32 v10, v9, v11, -v10
	s_delay_alu instid0(VALU_DEP_1) | instskip(NEXT) | instid1(VALU_DEP_1)
	v_add_f32_e32 v10, 0xa4140365, v10
	v_fma_f32 v11, v9, v10, -v11
	s_delay_alu instid0(VALU_DEP_1) | instskip(NEXT) | instid1(VALU_DEP_1)
	v_add_f32_e32 v11, 0x25aac8b0, v11
	;; [unrolled: 3-line block ×21, first 2 shown]
	v_fma_f32 v9, v9, v10, -v11
	s_delay_alu instid0(VALU_DEP_1) | instskip(NEXT) | instid1(VALU_DEP_1)
	v_dual_add_f32 v9, 0x3f4750c6, v9 :: v_dual_add_nc_u32 v14, -1, v15
	v_fma_f32 v17, -v14, v15, v12
	s_delay_alu instid0(VALU_DEP_2) | instskip(NEXT) | instid1(VALU_DEP_2)
	v_sub_f32_e32 v11, v9, v11
	v_cmp_ge_f32_e64 s0, 0, v17
	s_delay_alu instid0(VALU_DEP_1) | instskip(SKIP_1) | instid1(VALU_DEP_1)
	v_cndmask_b32_e64 v14, v15, v14, s0
	v_cmp_lt_f32_e64 s0, 0, v18
	v_cndmask_b32_e64 v10, v14, v16, s0
	v_cmp_ngt_f32_e64 s0, 0xc2ce8ed0, v3
	s_delay_alu instid0(VALU_DEP_2) | instskip(NEXT) | instid1(VALU_DEP_2)
	v_mul_f32_e32 v13, 0x37800000, v10
	v_cndmask_b32_e64 v8, 0, v8, s0
	v_cmp_nlt_f32_e64 s0, 0x42b17218, v3
	s_delay_alu instid0(VALU_DEP_1) | instskip(NEXT) | instid1(VALU_DEP_4)
	v_cndmask_b32_e64 v9, 0x7f800000, v8, s0
	v_cndmask_b32_e32 v8, v10, v13, vcc_lo
	v_mul_f32_e32 v10, 0.5, v11
	v_cmp_class_f32_e64 vcc_lo, v12, 0x260
	s_delay_alu instid0(VALU_DEP_2) | instskip(NEXT) | instid1(VALU_DEP_4)
	v_mul_f32_e32 v10, v9, v10
	v_cndmask_b32_e32 v8, v8, v12, vcc_lo
	s_delay_alu instid0(VALU_DEP_1) | instskip(NEXT) | instid1(VALU_DEP_1)
	v_div_scale_f32 v11, null, v8, v8, v10
	v_rcp_f32_e32 v12, v11
	s_waitcnt_depctr 0xfff
	v_fma_f32 v13, -v11, v12, 1.0
	s_delay_alu instid0(VALU_DEP_1) | instskip(SKIP_1) | instid1(VALU_DEP_1)
	v_fmac_f32_e32 v12, v13, v12
	v_div_scale_f32 v13, vcc_lo, v10, v8, v10
	v_mul_f32_e32 v14, v13, v12
	s_delay_alu instid0(VALU_DEP_1) | instskip(NEXT) | instid1(VALU_DEP_1)
	v_fma_f32 v15, -v11, v14, v13
	v_fmac_f32_e32 v14, v15, v12
	s_delay_alu instid0(VALU_DEP_1) | instskip(NEXT) | instid1(VALU_DEP_1)
	v_fma_f32 v11, -v11, v14, v13
	v_div_fmas_f32 v11, v11, v12, v14
	s_delay_alu instid0(VALU_DEP_1)
	v_div_fixup_f32 v10, v11, v8, v10
.LBB17_34:
	s_or_b32 exec_lo, exec_lo, s1
	v_fma_f32 v8, v3, v3, -2.0
	s_mov_b32 s0, 0xa3019142
	v_cmp_gt_f32_e32 vcc_lo, 0x800000, v5
	s_delay_alu instid0(VALU_DEP_2) | instskip(NEXT) | instid1(VALU_DEP_1)
	v_fmaak_f32 v11, s0, v8, 0xa72eea8c
	v_fmaak_f32 v12, v8, v11, 0x23019142
	s_delay_alu instid0(VALU_DEP_1) | instskip(NEXT) | instid1(VALU_DEP_1)
	v_add_f32_e32 v12, 0xab3ba817, v12
	v_fma_f32 v11, v8, v12, -v11
	s_delay_alu instid0(VALU_DEP_1) | instskip(NEXT) | instid1(VALU_DEP_1)
	v_add_f32_e32 v11, 0xaf1b31de, v11
	v_fma_f32 v12, v8, v11, -v12
	;; [unrolled: 3-line block ×8, first 2 shown]
	s_delay_alu instid0(VALU_DEP_1) | instskip(NEXT) | instid1(VALU_DEP_1)
	v_add_f32_e32 v8, 0x3fc33d0a, v8
	v_sub_f32_e32 v8, v8, v12
	v_cndmask_b32_e64 v12, 1.0, 0x4f800000, vcc_lo
	s_delay_alu instid0(VALU_DEP_2) | instskip(NEXT) | instid1(VALU_DEP_2)
	v_mul_f32_e32 v8, 0.5, v8
	v_mul_f32_e32 v5, v5, v12
	s_delay_alu instid0(VALU_DEP_2) | instskip(NEXT) | instid1(VALU_DEP_2)
	v_div_scale_f32 v11, null, v3, v3, v8
	v_log_f32_e32 v5, v5
	v_div_scale_f32 v14, s0, v8, v3, v8
	s_delay_alu instid0(VALU_DEP_2) | instskip(SKIP_3) | instid1(VALU_DEP_1)
	v_rcp_f32_e32 v13, v11
	s_waitcnt_depctr 0xfff
	v_cmp_gt_f32_e64 s1, 0x7f800000, |v5|
	v_fma_f32 v12, -v11, v13, 1.0
	v_fmac_f32_e32 v13, v12, v13
	v_mul_f32_e32 v12, 0x3f317217, v5
	s_delay_alu instid0(VALU_DEP_2) | instskip(NEXT) | instid1(VALU_DEP_2)
	v_mul_f32_e32 v15, v14, v13
	v_fma_f32 v16, 0x3f317217, v5, -v12
	s_delay_alu instid0(VALU_DEP_2) | instskip(NEXT) | instid1(VALU_DEP_2)
	v_fma_f32 v17, -v11, v15, v14
	v_fmamk_f32 v16, v5, 0x3377d1cf, v16
	s_delay_alu instid0(VALU_DEP_1) | instskip(NEXT) | instid1(VALU_DEP_1)
	v_dual_fmac_f32 v15, v17, v13 :: v_dual_add_f32 v12, v12, v16
	v_fma_f32 v11, -v11, v15, v14
	s_delay_alu instid0(VALU_DEP_2) | instskip(SKIP_2) | instid1(VALU_DEP_3)
	v_cndmask_b32_e64 v5, v5, v12, s1
	v_cndmask_b32_e64 v12, 0, 0x41b17218, vcc_lo
	s_mov_b32 vcc_lo, s0
	v_div_fmas_f32 v11, v11, v13, v15
	s_delay_alu instid0(VALU_DEP_2) | instskip(NEXT) | instid1(VALU_DEP_2)
	v_sub_f32_e32 v5, v5, v12
	v_div_fixup_f32 v8, v11, v3, v8
	s_delay_alu instid0(VALU_DEP_1) | instskip(NEXT) | instid1(VALU_DEP_1)
	v_fmac_f32_e32 v8, v5, v10
	v_mul_f32_e32 v5, v9, v8
.LBB17_35:
	s_and_not1_saveexec_b32 s1, s11
	s_cbranch_execz .LBB17_37
; %bb.36:
	v_div_scale_f32 v5, null, v3, v3, 0x41000000
	v_div_scale_f32 v10, vcc_lo, 0x41000000, v3, 0x41000000
	s_mov_b32 s0, 0xa2d462ea
	s_delay_alu instid0(VALU_DEP_2) | instskip(SKIP_2) | instid1(VALU_DEP_1)
	v_rcp_f32_e32 v8, v5
	s_waitcnt_depctr 0xfff
	v_fma_f32 v9, -v5, v8, 1.0
	v_fmac_f32_e32 v8, v9, v8
	s_delay_alu instid0(VALU_DEP_1) | instskip(NEXT) | instid1(VALU_DEP_1)
	v_mul_f32_e32 v9, v10, v8
	v_fma_f32 v11, -v5, v9, v10
	s_delay_alu instid0(VALU_DEP_1) | instskip(NEXT) | instid1(VALU_DEP_1)
	v_fmac_f32_e32 v9, v11, v8
	v_fma_f32 v5, -v5, v9, v10
	v_mul_f32_e32 v10, 0x4f800000, v3
	s_delay_alu instid0(VALU_DEP_2) | instskip(SKIP_1) | instid1(VALU_DEP_2)
	v_div_fmas_f32 v5, v5, v8, v9
	v_cmp_gt_f32_e32 vcc_lo, 0xf800000, v3
	v_div_fixup_f32 v5, v5, v3, 0x41000000
	s_delay_alu instid0(VALU_DEP_4) | instskip(NEXT) | instid1(VALU_DEP_2)
	v_cndmask_b32_e32 v3, v3, v10, vcc_lo
	v_add_f32_e32 v5, -2.0, v5
	s_delay_alu instid0(VALU_DEP_2) | instskip(NEXT) | instid1(VALU_DEP_1)
	v_sqrt_f32_e32 v10, v3
	v_fmaak_f32 v8, s0, v5, 0x23a578d4
	s_waitcnt_depctr 0xfff
	v_dual_fmaak_f32 v9, v5, v8, 0x22d462ea :: v_dual_add_nc_u32 v12, 1, v10
	v_add_nc_u32_e32 v11, -1, v10
	s_delay_alu instid0(VALU_DEP_2) | instskip(NEXT) | instid1(VALU_DEP_2)
	v_fma_f32 v14, -v12, v10, v3
	v_fma_f32 v13, -v11, v10, v3
	s_delay_alu instid0(VALU_DEP_1) | instskip(NEXT) | instid1(VALU_DEP_1)
	v_cmp_ge_f32_e64 s0, 0, v13
	v_cndmask_b32_e64 v10, v10, v11, s0
	s_delay_alu instid0(VALU_DEP_4) | instskip(NEXT) | instid1(VALU_DEP_1)
	v_cmp_lt_f32_e64 s0, 0, v14
	v_cndmask_b32_e64 v10, v10, v12, s0
	v_add_f32_e32 v9, 0xa48330a9, v9
	s_delay_alu instid0(VALU_DEP_1) | instskip(NEXT) | instid1(VALU_DEP_1)
	v_fma_f32 v8, v5, v9, -v8
	v_add_f32_e32 v8, 0x2553eaf2, v8
	s_delay_alu instid0(VALU_DEP_1) | instskip(NEXT) | instid1(VALU_DEP_1)
	v_fma_f32 v9, v5, v8, -v9
	;; [unrolled: 3-line block ×21, first 2 shown]
	v_add_f32_e32 v8, 0x3dd4d5f8, v8
	s_delay_alu instid0(VALU_DEP_1) | instskip(SKIP_1) | instid1(VALU_DEP_1)
	v_fma_f32 v5, v5, v8, -v9
	v_mul_f32_e32 v8, 0x37800000, v10
	v_dual_add_f32 v5, 0x402e1ebd, v5 :: v_dual_cndmask_b32 v8, v10, v8
	v_cmp_class_f32_e64 vcc_lo, v3, 0x260
	s_delay_alu instid0(VALU_DEP_2) | instskip(NEXT) | instid1(VALU_DEP_3)
	v_sub_f32_e32 v5, v5, v9
	v_cndmask_b32_e32 v3, v8, v3, vcc_lo
	s_delay_alu instid0(VALU_DEP_2) | instskip(NEXT) | instid1(VALU_DEP_1)
	v_mul_f32_e32 v5, 0.5, v5
	v_div_scale_f32 v8, null, v3, v3, v5
	s_delay_alu instid0(VALU_DEP_1) | instskip(SKIP_2) | instid1(VALU_DEP_1)
	v_rcp_f32_e32 v9, v8
	s_waitcnt_depctr 0xfff
	v_fma_f32 v10, -v8, v9, 1.0
	v_fmac_f32_e32 v9, v10, v9
	v_div_scale_f32 v10, vcc_lo, v5, v3, v5
	s_delay_alu instid0(VALU_DEP_1) | instskip(NEXT) | instid1(VALU_DEP_1)
	v_mul_f32_e32 v11, v10, v9
	v_fma_f32 v12, -v8, v11, v10
	s_delay_alu instid0(VALU_DEP_1) | instskip(NEXT) | instid1(VALU_DEP_1)
	v_fmac_f32_e32 v11, v12, v9
	v_fma_f32 v8, -v8, v11, v10
	s_delay_alu instid0(VALU_DEP_1) | instskip(NEXT) | instid1(VALU_DEP_1)
	v_div_fmas_f32 v8, v8, v9, v11
	v_div_fixup_f32 v5, v8, v3, v5
.LBB17_37:
	s_or_b32 exec_lo, exec_lo, s1
.LBB17_38:
	s_delay_alu instid0(SALU_CYCLE_1)
	s_or_b32 exec_lo, exec_lo, s10
.LBB17_39:
	s_delay_alu instid0(SALU_CYCLE_1) | instskip(NEXT) | instid1(SALU_CYCLE_1)
	s_or_b32 exec_lo, exec_lo, s9
	s_mov_b32 s9, exec_lo
	v_cmpx_neq_f32_e32 0, v4
	s_cbranch_execz .LBB17_51
; %bb.40:
	v_mov_b32_e32 v6, 0x7fc00000
	s_mov_b32 s10, exec_lo
	v_cmpx_ngt_f32_e32 0, v4
	s_cbranch_execz .LBB17_50
; %bb.41:
	s_mov_b32 s0, exec_lo
	v_cmpx_ge_f32_e32 2.0, v4
	s_xor_b32 s11, exec_lo, s0
	s_cbranch_execz .LBB17_47
; %bb.42:
	v_mul_f32_e32 v3, 0.5, v4
	v_mul_f32_e32 v6, 0x3fb8aa3b, v4
	s_mov_b32 s0, exec_lo
                                        ; implicit-def: $vgpr9
                                        ; implicit-def: $vgpr8
	v_cmpx_ge_f32_e32 0x41000000, v4
	s_xor_b32 s0, exec_lo, s0
	s_cbranch_execz .LBB17_44
; %bb.43:
	v_add_f32_e32 v8, -2.0, v3
	s_mov_b32 s1, 0x224cf950
	v_rndne_f32_e32 v11, v6
	v_fma_f32 v12, 0x3fb8aa3b, v4, -v6
	v_cmp_ngt_f32_e32 vcc_lo, 0xc2ce8ed0, v4
	s_delay_alu instid0(VALU_DEP_3) | instskip(NEXT) | instid1(VALU_DEP_3)
	v_dual_fmaak_f32 v9, s1, v8, 0xa3c2be86 :: v_dual_sub_f32 v6, v6, v11
	v_fmamk_f32 v12, v4, 0x32a5705f, v12
	s_delay_alu instid0(VALU_DEP_2) | instskip(NEXT) | instid1(VALU_DEP_2)
	v_fmaak_f32 v10, v8, v9, 0xa24cf950
	v_add_f32_e32 v6, v6, v12
	s_delay_alu instid0(VALU_DEP_2) | instskip(NEXT) | instid1(VALU_DEP_2)
	v_add_f32_e32 v10, 0x25331f1f, v10
	v_exp_f32_e32 v6, v6
	s_delay_alu instid0(VALU_DEP_1) | instskip(NEXT) | instid1(VALU_DEP_1)
	v_fma_f32 v9, v8, v10, -v9
	v_add_f32_e32 v9, 0xa69f5554, v9
	s_delay_alu instid0(VALU_DEP_1) | instskip(NEXT) | instid1(VALU_DEP_1)
	v_fma_f32 v10, v8, v9, -v10
	v_add_f32_e32 v10, 0x2808ebf8, v10
	;; [unrolled: 3-line block ×25, first 2 shown]
	s_delay_alu instid0(VALU_DEP_1) | instskip(SKIP_1) | instid1(VALU_DEP_2)
	v_fma_f32 v8, v8, v9, -v10
	v_cvt_i32_f32_e32 v9, v11
	v_add_f32_e32 v8, 0x3e81531c, v8
	s_delay_alu instid0(VALU_DEP_2) | instskip(NEXT) | instid1(VALU_DEP_2)
	v_ldexp_f32 v6, v6, v9
	v_sub_f32_e32 v8, v8, v10
	s_delay_alu instid0(VALU_DEP_2) | instskip(SKIP_1) | instid1(VALU_DEP_3)
	v_cndmask_b32_e32 v6, 0, v6, vcc_lo
	v_cmp_nlt_f32_e32 vcc_lo, 0x42b17218, v4
	v_mul_f32_e32 v8, 0.5, v8
	s_delay_alu instid0(VALU_DEP_1) | instskip(NEXT) | instid1(VALU_DEP_1)
	v_dual_mul_f32 v9, v4, v8 :: v_dual_cndmask_b32 v8, 0x7f800000, v6
                                        ; implicit-def: $vgpr6
	v_mul_f32_e32 v9, v8, v9
.LBB17_44:
	s_and_not1_saveexec_b32 s1, s0
	s_cbranch_execz .LBB17_46
; %bb.45:
	v_div_scale_f32 v8, null, v4, v4, 0x42000000
	v_div_scale_f32 v11, vcc_lo, 0x42000000, v4, 0x42000000
	s_mov_b32 s0, 0x230aab6e
	s_delay_alu instid0(VALU_DEP_2) | instskip(SKIP_3) | instid1(VALU_DEP_1)
	v_rcp_f32_e32 v9, v8
	v_fma_f32 v13, 0x3fb8aa3b, v4, -v6
	s_waitcnt_depctr 0xfff
	v_fma_f32 v10, -v8, v9, 1.0
	v_fmac_f32_e32 v9, v10, v9
	s_delay_alu instid0(VALU_DEP_1) | instskip(NEXT) | instid1(VALU_DEP_1)
	v_mul_f32_e32 v10, v11, v9
	v_fma_f32 v12, -v8, v10, v11
	s_delay_alu instid0(VALU_DEP_1) | instskip(SKIP_1) | instid1(VALU_DEP_2)
	v_fmac_f32_e32 v10, v12, v9
	v_rndne_f32_e32 v12, v6
	v_fma_f32 v8, -v8, v10, v11
	v_mul_f32_e32 v11, 0x4f800000, v4
	s_delay_alu instid0(VALU_DEP_3) | instskip(SKIP_1) | instid1(VALU_DEP_4)
	v_sub_f32_e32 v6, v6, v12
	v_cvt_i32_f32_e32 v12, v12
	v_div_fmas_f32 v8, v8, v9, v10
	v_cmp_gt_f32_e32 vcc_lo, 0xf800000, v4
	v_fmamk_f32 v13, v4, 0x32a5705f, v13
	s_delay_alu instid0(VALU_DEP_3) | instskip(NEXT) | instid1(VALU_DEP_1)
	v_div_fixup_f32 v8, v8, v4, 0x42000000
	v_dual_cndmask_b32 v11, v4, v11 :: v_dual_add_f32 v8, -2.0, v8
	s_delay_alu instid0(VALU_DEP_1) | instskip(NEXT) | instid1(VALU_DEP_1)
	v_sqrt_f32_e32 v14, v11
	v_dual_add_f32 v6, v6, v13 :: v_dual_fmaak_f32 v9, s0, v8, 0x22a2dc57
	s_waitcnt_depctr 0xfff
	v_dual_fmaak_f32 v10, v8, v9, 0xa30aab6e :: v_dual_add_nc_u32 v13, -1, v14
	v_add_nc_u32_e32 v15, 1, v14
	v_exp_f32_e32 v6, v6
	s_delay_alu instid0(VALU_DEP_2) | instskip(NEXT) | instid1(VALU_DEP_3)
	v_add_f32_e32 v10, 0xa456751e, v10
	v_fma_f32 v16, -v13, v14, v11
	s_delay_alu instid0(VALU_DEP_3) | instskip(NEXT) | instid1(VALU_DEP_3)
	v_fma_f32 v17, -v15, v14, v11
	v_fma_f32 v9, v8, v10, -v9
	s_delay_alu instid0(VALU_DEP_3)
	v_cmp_ge_f32_e64 s0, 0, v16
	s_waitcnt_depctr 0xfff
	v_ldexp_f32 v6, v6, v12
	v_add_f32_e32 v9, 0xa4140365, v9
	v_cndmask_b32_e64 v13, v14, v13, s0
	v_cmp_lt_f32_e64 s0, 0, v17
	s_delay_alu instid0(VALU_DEP_3) | instskip(NEXT) | instid1(VALU_DEP_1)
	v_fma_f32 v10, v8, v9, -v10
	v_add_f32_e32 v10, 0x25aac8b0, v10
	s_delay_alu instid0(VALU_DEP_1) | instskip(NEXT) | instid1(VALU_DEP_1)
	v_fma_f32 v9, v8, v10, -v9
	v_add_f32_e32 v9, 0x25beb473, v9
	s_delay_alu instid0(VALU_DEP_1) | instskip(NEXT) | instid1(VALU_DEP_1)
	;; [unrolled: 3-line block ×19, first 2 shown]
	v_fma_f32 v9, v8, v10, -v9
	v_add_f32_e32 v9, 0xbc1fed03, v9
	s_delay_alu instid0(VALU_DEP_1) | instskip(SKIP_2) | instid1(VALU_DEP_3)
	v_fma_f32 v8, v8, v9, -v10
	v_cndmask_b32_e64 v9, v13, v15, s0
	v_cmp_ngt_f32_e64 s0, 0xc2ce8ed0, v4
	v_add_f32_e32 v8, 0x3f4750c6, v8
	s_delay_alu instid0(VALU_DEP_3) | instskip(NEXT) | instid1(VALU_DEP_3)
	v_mul_f32_e32 v12, 0x37800000, v9
	v_cndmask_b32_e64 v6, 0, v6, s0
	v_cmp_nlt_f32_e64 s0, 0x42b17218, v4
	s_delay_alu instid0(VALU_DEP_4) | instskip(NEXT) | instid1(VALU_DEP_2)
	v_sub_f32_e32 v10, v8, v10
	v_cndmask_b32_e64 v8, 0x7f800000, v6, s0
	s_delay_alu instid0(VALU_DEP_2) | instskip(SKIP_1) | instid1(VALU_DEP_2)
	v_dual_cndmask_b32 v6, v9, v12 :: v_dual_mul_f32 v9, 0.5, v10
	v_cmp_class_f32_e64 vcc_lo, v11, 0x260
	v_dual_mul_f32 v9, v8, v9 :: v_dual_cndmask_b32 v6, v6, v11
	s_delay_alu instid0(VALU_DEP_1) | instskip(NEXT) | instid1(VALU_DEP_1)
	v_div_scale_f32 v10, null, v6, v6, v9
	v_rcp_f32_e32 v11, v10
	s_waitcnt_depctr 0xfff
	v_fma_f32 v12, -v10, v11, 1.0
	s_delay_alu instid0(VALU_DEP_1) | instskip(SKIP_1) | instid1(VALU_DEP_1)
	v_fmac_f32_e32 v11, v12, v11
	v_div_scale_f32 v12, vcc_lo, v9, v6, v9
	v_mul_f32_e32 v13, v12, v11
	s_delay_alu instid0(VALU_DEP_1) | instskip(NEXT) | instid1(VALU_DEP_1)
	v_fma_f32 v14, -v10, v13, v12
	v_fmac_f32_e32 v13, v14, v11
	s_delay_alu instid0(VALU_DEP_1) | instskip(NEXT) | instid1(VALU_DEP_1)
	v_fma_f32 v10, -v10, v13, v12
	v_div_fmas_f32 v10, v10, v11, v13
	s_delay_alu instid0(VALU_DEP_1)
	v_div_fixup_f32 v9, v10, v6, v9
.LBB17_46:
	s_or_b32 exec_lo, exec_lo, s1
	v_fma_f32 v6, v4, v4, -2.0
	s_mov_b32 s0, 0xa3019142
	v_cmp_gt_f32_e32 vcc_lo, 0x800000, v3
	s_delay_alu instid0(VALU_DEP_2) | instskip(NEXT) | instid1(VALU_DEP_1)
	v_fmaak_f32 v10, s0, v6, 0xa72eea8c
	v_fmaak_f32 v11, v6, v10, 0x23019142
	s_delay_alu instid0(VALU_DEP_1) | instskip(NEXT) | instid1(VALU_DEP_1)
	v_add_f32_e32 v11, 0xab3ba817, v11
	v_fma_f32 v10, v6, v11, -v10
	s_delay_alu instid0(VALU_DEP_1) | instskip(NEXT) | instid1(VALU_DEP_1)
	v_add_f32_e32 v10, 0xaf1b31de, v10
	v_fma_f32 v11, v6, v10, -v11
	;; [unrolled: 3-line block ×8, first 2 shown]
	s_delay_alu instid0(VALU_DEP_1) | instskip(NEXT) | instid1(VALU_DEP_1)
	v_add_f32_e32 v6, 0x3fc33d0a, v6
	v_sub_f32_e32 v6, v6, v11
	v_cndmask_b32_e64 v11, 1.0, 0x4f800000, vcc_lo
	s_delay_alu instid0(VALU_DEP_1) | instskip(NEXT) | instid1(VALU_DEP_1)
	v_dual_mul_f32 v6, 0.5, v6 :: v_dual_mul_f32 v3, v3, v11
	v_div_scale_f32 v10, null, v4, v4, v6
	s_delay_alu instid0(VALU_DEP_2) | instskip(SKIP_1) | instid1(VALU_DEP_2)
	v_log_f32_e32 v3, v3
	v_div_scale_f32 v13, s0, v6, v4, v6
	v_rcp_f32_e32 v12, v10
	s_waitcnt_depctr 0xfff
	v_cmp_gt_f32_e64 s1, 0x7f800000, |v3|
	v_fma_f32 v11, -v10, v12, 1.0
	s_delay_alu instid0(VALU_DEP_1) | instskip(NEXT) | instid1(VALU_DEP_1)
	v_dual_fmac_f32 v12, v11, v12 :: v_dual_mul_f32 v11, 0x3f317217, v3
	v_mul_f32_e32 v14, v13, v12
	s_delay_alu instid0(VALU_DEP_2) | instskip(NEXT) | instid1(VALU_DEP_2)
	v_fma_f32 v15, 0x3f317217, v3, -v11
	v_fma_f32 v16, -v10, v14, v13
	s_delay_alu instid0(VALU_DEP_1) | instskip(NEXT) | instid1(VALU_DEP_1)
	v_dual_fmamk_f32 v15, v3, 0x3377d1cf, v15 :: v_dual_fmac_f32 v14, v16, v12
	v_add_f32_e32 v11, v11, v15
	s_delay_alu instid0(VALU_DEP_2) | instskip(NEXT) | instid1(VALU_DEP_2)
	v_fma_f32 v10, -v10, v14, v13
	v_cndmask_b32_e64 v3, v3, v11, s1
	v_cndmask_b32_e64 v11, 0, 0x41b17218, vcc_lo
	s_mov_b32 vcc_lo, s0
	s_delay_alu instid0(VALU_DEP_3) | instskip(NEXT) | instid1(VALU_DEP_2)
	v_div_fmas_f32 v10, v10, v12, v14
	v_sub_f32_e32 v3, v3, v11
	s_delay_alu instid0(VALU_DEP_2) | instskip(NEXT) | instid1(VALU_DEP_1)
	v_div_fixup_f32 v4, v10, v4, v6
	v_fmac_f32_e32 v4, v3, v9
	s_delay_alu instid0(VALU_DEP_1)
	v_mul_f32_e32 v6, v8, v4
                                        ; implicit-def: $vgpr3_vgpr4
.LBB17_47:
	s_and_not1_saveexec_b32 s1, s11
	s_cbranch_execz .LBB17_49
; %bb.48:
	v_div_scale_f32 v3, null, v4, v4, 0x41000000
	v_div_scale_f32 v9, vcc_lo, 0x41000000, v4, 0x41000000
	s_mov_b32 s0, 0xa2d462ea
	s_delay_alu instid0(VALU_DEP_2) | instskip(SKIP_2) | instid1(VALU_DEP_1)
	v_rcp_f32_e32 v6, v3
	s_waitcnt_depctr 0xfff
	v_fma_f32 v8, -v3, v6, 1.0
	v_fmac_f32_e32 v6, v8, v6
	s_delay_alu instid0(VALU_DEP_1) | instskip(NEXT) | instid1(VALU_DEP_1)
	v_mul_f32_e32 v8, v9, v6
	v_fma_f32 v10, -v3, v8, v9
	s_delay_alu instid0(VALU_DEP_1) | instskip(NEXT) | instid1(VALU_DEP_1)
	v_fmac_f32_e32 v8, v10, v6
	v_fma_f32 v3, -v3, v8, v9
	v_mul_f32_e32 v9, 0x4f800000, v4
	s_delay_alu instid0(VALU_DEP_2) | instskip(SKIP_1) | instid1(VALU_DEP_2)
	v_div_fmas_f32 v3, v3, v6, v8
	v_cmp_gt_f32_e32 vcc_lo, 0xf800000, v4
	v_div_fixup_f32 v3, v3, v4, 0x41000000
	s_delay_alu instid0(VALU_DEP_1) | instskip(NEXT) | instid1(VALU_DEP_1)
	v_add_f32_e32 v3, -2.0, v3
	v_fmaak_f32 v6, s0, v3, 0x23a578d4
	s_delay_alu instid0(VALU_DEP_1) | instskip(NEXT) | instid1(VALU_DEP_1)
	v_fmaak_f32 v8, v3, v6, 0x22d462ea
	v_add_f32_e32 v8, 0xa48330a9, v8
	s_delay_alu instid0(VALU_DEP_1) | instskip(NEXT) | instid1(VALU_DEP_1)
	v_fma_f32 v6, v3, v8, -v6
	v_add_f32_e32 v6, 0x2553eaf2, v6
	s_delay_alu instid0(VALU_DEP_1) | instskip(NEXT) | instid1(VALU_DEP_1)
	v_fma_f32 v8, v3, v6, -v8
	;; [unrolled: 3-line block ×22, first 2 shown]
	v_dual_cndmask_b32 v4, v4, v9 :: v_dual_add_f32 v3, 0x402e1ebd, v3
	s_delay_alu instid0(VALU_DEP_1) | instskip(NEXT) | instid1(VALU_DEP_1)
	v_sqrt_f32_e32 v9, v4
	v_sub_f32_e32 v3, v3, v8
	s_waitcnt_depctr 0xfff
	v_dual_mul_f32 v3, 0.5, v3 :: v_dual_add_nc_u32 v10, -1, v9
	v_add_nc_u32_e32 v11, 1, v9
	s_delay_alu instid0(VALU_DEP_2) | instskip(NEXT) | instid1(VALU_DEP_2)
	v_fma_f32 v12, -v10, v9, v4
	v_fma_f32 v13, -v11, v9, v4
	s_delay_alu instid0(VALU_DEP_2) | instskip(NEXT) | instid1(VALU_DEP_1)
	v_cmp_ge_f32_e64 s0, 0, v12
	v_cndmask_b32_e64 v9, v9, v10, s0
	s_delay_alu instid0(VALU_DEP_3) | instskip(NEXT) | instid1(VALU_DEP_1)
	v_cmp_lt_f32_e64 s0, 0, v13
	v_cndmask_b32_e64 v9, v9, v11, s0
	s_delay_alu instid0(VALU_DEP_1) | instskip(NEXT) | instid1(VALU_DEP_1)
	v_mul_f32_e32 v6, 0x37800000, v9
	v_cndmask_b32_e32 v6, v9, v6, vcc_lo
	v_cmp_class_f32_e64 vcc_lo, v4, 0x260
	s_delay_alu instid0(VALU_DEP_2) | instskip(NEXT) | instid1(VALU_DEP_1)
	v_cndmask_b32_e32 v4, v6, v4, vcc_lo
	v_div_scale_f32 v6, null, v4, v4, v3
	s_delay_alu instid0(VALU_DEP_1) | instskip(SKIP_2) | instid1(VALU_DEP_1)
	v_rcp_f32_e32 v8, v6
	s_waitcnt_depctr 0xfff
	v_fma_f32 v9, -v6, v8, 1.0
	v_fmac_f32_e32 v8, v9, v8
	v_div_scale_f32 v9, vcc_lo, v3, v4, v3
	s_delay_alu instid0(VALU_DEP_1) | instskip(NEXT) | instid1(VALU_DEP_1)
	v_mul_f32_e32 v10, v9, v8
	v_fma_f32 v11, -v6, v10, v9
	s_delay_alu instid0(VALU_DEP_1) | instskip(NEXT) | instid1(VALU_DEP_1)
	v_fmac_f32_e32 v10, v11, v8
	v_fma_f32 v6, -v6, v10, v9
	s_delay_alu instid0(VALU_DEP_1) | instskip(NEXT) | instid1(VALU_DEP_1)
	v_div_fmas_f32 v6, v6, v8, v10
	v_div_fixup_f32 v6, v6, v4, v3
.LBB17_49:
	s_or_b32 exec_lo, exec_lo, s1
.LBB17_50:
	s_delay_alu instid0(SALU_CYCLE_1)
	s_or_b32 exec_lo, exec_lo, s10
.LBB17_51:
	s_delay_alu instid0(SALU_CYCLE_1)
	s_or_b32 exec_lo, exec_lo, s9
	s_add_u32 s2, s4, s2
	s_addc_u32 s3, s5, s3
	s_clause 0x1
	global_store_b64 v7, v[1:2], s[2:3]
	global_store_b64 v7, v[5:6], s[2:3] offset:2048
	s_branch .LBB17_2
.LBB17_52:
	v_dual_mov_b32 v31, v0 :: v_dual_mov_b32 v0, s4
	v_dual_mov_b32 v1, s5 :: v_dual_mov_b32 v2, s6
	;; [unrolled: 1-line block ×3, first 2 shown]
	s_mov_b32 s12, s15
	s_getpc_b64 s[0:1]
	s_add_u32 s0, s0, _ZN2at6native25elementwise_kernel_helperILb0EZZZNS0_12_GLOBAL__N_137scaled_modified_bessel_k1_kernel_cudaERNS_18TensorIteratorBaseEENKUlvE_clEvENKUlvE0_clEvEUlfE_NS0_6memory8policies11unroll_baseILi256ESt5arrayIPcLm2EE23TrivialOffsetCalculatorILi1EjESF_NS8_15LoadWithoutCastENS8_16StoreWithoutCastELi4ELi1EEEEEvT0_T1_@rel32@lo+4
	s_addc_u32 s1, s1, _ZN2at6native25elementwise_kernel_helperILb0EZZZNS0_12_GLOBAL__N_137scaled_modified_bessel_k1_kernel_cudaERNS_18TensorIteratorBaseEENKUlvE_clEvENKUlvE0_clEvEUlfE_NS0_6memory8policies11unroll_baseILi256ESt5arrayIPcLm2EE23TrivialOffsetCalculatorILi1EjESF_NS8_15LoadWithoutCastENS8_16StoreWithoutCastELi4ELi1EEEEEvT0_T1_@rel32@hi+12
	s_delay_alu instid0(SALU_CYCLE_1)
	s_swappc_b64 s[30:31], s[0:1]
	s_endpgm
	.section	.rodata,"a",@progbits
	.p2align	6, 0x0
	.amdhsa_kernel _ZN2at6native29vectorized_elementwise_kernelILi2EZZZNS0_12_GLOBAL__N_137scaled_modified_bessel_k1_kernel_cudaERNS_18TensorIteratorBaseEENKUlvE_clEvENKUlvE0_clEvEUlfE_St5arrayIPcLm2EEEEviT0_T1_
		.amdhsa_group_segment_fixed_size 0
		.amdhsa_private_segment_fixed_size 0
		.amdhsa_kernarg_size 24
		.amdhsa_user_sgpr_count 15
		.amdhsa_user_sgpr_dispatch_ptr 0
		.amdhsa_user_sgpr_queue_ptr 0
		.amdhsa_user_sgpr_kernarg_segment_ptr 1
		.amdhsa_user_sgpr_dispatch_id 0
		.amdhsa_user_sgpr_private_segment_size 0
		.amdhsa_wavefront_size32 1
		.amdhsa_uses_dynamic_stack 0
		.amdhsa_enable_private_segment 0
		.amdhsa_system_sgpr_workgroup_id_x 1
		.amdhsa_system_sgpr_workgroup_id_y 0
		.amdhsa_system_sgpr_workgroup_id_z 0
		.amdhsa_system_sgpr_workgroup_info 0
		.amdhsa_system_vgpr_workitem_id 0
		.amdhsa_next_free_vgpr 32
		.amdhsa_next_free_sgpr 33
		.amdhsa_reserve_vcc 1
		.amdhsa_float_round_mode_32 0
		.amdhsa_float_round_mode_16_64 0
		.amdhsa_float_denorm_mode_32 3
		.amdhsa_float_denorm_mode_16_64 3
		.amdhsa_dx10_clamp 1
		.amdhsa_ieee_mode 1
		.amdhsa_fp16_overflow 0
		.amdhsa_workgroup_processor_mode 1
		.amdhsa_memory_ordered 1
		.amdhsa_forward_progress 0
		.amdhsa_shared_vgpr_count 0
		.amdhsa_exception_fp_ieee_invalid_op 0
		.amdhsa_exception_fp_denorm_src 0
		.amdhsa_exception_fp_ieee_div_zero 0
		.amdhsa_exception_fp_ieee_overflow 0
		.amdhsa_exception_fp_ieee_underflow 0
		.amdhsa_exception_fp_ieee_inexact 0
		.amdhsa_exception_int_div_zero 0
	.end_amdhsa_kernel
	.section	.text._ZN2at6native29vectorized_elementwise_kernelILi2EZZZNS0_12_GLOBAL__N_137scaled_modified_bessel_k1_kernel_cudaERNS_18TensorIteratorBaseEENKUlvE_clEvENKUlvE0_clEvEUlfE_St5arrayIPcLm2EEEEviT0_T1_,"axG",@progbits,_ZN2at6native29vectorized_elementwise_kernelILi2EZZZNS0_12_GLOBAL__N_137scaled_modified_bessel_k1_kernel_cudaERNS_18TensorIteratorBaseEENKUlvE_clEvENKUlvE0_clEvEUlfE_St5arrayIPcLm2EEEEviT0_T1_,comdat
.Lfunc_end17:
	.size	_ZN2at6native29vectorized_elementwise_kernelILi2EZZZNS0_12_GLOBAL__N_137scaled_modified_bessel_k1_kernel_cudaERNS_18TensorIteratorBaseEENKUlvE_clEvENKUlvE0_clEvEUlfE_St5arrayIPcLm2EEEEviT0_T1_, .Lfunc_end17-_ZN2at6native29vectorized_elementwise_kernelILi2EZZZNS0_12_GLOBAL__N_137scaled_modified_bessel_k1_kernel_cudaERNS_18TensorIteratorBaseEENKUlvE_clEvENKUlvE0_clEvEUlfE_St5arrayIPcLm2EEEEviT0_T1_
                                        ; -- End function
	.section	.AMDGPU.csdata,"",@progbits
; Kernel info:
; codeLenInByte = 12144
; NumSgprs: 35
; NumVgprs: 32
; ScratchSize: 0
; MemoryBound: 0
; FloatMode: 240
; IeeeMode: 1
; LDSByteSize: 0 bytes/workgroup (compile time only)
; SGPRBlocks: 4
; VGPRBlocks: 3
; NumSGPRsForWavesPerEU: 35
; NumVGPRsForWavesPerEU: 32
; Occupancy: 16
; WaveLimiterHint : 1
; COMPUTE_PGM_RSRC2:SCRATCH_EN: 0
; COMPUTE_PGM_RSRC2:USER_SGPR: 15
; COMPUTE_PGM_RSRC2:TRAP_HANDLER: 0
; COMPUTE_PGM_RSRC2:TGID_X_EN: 1
; COMPUTE_PGM_RSRC2:TGID_Y_EN: 0
; COMPUTE_PGM_RSRC2:TGID_Z_EN: 0
; COMPUTE_PGM_RSRC2:TIDIG_COMP_CNT: 0
	.section	.text._ZN2at6native27unrolled_elementwise_kernelIZZZNS0_12_GLOBAL__N_137scaled_modified_bessel_k1_kernel_cudaERNS_18TensorIteratorBaseEENKUlvE_clEvENKUlvE0_clEvEUlfE_St5arrayIPcLm2EELi4E23TrivialOffsetCalculatorILi1EjESC_NS0_6memory15LoadWithoutCastENSD_16StoreWithoutCastEEEviT_T0_T2_T3_T4_T5_,"axG",@progbits,_ZN2at6native27unrolled_elementwise_kernelIZZZNS0_12_GLOBAL__N_137scaled_modified_bessel_k1_kernel_cudaERNS_18TensorIteratorBaseEENKUlvE_clEvENKUlvE0_clEvEUlfE_St5arrayIPcLm2EELi4E23TrivialOffsetCalculatorILi1EjESC_NS0_6memory15LoadWithoutCastENSD_16StoreWithoutCastEEEviT_T0_T2_T3_T4_T5_,comdat
	.globl	_ZN2at6native27unrolled_elementwise_kernelIZZZNS0_12_GLOBAL__N_137scaled_modified_bessel_k1_kernel_cudaERNS_18TensorIteratorBaseEENKUlvE_clEvENKUlvE0_clEvEUlfE_St5arrayIPcLm2EELi4E23TrivialOffsetCalculatorILi1EjESC_NS0_6memory15LoadWithoutCastENSD_16StoreWithoutCastEEEviT_T0_T2_T3_T4_T5_ ; -- Begin function _ZN2at6native27unrolled_elementwise_kernelIZZZNS0_12_GLOBAL__N_137scaled_modified_bessel_k1_kernel_cudaERNS_18TensorIteratorBaseEENKUlvE_clEvENKUlvE0_clEvEUlfE_St5arrayIPcLm2EELi4E23TrivialOffsetCalculatorILi1EjESC_NS0_6memory15LoadWithoutCastENSD_16StoreWithoutCastEEEviT_T0_T2_T3_T4_T5_
	.p2align	8
	.type	_ZN2at6native27unrolled_elementwise_kernelIZZZNS0_12_GLOBAL__N_137scaled_modified_bessel_k1_kernel_cudaERNS_18TensorIteratorBaseEENKUlvE_clEvENKUlvE0_clEvEUlfE_St5arrayIPcLm2EELi4E23TrivialOffsetCalculatorILi1EjESC_NS0_6memory15LoadWithoutCastENSD_16StoreWithoutCastEEEviT_T0_T2_T3_T4_T5_,@function
_ZN2at6native27unrolled_elementwise_kernelIZZZNS0_12_GLOBAL__N_137scaled_modified_bessel_k1_kernel_cudaERNS_18TensorIteratorBaseEENKUlvE_clEvENKUlvE0_clEvEUlfE_St5arrayIPcLm2EELi4E23TrivialOffsetCalculatorILi1EjESC_NS0_6memory15LoadWithoutCastENSD_16StoreWithoutCastEEEviT_T0_T2_T3_T4_T5_: ; @_ZN2at6native27unrolled_elementwise_kernelIZZZNS0_12_GLOBAL__N_137scaled_modified_bessel_k1_kernel_cudaERNS_18TensorIteratorBaseEENKUlvE_clEvENKUlvE0_clEvEUlfE_St5arrayIPcLm2EELi4E23TrivialOffsetCalculatorILi1EjESC_NS0_6memory15LoadWithoutCastENSD_16StoreWithoutCastEEEviT_T0_T2_T3_T4_T5_
; %bb.0:
	s_clause 0x1
	s_load_b32 s6, s[0:1], 0x0
	s_load_b128 s[0:3], s[0:1], 0x8
	s_lshl_b32 s7, s15, 10
	s_getpc_b64 s[4:5]
	s_add_u32 s4, s4, _ZN2at6native25elementwise_kernel_helperILb0EZZZNS0_12_GLOBAL__N_137scaled_modified_bessel_k1_kernel_cudaERNS_18TensorIteratorBaseEENKUlvE_clEvENKUlvE0_clEvEUlfE_NS0_6memory8policies11unroll_baseILi256ESt5arrayIPcLm2EE23TrivialOffsetCalculatorILi1EjESF_NS8_15LoadWithoutCastENS8_16StoreWithoutCastELi4ELi1EEEEEvT0_T1_@rel32@lo+4
	s_addc_u32 s5, s5, _ZN2at6native25elementwise_kernel_helperILb0EZZZNS0_12_GLOBAL__N_137scaled_modified_bessel_k1_kernel_cudaERNS_18TensorIteratorBaseEENKUlvE_clEvENKUlvE0_clEvEUlfE_NS0_6memory8policies11unroll_baseILi256ESt5arrayIPcLm2EE23TrivialOffsetCalculatorILi1EjESF_NS8_15LoadWithoutCastENS8_16StoreWithoutCastELi4ELi1EEEEEvT0_T1_@rel32@hi+12
	v_mov_b32_e32 v31, v0
	s_mov_b32 s12, s15
	s_mov_b32 s32, 0
	s_waitcnt lgkmcnt(0)
	s_sub_i32 s6, s6, s7
	v_dual_mov_b32 v0, s0 :: v_dual_mov_b32 v1, s1
	v_dual_mov_b32 v2, s2 :: v_dual_mov_b32 v3, s3
	v_mov_b32_e32 v4, s6
	s_swappc_b64 s[30:31], s[4:5]
	s_endpgm
	.section	.rodata,"a",@progbits
	.p2align	6, 0x0
	.amdhsa_kernel _ZN2at6native27unrolled_elementwise_kernelIZZZNS0_12_GLOBAL__N_137scaled_modified_bessel_k1_kernel_cudaERNS_18TensorIteratorBaseEENKUlvE_clEvENKUlvE0_clEvEUlfE_St5arrayIPcLm2EELi4E23TrivialOffsetCalculatorILi1EjESC_NS0_6memory15LoadWithoutCastENSD_16StoreWithoutCastEEEviT_T0_T2_T3_T4_T5_
		.amdhsa_group_segment_fixed_size 0
		.amdhsa_private_segment_fixed_size 0
		.amdhsa_kernarg_size 28
		.amdhsa_user_sgpr_count 15
		.amdhsa_user_sgpr_dispatch_ptr 0
		.amdhsa_user_sgpr_queue_ptr 0
		.amdhsa_user_sgpr_kernarg_segment_ptr 1
		.amdhsa_user_sgpr_dispatch_id 0
		.amdhsa_user_sgpr_private_segment_size 0
		.amdhsa_wavefront_size32 1
		.amdhsa_uses_dynamic_stack 0
		.amdhsa_enable_private_segment 0
		.amdhsa_system_sgpr_workgroup_id_x 1
		.amdhsa_system_sgpr_workgroup_id_y 0
		.amdhsa_system_sgpr_workgroup_id_z 0
		.amdhsa_system_sgpr_workgroup_info 0
		.amdhsa_system_vgpr_workitem_id 0
		.amdhsa_next_free_vgpr 32
		.amdhsa_next_free_sgpr 33
		.amdhsa_reserve_vcc 1
		.amdhsa_float_round_mode_32 0
		.amdhsa_float_round_mode_16_64 0
		.amdhsa_float_denorm_mode_32 3
		.amdhsa_float_denorm_mode_16_64 3
		.amdhsa_dx10_clamp 1
		.amdhsa_ieee_mode 1
		.amdhsa_fp16_overflow 0
		.amdhsa_workgroup_processor_mode 1
		.amdhsa_memory_ordered 1
		.amdhsa_forward_progress 0
		.amdhsa_shared_vgpr_count 0
		.amdhsa_exception_fp_ieee_invalid_op 0
		.amdhsa_exception_fp_denorm_src 0
		.amdhsa_exception_fp_ieee_div_zero 0
		.amdhsa_exception_fp_ieee_overflow 0
		.amdhsa_exception_fp_ieee_underflow 0
		.amdhsa_exception_fp_ieee_inexact 0
		.amdhsa_exception_int_div_zero 0
	.end_amdhsa_kernel
	.section	.text._ZN2at6native27unrolled_elementwise_kernelIZZZNS0_12_GLOBAL__N_137scaled_modified_bessel_k1_kernel_cudaERNS_18TensorIteratorBaseEENKUlvE_clEvENKUlvE0_clEvEUlfE_St5arrayIPcLm2EELi4E23TrivialOffsetCalculatorILi1EjESC_NS0_6memory15LoadWithoutCastENSD_16StoreWithoutCastEEEviT_T0_T2_T3_T4_T5_,"axG",@progbits,_ZN2at6native27unrolled_elementwise_kernelIZZZNS0_12_GLOBAL__N_137scaled_modified_bessel_k1_kernel_cudaERNS_18TensorIteratorBaseEENKUlvE_clEvENKUlvE0_clEvEUlfE_St5arrayIPcLm2EELi4E23TrivialOffsetCalculatorILi1EjESC_NS0_6memory15LoadWithoutCastENSD_16StoreWithoutCastEEEviT_T0_T2_T3_T4_T5_,comdat
.Lfunc_end18:
	.size	_ZN2at6native27unrolled_elementwise_kernelIZZZNS0_12_GLOBAL__N_137scaled_modified_bessel_k1_kernel_cudaERNS_18TensorIteratorBaseEENKUlvE_clEvENKUlvE0_clEvEUlfE_St5arrayIPcLm2EELi4E23TrivialOffsetCalculatorILi1EjESC_NS0_6memory15LoadWithoutCastENSD_16StoreWithoutCastEEEviT_T0_T2_T3_T4_T5_, .Lfunc_end18-_ZN2at6native27unrolled_elementwise_kernelIZZZNS0_12_GLOBAL__N_137scaled_modified_bessel_k1_kernel_cudaERNS_18TensorIteratorBaseEENKUlvE_clEvENKUlvE0_clEvEUlfE_St5arrayIPcLm2EELi4E23TrivialOffsetCalculatorILi1EjESC_NS0_6memory15LoadWithoutCastENSD_16StoreWithoutCastEEEviT_T0_T2_T3_T4_T5_
                                        ; -- End function
	.section	.AMDGPU.csdata,"",@progbits
; Kernel info:
; codeLenInByte = 92
; NumSgprs: 35
; NumVgprs: 32
; ScratchSize: 0
; MemoryBound: 0
; FloatMode: 240
; IeeeMode: 1
; LDSByteSize: 0 bytes/workgroup (compile time only)
; SGPRBlocks: 4
; VGPRBlocks: 3
; NumSGPRsForWavesPerEU: 35
; NumVGPRsForWavesPerEU: 32
; Occupancy: 16
; WaveLimiterHint : 0
; COMPUTE_PGM_RSRC2:SCRATCH_EN: 0
; COMPUTE_PGM_RSRC2:USER_SGPR: 15
; COMPUTE_PGM_RSRC2:TRAP_HANDLER: 0
; COMPUTE_PGM_RSRC2:TGID_X_EN: 1
; COMPUTE_PGM_RSRC2:TGID_Y_EN: 0
; COMPUTE_PGM_RSRC2:TGID_Z_EN: 0
; COMPUTE_PGM_RSRC2:TIDIG_COMP_CNT: 0
	.section	.text._ZN2at6native32elementwise_kernel_manual_unrollILi128ELi4EZNS0_22gpu_kernel_impl_nocastIZZZNS0_12_GLOBAL__N_137scaled_modified_bessel_k1_kernel_cudaERNS_18TensorIteratorBaseEENKUlvE_clEvENKUlvE0_clEvEUlfE_EEvS5_RKT_EUlibE_EEviT1_,"axG",@progbits,_ZN2at6native32elementwise_kernel_manual_unrollILi128ELi4EZNS0_22gpu_kernel_impl_nocastIZZZNS0_12_GLOBAL__N_137scaled_modified_bessel_k1_kernel_cudaERNS_18TensorIteratorBaseEENKUlvE_clEvENKUlvE0_clEvEUlfE_EEvS5_RKT_EUlibE_EEviT1_,comdat
	.globl	_ZN2at6native32elementwise_kernel_manual_unrollILi128ELi4EZNS0_22gpu_kernel_impl_nocastIZZZNS0_12_GLOBAL__N_137scaled_modified_bessel_k1_kernel_cudaERNS_18TensorIteratorBaseEENKUlvE_clEvENKUlvE0_clEvEUlfE_EEvS5_RKT_EUlibE_EEviT1_ ; -- Begin function _ZN2at6native32elementwise_kernel_manual_unrollILi128ELi4EZNS0_22gpu_kernel_impl_nocastIZZZNS0_12_GLOBAL__N_137scaled_modified_bessel_k1_kernel_cudaERNS_18TensorIteratorBaseEENKUlvE_clEvENKUlvE0_clEvEUlfE_EEvS5_RKT_EUlibE_EEviT1_
	.p2align	8
	.type	_ZN2at6native32elementwise_kernel_manual_unrollILi128ELi4EZNS0_22gpu_kernel_impl_nocastIZZZNS0_12_GLOBAL__N_137scaled_modified_bessel_k1_kernel_cudaERNS_18TensorIteratorBaseEENKUlvE_clEvENKUlvE0_clEvEUlfE_EEvS5_RKT_EUlibE_EEviT1_,@function
_ZN2at6native32elementwise_kernel_manual_unrollILi128ELi4EZNS0_22gpu_kernel_impl_nocastIZZZNS0_12_GLOBAL__N_137scaled_modified_bessel_k1_kernel_cudaERNS_18TensorIteratorBaseEENKUlvE_clEvENKUlvE0_clEvEUlfE_EEvS5_RKT_EUlibE_EEviT1_: ; @_ZN2at6native32elementwise_kernel_manual_unrollILi128ELi4EZNS0_22gpu_kernel_impl_nocastIZZZNS0_12_GLOBAL__N_137scaled_modified_bessel_k1_kernel_cudaERNS_18TensorIteratorBaseEENKUlvE_clEvENKUlvE0_clEvEUlfE_EEvS5_RKT_EUlibE_EEviT1_
; %bb.0:
	s_clause 0x1
	s_load_b32 s22, s[0:1], 0x8
	s_load_b32 s27, s[0:1], 0x0
	v_lshl_or_b32 v2, s15, 9, v0
	s_or_b32 s0, s0, 8
	s_mov_b32 s2, exec_lo
	s_delay_alu instid0(VALU_DEP_1) | instskip(SKIP_2) | instid1(SALU_CYCLE_1)
	v_or_b32_e32 v8, 0x180, v2
	s_waitcnt lgkmcnt(0)
	s_add_i32 s23, s22, -1
	s_cmp_gt_u32 s23, 1
	s_cselect_b32 s24, -1, 0
	v_cmpx_le_i32_e64 s27, v8
	s_xor_b32 s25, exec_lo, s2
	s_cbranch_execz .LBB19_7
; %bb.1:
	s_clause 0x3
	s_load_b128 s[12:15], s[0:1], 0x4
	s_load_b64 s[16:17], s[0:1], 0x14
	s_load_b128 s[8:11], s[0:1], 0xc4
	s_load_b128 s[4:7], s[0:1], 0x148
	s_cmp_lg_u32 s22, 0
	s_mov_b32 s30, exec_lo
	s_cselect_b32 s29, -1, 0
	s_add_u32 s18, s0, 0xc4
	s_addc_u32 s19, s1, 0
	s_min_u32 s28, s23, 15
	s_cmp_gt_u32 s22, 1
	s_cselect_b32 s26, -1, 0
	v_cmpx_gt_i32_e64 s27, v2
	s_cbranch_execz .LBB19_14
; %bb.2:
	s_and_not1_b32 vcc_lo, exec_lo, s24
	s_cbranch_vccnz .LBB19_21
; %bb.3:
	v_dual_mov_b32 v0, 0 :: v_dual_mov_b32 v1, 0
	s_and_not1_b32 vcc_lo, exec_lo, s29
	s_mov_b32 s31, 0
	s_cbranch_vccnz .LBB19_121
; %bb.4:
	v_mov_b32_e32 v0, 0
	s_add_i32 s34, s28, 1
	s_cmp_eq_u32 s23, 2
	s_mov_b32 s33, 0
	s_cbranch_scc1 .LBB19_117
; %bb.5:
	v_dual_mov_b32 v1, 0 :: v_dual_mov_b32 v0, 0
	v_mov_b32_e32 v3, v2
	s_and_b32 s33, s34, 28
	s_mov_b32 s35, 0
	s_mov_b64 s[2:3], s[18:19]
	s_mov_b64 s[20:21], s[0:1]
.LBB19_6:                               ; =>This Inner Loop Header: Depth=1
	s_clause 0x1
	s_load_b256 s[36:43], s[20:21], 0x4
	s_load_b128 s[52:55], s[20:21], 0x24
	s_load_b256 s[44:51], s[2:3], 0x0
	s_add_u32 s20, s20, 48
	s_addc_u32 s21, s21, 0
	s_add_i32 s35, s35, 4
	s_add_u32 s2, s2, 32
	s_addc_u32 s3, s3, 0
	s_cmp_lg_u32 s33, s35
	s_waitcnt lgkmcnt(0)
	v_mul_hi_u32 v4, s37, v3
	s_delay_alu instid0(VALU_DEP_1) | instskip(NEXT) | instid1(VALU_DEP_1)
	v_add_nc_u32_e32 v4, v3, v4
	v_lshrrev_b32_e32 v4, s38, v4
	s_delay_alu instid0(VALU_DEP_1) | instskip(SKIP_1) | instid1(VALU_DEP_2)
	v_mul_hi_u32 v5, s40, v4
	v_mul_lo_u32 v7, v4, s36
	v_add_nc_u32_e32 v5, v4, v5
	s_delay_alu instid0(VALU_DEP_2) | instskip(NEXT) | instid1(VALU_DEP_2)
	v_sub_nc_u32_e32 v3, v3, v7
	v_lshrrev_b32_e32 v5, s41, v5
	s_delay_alu instid0(VALU_DEP_2) | instskip(SKIP_1) | instid1(VALU_DEP_3)
	v_mul_lo_u32 v7, v3, s44
	v_mul_lo_u32 v9, v3, s45
	v_mul_hi_u32 v6, s43, v5
	s_delay_alu instid0(VALU_DEP_1) | instskip(NEXT) | instid1(VALU_DEP_1)
	v_add_nc_u32_e32 v6, v5, v6
	v_lshrrev_b32_e32 v6, s52, v6
	s_delay_alu instid0(VALU_DEP_1) | instskip(SKIP_1) | instid1(VALU_DEP_2)
	v_mul_hi_u32 v8, s54, v6
	v_mul_lo_u32 v10, v6, s42
	v_add_nc_u32_e32 v3, v6, v8
	v_mul_lo_u32 v8, v5, s39
	s_delay_alu instid0(VALU_DEP_3) | instskip(NEXT) | instid1(VALU_DEP_3)
	v_sub_nc_u32_e32 v5, v5, v10
	v_lshrrev_b32_e32 v3, s55, v3
	s_delay_alu instid0(VALU_DEP_2) | instskip(SKIP_2) | instid1(VALU_DEP_4)
	v_mul_lo_u32 v10, v5, s48
	v_mul_lo_u32 v5, v5, s49
	v_sub_nc_u32_e32 v4, v4, v8
	v_mul_lo_u32 v11, v3, s53
	s_delay_alu instid0(VALU_DEP_2) | instskip(SKIP_1) | instid1(VALU_DEP_3)
	v_mul_lo_u32 v8, v4, s46
	v_mul_lo_u32 v4, v4, s47
	v_sub_nc_u32_e32 v6, v6, v11
	s_delay_alu instid0(VALU_DEP_3) | instskip(NEXT) | instid1(VALU_DEP_2)
	v_add3_u32 v0, v7, v0, v8
	v_mul_lo_u32 v11, v6, s50
	v_mul_lo_u32 v6, v6, s51
	v_add3_u32 v1, v9, v1, v4
	s_delay_alu instid0(VALU_DEP_3) | instskip(NEXT) | instid1(VALU_DEP_2)
	v_add3_u32 v0, v10, v0, v11
	v_add3_u32 v1, v5, v1, v6
	s_cbranch_scc1 .LBB19_6
	s_branch .LBB19_118
.LBB19_7:
	s_and_not1_saveexec_b32 s2, s25
	s_cbranch_execz .LBB19_166
.LBB19_8:
	v_cndmask_b32_e64 v3, 0, 1, s24
	s_and_not1_b32 vcc_lo, exec_lo, s24
	s_cbranch_vccnz .LBB19_20
; %bb.9:
	v_dual_mov_b32 v0, 0 :: v_dual_mov_b32 v7, 0
	s_cmp_lg_u32 s22, 0
	s_waitcnt lgkmcnt(0)
	s_mov_b32 s6, 0
	s_cbranch_scc0 .LBB19_26
; %bb.10:
	s_min_u32 s7, s23, 15
	v_mov_b32_e32 v0, 0
	s_add_i32 s7, s7, 1
	s_cmp_eq_u32 s23, 2
	s_mov_b32 s8, 0
	s_cbranch_scc1 .LBB19_23
; %bb.11:
	v_dual_mov_b32 v7, 0 :: v_dual_mov_b32 v0, 0
	v_mov_b32_e32 v1, v2
	s_add_u32 s2, s0, 0xc4
	s_addc_u32 s3, s1, 0
	s_and_b32 s8, s7, 28
	s_mov_b32 s9, 0
	s_mov_b64 s[4:5], s[0:1]
.LBB19_12:                              ; =>This Inner Loop Header: Depth=1
	s_clause 0x1
	s_load_b256 s[12:19], s[4:5], 0x4
	s_load_b128 s[36:39], s[4:5], 0x24
	s_load_b256 s[24:31], s[2:3], 0x0
	s_add_u32 s4, s4, 48
	s_addc_u32 s5, s5, 0
	s_add_i32 s9, s9, 4
	s_add_u32 s2, s2, 32
	s_addc_u32 s3, s3, 0
	s_cmp_lg_u32 s8, s9
	s_waitcnt lgkmcnt(0)
	v_mul_hi_u32 v4, s13, v1
	s_delay_alu instid0(VALU_DEP_1) | instskip(NEXT) | instid1(VALU_DEP_1)
	v_add_nc_u32_e32 v4, v1, v4
	v_lshrrev_b32_e32 v4, s14, v4
	s_delay_alu instid0(VALU_DEP_1) | instskip(SKIP_1) | instid1(VALU_DEP_2)
	v_mul_hi_u32 v5, s16, v4
	v_mul_lo_u32 v9, v4, s12
	v_add_nc_u32_e32 v5, v4, v5
	s_delay_alu instid0(VALU_DEP_2) | instskip(NEXT) | instid1(VALU_DEP_2)
	v_sub_nc_u32_e32 v1, v1, v9
	v_lshrrev_b32_e32 v5, s17, v5
	s_delay_alu instid0(VALU_DEP_2) | instskip(SKIP_1) | instid1(VALU_DEP_3)
	v_mul_lo_u32 v9, v1, s24
	v_mul_lo_u32 v11, v1, s25
	v_mul_hi_u32 v6, s19, v5
	s_delay_alu instid0(VALU_DEP_1) | instskip(NEXT) | instid1(VALU_DEP_1)
	v_add_nc_u32_e32 v6, v5, v6
	v_lshrrev_b32_e32 v6, s36, v6
	s_delay_alu instid0(VALU_DEP_1) | instskip(SKIP_1) | instid1(VALU_DEP_2)
	v_mul_hi_u32 v10, s38, v6
	v_mul_lo_u32 v12, v6, s18
	v_add_nc_u32_e32 v1, v6, v10
	v_mul_lo_u32 v10, v5, s15
	s_delay_alu instid0(VALU_DEP_3) | instskip(NEXT) | instid1(VALU_DEP_3)
	v_sub_nc_u32_e32 v5, v5, v12
	v_lshrrev_b32_e32 v1, s39, v1
	s_delay_alu instid0(VALU_DEP_2) | instskip(SKIP_2) | instid1(VALU_DEP_4)
	v_mul_lo_u32 v12, v5, s28
	v_mul_lo_u32 v5, v5, s29
	v_sub_nc_u32_e32 v4, v4, v10
	v_mul_lo_u32 v13, v1, s37
	s_delay_alu instid0(VALU_DEP_2) | instskip(SKIP_1) | instid1(VALU_DEP_3)
	v_mul_lo_u32 v10, v4, s26
	v_mul_lo_u32 v4, v4, s27
	v_sub_nc_u32_e32 v6, v6, v13
	s_delay_alu instid0(VALU_DEP_3) | instskip(NEXT) | instid1(VALU_DEP_2)
	v_add3_u32 v0, v9, v0, v10
	v_mul_lo_u32 v13, v6, s30
	v_mul_lo_u32 v6, v6, s31
	v_add3_u32 v4, v11, v7, v4
	s_delay_alu instid0(VALU_DEP_3) | instskip(NEXT) | instid1(VALU_DEP_2)
	v_add3_u32 v0, v12, v0, v13
	v_add3_u32 v7, v5, v4, v6
	s_cbranch_scc1 .LBB19_12
; %bb.13:
	s_and_b32 s7, s7, 3
	s_delay_alu instid0(SALU_CYCLE_1)
	s_cmp_eq_u32 s7, 0
	s_cbranch_scc0 .LBB19_24
	s_branch .LBB19_26
.LBB19_14:
	s_or_b32 exec_lo, exec_lo, s30
	s_delay_alu instid0(SALU_CYCLE_1)
	s_mov_b32 s30, exec_lo
	v_cmpx_gt_i32_e64 s27, v2
	s_cbranch_execz .LBB19_137
.LBB19_15:
	s_and_not1_b32 vcc_lo, exec_lo, s24
	s_cbranch_vccnz .LBB19_22
; %bb.16:
	v_dual_mov_b32 v0, 0 :: v_dual_mov_b32 v1, 0
	s_and_not1_b32 vcc_lo, exec_lo, s29
	s_mov_b32 s31, 0
	s_cbranch_vccnz .LBB19_148
; %bb.17:
	v_mov_b32_e32 v0, 0
	s_add_i32 s34, s28, 1
	s_cmp_eq_u32 s23, 2
	s_mov_b32 s33, 0
	s_cbranch_scc1 .LBB19_144
; %bb.18:
	v_dual_mov_b32 v1, 0 :: v_dual_mov_b32 v0, 0
	v_mov_b32_e32 v3, v2
	s_and_b32 s33, s34, 28
	s_mov_b32 s35, 0
	s_mov_b64 s[2:3], s[18:19]
	s_mov_b64 s[20:21], s[0:1]
.LBB19_19:                              ; =>This Inner Loop Header: Depth=1
	s_clause 0x1
	s_load_b256 s[36:43], s[20:21], 0x4
	s_load_b128 s[52:55], s[20:21], 0x24
	s_load_b256 s[44:51], s[2:3], 0x0
	s_add_u32 s20, s20, 48
	s_addc_u32 s21, s21, 0
	s_add_i32 s35, s35, 4
	s_add_u32 s2, s2, 32
	s_addc_u32 s3, s3, 0
	s_cmp_eq_u32 s33, s35
	s_waitcnt lgkmcnt(0)
	v_mul_hi_u32 v4, s37, v3
	s_delay_alu instid0(VALU_DEP_1) | instskip(NEXT) | instid1(VALU_DEP_1)
	v_add_nc_u32_e32 v4, v3, v4
	v_lshrrev_b32_e32 v4, s38, v4
	s_delay_alu instid0(VALU_DEP_1) | instskip(SKIP_1) | instid1(VALU_DEP_2)
	v_mul_hi_u32 v5, s40, v4
	v_mul_lo_u32 v7, v4, s36
	v_add_nc_u32_e32 v5, v4, v5
	s_delay_alu instid0(VALU_DEP_2) | instskip(NEXT) | instid1(VALU_DEP_2)
	v_sub_nc_u32_e32 v3, v3, v7
	v_lshrrev_b32_e32 v5, s41, v5
	s_delay_alu instid0(VALU_DEP_2) | instskip(SKIP_1) | instid1(VALU_DEP_3)
	v_mul_lo_u32 v7, v3, s44
	v_mul_lo_u32 v9, v3, s45
	v_mul_hi_u32 v6, s43, v5
	s_delay_alu instid0(VALU_DEP_1) | instskip(NEXT) | instid1(VALU_DEP_1)
	v_add_nc_u32_e32 v6, v5, v6
	v_lshrrev_b32_e32 v6, s52, v6
	s_delay_alu instid0(VALU_DEP_1) | instskip(SKIP_1) | instid1(VALU_DEP_2)
	v_mul_hi_u32 v8, s54, v6
	v_mul_lo_u32 v10, v6, s42
	v_add_nc_u32_e32 v3, v6, v8
	v_mul_lo_u32 v8, v5, s39
	s_delay_alu instid0(VALU_DEP_3) | instskip(NEXT) | instid1(VALU_DEP_3)
	v_sub_nc_u32_e32 v5, v5, v10
	v_lshrrev_b32_e32 v3, s55, v3
	s_delay_alu instid0(VALU_DEP_2) | instskip(SKIP_2) | instid1(VALU_DEP_4)
	v_mul_lo_u32 v10, v5, s48
	v_mul_lo_u32 v5, v5, s49
	v_sub_nc_u32_e32 v4, v4, v8
	v_mul_lo_u32 v11, v3, s53
	s_delay_alu instid0(VALU_DEP_2) | instskip(SKIP_1) | instid1(VALU_DEP_3)
	v_mul_lo_u32 v8, v4, s46
	v_mul_lo_u32 v4, v4, s47
	v_sub_nc_u32_e32 v6, v6, v11
	s_delay_alu instid0(VALU_DEP_3) | instskip(NEXT) | instid1(VALU_DEP_2)
	v_add3_u32 v0, v7, v0, v8
	v_mul_lo_u32 v11, v6, s50
	v_mul_lo_u32 v6, v6, s51
	v_add3_u32 v1, v9, v1, v4
	s_delay_alu instid0(VALU_DEP_3) | instskip(NEXT) | instid1(VALU_DEP_2)
	v_add3_u32 v0, v10, v0, v11
	v_add3_u32 v1, v5, v1, v6
	s_cbranch_scc0 .LBB19_19
	s_branch .LBB19_145
.LBB19_20:
	s_waitcnt lgkmcnt(0)
	s_mov_b32 s6, -1
                                        ; implicit-def: $vgpr0
                                        ; implicit-def: $vgpr7
	s_branch .LBB19_26
.LBB19_21:
	s_mov_b32 s31, -1
                                        ; implicit-def: $vgpr0
                                        ; implicit-def: $vgpr1
	s_branch .LBB19_121
.LBB19_22:
	s_mov_b32 s31, -1
                                        ; implicit-def: $vgpr0
                                        ; implicit-def: $vgpr1
	s_branch .LBB19_148
.LBB19_23:
	v_mov_b32_e32 v1, v2
	v_mov_b32_e32 v7, 0
	s_and_b32 s7, s7, 3
	s_delay_alu instid0(SALU_CYCLE_1)
	s_cmp_eq_u32 s7, 0
	s_cbranch_scc1 .LBB19_26
.LBB19_24:
	s_lshl_b32 s2, s8, 3
	s_mul_i32 s4, s8, 12
	s_add_u32 s2, s2, s0
	s_addc_u32 s3, 0, s1
	s_add_u32 s2, s2, 0xc4
	s_addc_u32 s3, s3, 0
	;; [unrolled: 2-line block ×3, first 2 shown]
	.p2align	6
.LBB19_25:                              ; =>This Inner Loop Header: Depth=1
	s_clause 0x1
	s_load_b64 s[8:9], s[4:5], 0x4
	s_load_b32 s12, s[4:5], 0xc
	s_load_b64 s[10:11], s[2:3], 0x0
	s_add_u32 s4, s4, 12
	s_addc_u32 s5, s5, 0
	s_add_u32 s2, s2, 8
	s_addc_u32 s3, s3, 0
	s_add_i32 s7, s7, -1
	s_delay_alu instid0(SALU_CYCLE_1) | instskip(SKIP_2) | instid1(VALU_DEP_1)
	s_cmp_lg_u32 s7, 0
	s_waitcnt lgkmcnt(0)
	v_mul_hi_u32 v4, s9, v1
	v_add_nc_u32_e32 v4, v1, v4
	s_delay_alu instid0(VALU_DEP_1) | instskip(NEXT) | instid1(VALU_DEP_1)
	v_lshrrev_b32_e32 v9, s12, v4
	v_mul_lo_u32 v4, v9, s8
	s_delay_alu instid0(VALU_DEP_1) | instskip(NEXT) | instid1(VALU_DEP_1)
	v_sub_nc_u32_e32 v1, v1, v4
	v_mad_u64_u32 v[4:5], null, v1, s10, v[0:1]
	v_mad_u64_u32 v[5:6], null, v1, s11, v[7:8]
	s_delay_alu instid0(VALU_DEP_2) | instskip(NEXT) | instid1(VALU_DEP_2)
	v_dual_mov_b32 v1, v9 :: v_dual_mov_b32 v0, v4
	v_mov_b32_e32 v7, v5
	s_cbranch_scc1 .LBB19_25
.LBB19_26:
	s_and_not1_b32 vcc_lo, exec_lo, s6
	s_cbranch_vccnz .LBB19_29
; %bb.27:
	s_clause 0x1
	s_load_b128 s[4:7], s[0:1], 0x4
	s_load_b64 s[2:3], s[0:1], 0xc4
	s_cmp_lt_u32 s22, 2
	s_waitcnt lgkmcnt(0)
	v_mul_hi_u32 v0, s5, v2
	s_delay_alu instid0(VALU_DEP_1) | instskip(NEXT) | instid1(VALU_DEP_1)
	v_add_nc_u32_e32 v0, v2, v0
	v_lshrrev_b32_e32 v1, s6, v0
	s_delay_alu instid0(VALU_DEP_1) | instskip(NEXT) | instid1(VALU_DEP_1)
	v_mul_lo_u32 v0, v1, s4
	v_sub_nc_u32_e32 v4, v2, v0
	s_delay_alu instid0(VALU_DEP_1)
	v_mul_lo_u32 v0, v4, s2
	v_mul_lo_u32 v7, v4, s3
	s_cbranch_scc1 .LBB19_29
; %bb.28:
	s_clause 0x1
	s_load_b128 s[4:7], s[0:1], 0x10
	s_load_b64 s[2:3], s[0:1], 0xcc
	s_waitcnt lgkmcnt(0)
	v_mul_hi_u32 v4, s5, v1
	s_delay_alu instid0(VALU_DEP_1) | instskip(NEXT) | instid1(VALU_DEP_1)
	v_add_nc_u32_e32 v4, v1, v4
	v_lshrrev_b32_e32 v4, s6, v4
	s_delay_alu instid0(VALU_DEP_1) | instskip(NEXT) | instid1(VALU_DEP_1)
	v_mul_lo_u32 v4, v4, s4
	v_sub_nc_u32_e32 v1, v1, v4
	s_delay_alu instid0(VALU_DEP_1) | instskip(SKIP_1) | instid1(VALU_DEP_1)
	v_mad_u64_u32 v[4:5], null, v1, s2, v[0:1]
	v_mad_u64_u32 v[5:6], null, v1, s3, v[7:8]
	v_dual_mov_b32 v0, v4 :: v_dual_mov_b32 v7, v5
.LBB19_29:
	v_cmp_ne_u32_e32 vcc_lo, 1, v3
	v_add_nc_u32_e32 v4, 0x80, v2
	s_cbranch_vccnz .LBB19_35
; %bb.30:
	v_dual_mov_b32 v1, 0 :: v_dual_mov_b32 v6, 0
	s_cmp_lg_u32 s22, 0
	s_mov_b32 s6, 0
	s_cbranch_scc0 .LBB19_39
; %bb.31:
	s_min_u32 s7, s23, 15
	v_mov_b32_e32 v1, 0
	s_add_i32 s7, s7, 1
	s_cmp_eq_u32 s23, 2
	s_mov_b32 s8, 0
	s_cbranch_scc1 .LBB19_36
; %bb.32:
	v_dual_mov_b32 v6, 0 :: v_dual_mov_b32 v1, 0
	v_mov_b32_e32 v5, v4
	s_add_u32 s2, s0, 0xc4
	s_addc_u32 s3, s1, 0
	s_and_b32 s8, s7, 28
	s_mov_b32 s9, 0
	s_mov_b64 s[4:5], s[0:1]
.LBB19_33:                              ; =>This Inner Loop Header: Depth=1
	s_clause 0x1
	s_load_b256 s[12:19], s[4:5], 0x4
	s_load_b128 s[36:39], s[4:5], 0x24
	s_load_b256 s[24:31], s[2:3], 0x0
	s_add_u32 s4, s4, 48
	s_addc_u32 s5, s5, 0
	s_add_i32 s9, s9, 4
	s_add_u32 s2, s2, 32
	s_addc_u32 s3, s3, 0
	s_cmp_lg_u32 s8, s9
	s_waitcnt lgkmcnt(0)
	v_mul_hi_u32 v9, s13, v5
	s_delay_alu instid0(VALU_DEP_1) | instskip(NEXT) | instid1(VALU_DEP_1)
	v_add_nc_u32_e32 v9, v5, v9
	v_lshrrev_b32_e32 v9, s14, v9
	s_delay_alu instid0(VALU_DEP_1) | instskip(SKIP_1) | instid1(VALU_DEP_2)
	v_mul_hi_u32 v10, s16, v9
	v_mul_lo_u32 v12, v9, s12
	v_add_nc_u32_e32 v10, v9, v10
	s_delay_alu instid0(VALU_DEP_2) | instskip(NEXT) | instid1(VALU_DEP_2)
	v_sub_nc_u32_e32 v5, v5, v12
	v_lshrrev_b32_e32 v10, s17, v10
	s_delay_alu instid0(VALU_DEP_2) | instskip(SKIP_1) | instid1(VALU_DEP_3)
	v_mul_lo_u32 v12, v5, s24
	v_mul_lo_u32 v14, v5, s25
	v_mul_hi_u32 v11, s19, v10
	s_delay_alu instid0(VALU_DEP_1) | instskip(NEXT) | instid1(VALU_DEP_1)
	v_add_nc_u32_e32 v11, v10, v11
	v_lshrrev_b32_e32 v11, s36, v11
	s_delay_alu instid0(VALU_DEP_1) | instskip(SKIP_1) | instid1(VALU_DEP_2)
	v_mul_hi_u32 v13, s38, v11
	v_mul_lo_u32 v15, v11, s18
	v_add_nc_u32_e32 v5, v11, v13
	v_mul_lo_u32 v13, v10, s15
	s_delay_alu instid0(VALU_DEP_3) | instskip(NEXT) | instid1(VALU_DEP_3)
	v_sub_nc_u32_e32 v10, v10, v15
	v_lshrrev_b32_e32 v5, s39, v5
	s_delay_alu instid0(VALU_DEP_2) | instskip(SKIP_2) | instid1(VALU_DEP_4)
	v_mul_lo_u32 v15, v10, s28
	v_mul_lo_u32 v10, v10, s29
	v_sub_nc_u32_e32 v9, v9, v13
	v_mul_lo_u32 v16, v5, s37
	s_delay_alu instid0(VALU_DEP_2) | instskip(SKIP_1) | instid1(VALU_DEP_3)
	v_mul_lo_u32 v13, v9, s26
	v_mul_lo_u32 v9, v9, s27
	v_sub_nc_u32_e32 v11, v11, v16
	s_delay_alu instid0(VALU_DEP_3) | instskip(NEXT) | instid1(VALU_DEP_2)
	v_add3_u32 v1, v12, v1, v13
	v_mul_lo_u32 v16, v11, s30
	v_mul_lo_u32 v11, v11, s31
	v_add3_u32 v6, v14, v6, v9
	s_delay_alu instid0(VALU_DEP_3) | instskip(NEXT) | instid1(VALU_DEP_2)
	v_add3_u32 v1, v15, v1, v16
	v_add3_u32 v6, v10, v6, v11
	s_cbranch_scc1 .LBB19_33
; %bb.34:
	s_and_b32 s7, s7, 3
	s_delay_alu instid0(SALU_CYCLE_1)
	s_cmp_eq_u32 s7, 0
	s_cbranch_scc0 .LBB19_37
	s_branch .LBB19_39
.LBB19_35:
	s_mov_b32 s6, -1
                                        ; implicit-def: $vgpr1
                                        ; implicit-def: $vgpr6
	s_branch .LBB19_39
.LBB19_36:
	v_dual_mov_b32 v5, v4 :: v_dual_mov_b32 v6, 0
	s_and_b32 s7, s7, 3
	s_delay_alu instid0(SALU_CYCLE_1)
	s_cmp_eq_u32 s7, 0
	s_cbranch_scc1 .LBB19_39
.LBB19_37:
	s_lshl_b32 s2, s8, 3
	s_mul_i32 s4, s8, 12
	s_add_u32 s2, s2, s0
	s_addc_u32 s3, 0, s1
	s_add_u32 s2, s2, 0xc4
	s_addc_u32 s3, s3, 0
	;; [unrolled: 2-line block ×3, first 2 shown]
	.p2align	6
.LBB19_38:                              ; =>This Inner Loop Header: Depth=1
	s_clause 0x1
	s_load_b64 s[8:9], s[4:5], 0x4
	s_load_b32 s12, s[4:5], 0xc
	s_load_b64 s[10:11], s[2:3], 0x0
	s_add_u32 s4, s4, 12
	s_addc_u32 s5, s5, 0
	s_add_u32 s2, s2, 8
	s_addc_u32 s3, s3, 0
	s_add_i32 s7, s7, -1
	s_delay_alu instid0(SALU_CYCLE_1) | instskip(SKIP_2) | instid1(VALU_DEP_1)
	s_cmp_lg_u32 s7, 0
	s_waitcnt lgkmcnt(0)
	v_mul_hi_u32 v9, s9, v5
	v_add_nc_u32_e32 v9, v5, v9
	s_delay_alu instid0(VALU_DEP_1) | instskip(NEXT) | instid1(VALU_DEP_1)
	v_lshrrev_b32_e32 v12, s12, v9
	v_mul_lo_u32 v9, v12, s8
	s_delay_alu instid0(VALU_DEP_1) | instskip(NEXT) | instid1(VALU_DEP_1)
	v_sub_nc_u32_e32 v5, v5, v9
	v_mad_u64_u32 v[9:10], null, v5, s10, v[1:2]
	v_mad_u64_u32 v[10:11], null, v5, s11, v[6:7]
	v_mov_b32_e32 v5, v12
	s_delay_alu instid0(VALU_DEP_2)
	v_dual_mov_b32 v1, v9 :: v_dual_mov_b32 v6, v10
	s_cbranch_scc1 .LBB19_38
.LBB19_39:
	s_and_not1_b32 vcc_lo, exec_lo, s6
	s_cbranch_vccnz .LBB19_42
; %bb.40:
	s_clause 0x1
	s_load_b128 s[4:7], s[0:1], 0x4
	s_load_b64 s[2:3], s[0:1], 0xc4
	s_cmp_lt_u32 s22, 2
	s_waitcnt lgkmcnt(0)
	v_mul_hi_u32 v1, s5, v4
	s_delay_alu instid0(VALU_DEP_1) | instskip(NEXT) | instid1(VALU_DEP_1)
	v_add_nc_u32_e32 v1, v4, v1
	v_lshrrev_b32_e32 v5, s6, v1
	s_delay_alu instid0(VALU_DEP_1) | instskip(NEXT) | instid1(VALU_DEP_1)
	v_mul_lo_u32 v1, v5, s4
	v_sub_nc_u32_e32 v4, v4, v1
	s_delay_alu instid0(VALU_DEP_1)
	v_mul_lo_u32 v1, v4, s2
	v_mul_lo_u32 v6, v4, s3
	s_cbranch_scc1 .LBB19_42
; %bb.41:
	s_clause 0x1
	s_load_b128 s[4:7], s[0:1], 0x10
	s_load_b64 s[2:3], s[0:1], 0xcc
	s_waitcnt lgkmcnt(0)
	v_mul_hi_u32 v4, s5, v5
	s_delay_alu instid0(VALU_DEP_1) | instskip(NEXT) | instid1(VALU_DEP_1)
	v_add_nc_u32_e32 v4, v5, v4
	v_lshrrev_b32_e32 v4, s6, v4
	s_delay_alu instid0(VALU_DEP_1) | instskip(NEXT) | instid1(VALU_DEP_1)
	v_mul_lo_u32 v4, v4, s4
	v_sub_nc_u32_e32 v11, v5, v4
	s_delay_alu instid0(VALU_DEP_1) | instskip(SKIP_1) | instid1(VALU_DEP_1)
	v_mad_u64_u32 v[4:5], null, v11, s2, v[1:2]
	v_mad_u64_u32 v[9:10], null, v11, s3, v[6:7]
	v_dual_mov_b32 v1, v4 :: v_dual_mov_b32 v6, v9
.LBB19_42:
	v_cmp_ne_u32_e32 vcc_lo, 1, v3
	v_add_nc_u32_e32 v4, 0x100, v2
	s_cbranch_vccnz .LBB19_48
; %bb.43:
	v_dual_mov_b32 v2, 0 :: v_dual_mov_b32 v5, 0
	s_cmp_lg_u32 s22, 0
	s_mov_b32 s6, 0
	s_cbranch_scc0 .LBB19_52
; %bb.44:
	s_min_u32 s7, s23, 15
	v_mov_b32_e32 v2, 0
	s_add_i32 s7, s7, 1
	s_cmp_eq_u32 s23, 2
	s_mov_b32 s8, 0
	s_cbranch_scc1 .LBB19_49
; %bb.45:
	v_dual_mov_b32 v5, 0 :: v_dual_mov_b32 v2, 0
	v_mov_b32_e32 v9, v4
	s_add_u32 s2, s0, 0xc4
	s_addc_u32 s3, s1, 0
	s_and_b32 s8, s7, 28
	s_mov_b32 s9, 0
	s_mov_b64 s[4:5], s[0:1]
.LBB19_46:                              ; =>This Inner Loop Header: Depth=1
	s_clause 0x1
	s_load_b256 s[12:19], s[4:5], 0x4
	s_load_b128 s[36:39], s[4:5], 0x24
	s_load_b256 s[24:31], s[2:3], 0x0
	s_add_u32 s4, s4, 48
	s_addc_u32 s5, s5, 0
	s_add_i32 s9, s9, 4
	s_add_u32 s2, s2, 32
	s_addc_u32 s3, s3, 0
	s_cmp_lg_u32 s8, s9
	s_waitcnt lgkmcnt(0)
	v_mul_hi_u32 v10, s13, v9
	s_delay_alu instid0(VALU_DEP_1) | instskip(NEXT) | instid1(VALU_DEP_1)
	v_add_nc_u32_e32 v10, v9, v10
	v_lshrrev_b32_e32 v10, s14, v10
	s_delay_alu instid0(VALU_DEP_1) | instskip(SKIP_1) | instid1(VALU_DEP_2)
	v_mul_hi_u32 v11, s16, v10
	v_mul_lo_u32 v13, v10, s12
	v_add_nc_u32_e32 v11, v10, v11
	s_delay_alu instid0(VALU_DEP_2) | instskip(NEXT) | instid1(VALU_DEP_2)
	v_sub_nc_u32_e32 v9, v9, v13
	v_lshrrev_b32_e32 v11, s17, v11
	s_delay_alu instid0(VALU_DEP_2) | instskip(SKIP_1) | instid1(VALU_DEP_3)
	v_mul_lo_u32 v13, v9, s24
	v_mul_lo_u32 v15, v9, s25
	v_mul_hi_u32 v12, s19, v11
	s_delay_alu instid0(VALU_DEP_1) | instskip(NEXT) | instid1(VALU_DEP_1)
	v_add_nc_u32_e32 v12, v11, v12
	v_lshrrev_b32_e32 v12, s36, v12
	s_delay_alu instid0(VALU_DEP_1) | instskip(SKIP_1) | instid1(VALU_DEP_2)
	v_mul_hi_u32 v14, s38, v12
	v_mul_lo_u32 v16, v12, s18
	v_add_nc_u32_e32 v9, v12, v14
	v_mul_lo_u32 v14, v11, s15
	s_delay_alu instid0(VALU_DEP_3) | instskip(NEXT) | instid1(VALU_DEP_3)
	v_sub_nc_u32_e32 v11, v11, v16
	v_lshrrev_b32_e32 v9, s39, v9
	s_delay_alu instid0(VALU_DEP_2) | instskip(SKIP_2) | instid1(VALU_DEP_4)
	v_mul_lo_u32 v16, v11, s28
	v_mul_lo_u32 v11, v11, s29
	v_sub_nc_u32_e32 v10, v10, v14
	v_mul_lo_u32 v17, v9, s37
	s_delay_alu instid0(VALU_DEP_2) | instskip(SKIP_1) | instid1(VALU_DEP_3)
	v_mul_lo_u32 v14, v10, s26
	v_mul_lo_u32 v10, v10, s27
	v_sub_nc_u32_e32 v12, v12, v17
	s_delay_alu instid0(VALU_DEP_3) | instskip(NEXT) | instid1(VALU_DEP_2)
	v_add3_u32 v2, v13, v2, v14
	v_mul_lo_u32 v17, v12, s30
	v_mul_lo_u32 v12, v12, s31
	v_add3_u32 v5, v15, v5, v10
	s_delay_alu instid0(VALU_DEP_3) | instskip(NEXT) | instid1(VALU_DEP_2)
	v_add3_u32 v2, v16, v2, v17
	v_add3_u32 v5, v11, v5, v12
	s_cbranch_scc1 .LBB19_46
; %bb.47:
	s_and_b32 s7, s7, 3
	s_delay_alu instid0(SALU_CYCLE_1)
	s_cmp_eq_u32 s7, 0
	s_cbranch_scc0 .LBB19_50
	s_branch .LBB19_52
.LBB19_48:
	s_mov_b32 s6, -1
                                        ; implicit-def: $vgpr2
                                        ; implicit-def: $vgpr5
	s_branch .LBB19_52
.LBB19_49:
	v_mov_b32_e32 v9, v4
	v_mov_b32_e32 v5, 0
	s_and_b32 s7, s7, 3
	s_delay_alu instid0(SALU_CYCLE_1)
	s_cmp_eq_u32 s7, 0
	s_cbranch_scc1 .LBB19_52
.LBB19_50:
	s_lshl_b32 s2, s8, 3
	s_mul_i32 s4, s8, 12
	s_add_u32 s2, s2, s0
	s_addc_u32 s3, 0, s1
	s_add_u32 s2, s2, 0xc4
	s_addc_u32 s3, s3, 0
	;; [unrolled: 2-line block ×3, first 2 shown]
	.p2align	6
.LBB19_51:                              ; =>This Inner Loop Header: Depth=1
	s_clause 0x1
	s_load_b64 s[8:9], s[4:5], 0x4
	s_load_b32 s12, s[4:5], 0xc
	s_load_b64 s[10:11], s[2:3], 0x0
	s_add_u32 s4, s4, 12
	s_addc_u32 s5, s5, 0
	s_add_u32 s2, s2, 8
	s_addc_u32 s3, s3, 0
	s_add_i32 s7, s7, -1
	s_delay_alu instid0(SALU_CYCLE_1) | instskip(SKIP_2) | instid1(VALU_DEP_1)
	s_cmp_lg_u32 s7, 0
	s_waitcnt lgkmcnt(0)
	v_mul_hi_u32 v10, s9, v9
	v_add_nc_u32_e32 v10, v9, v10
	s_delay_alu instid0(VALU_DEP_1) | instskip(NEXT) | instid1(VALU_DEP_1)
	v_lshrrev_b32_e32 v13, s12, v10
	v_mul_lo_u32 v10, v13, s8
	s_delay_alu instid0(VALU_DEP_1) | instskip(NEXT) | instid1(VALU_DEP_1)
	v_sub_nc_u32_e32 v9, v9, v10
	v_mad_u64_u32 v[10:11], null, v9, s10, v[2:3]
	v_mad_u64_u32 v[11:12], null, v9, s11, v[5:6]
	s_delay_alu instid0(VALU_DEP_2) | instskip(NEXT) | instid1(VALU_DEP_2)
	v_dual_mov_b32 v9, v13 :: v_dual_mov_b32 v2, v10
	v_mov_b32_e32 v5, v11
	s_cbranch_scc1 .LBB19_51
.LBB19_52:
	s_and_not1_b32 vcc_lo, exec_lo, s6
	s_cbranch_vccnz .LBB19_55
; %bb.53:
	s_clause 0x1
	s_load_b128 s[4:7], s[0:1], 0x4
	s_load_b64 s[2:3], s[0:1], 0xc4
	s_cmp_lt_u32 s22, 2
	s_waitcnt lgkmcnt(0)
	v_mul_hi_u32 v2, s5, v4
	s_delay_alu instid0(VALU_DEP_1) | instskip(NEXT) | instid1(VALU_DEP_1)
	v_add_nc_u32_e32 v2, v4, v2
	v_lshrrev_b32_e32 v9, s6, v2
	s_delay_alu instid0(VALU_DEP_1) | instskip(NEXT) | instid1(VALU_DEP_1)
	v_mul_lo_u32 v2, v9, s4
	v_sub_nc_u32_e32 v4, v4, v2
	s_delay_alu instid0(VALU_DEP_1)
	v_mul_lo_u32 v2, v4, s2
	v_mul_lo_u32 v5, v4, s3
	s_cbranch_scc1 .LBB19_55
; %bb.54:
	s_clause 0x1
	s_load_b128 s[4:7], s[0:1], 0x10
	s_load_b64 s[2:3], s[0:1], 0xcc
	s_waitcnt lgkmcnt(0)
	v_mul_hi_u32 v4, s5, v9
	s_delay_alu instid0(VALU_DEP_1) | instskip(NEXT) | instid1(VALU_DEP_1)
	v_add_nc_u32_e32 v4, v9, v4
	v_lshrrev_b32_e32 v4, s6, v4
	s_delay_alu instid0(VALU_DEP_1) | instskip(NEXT) | instid1(VALU_DEP_1)
	v_mul_lo_u32 v4, v4, s4
	v_sub_nc_u32_e32 v4, v9, v4
	s_delay_alu instid0(VALU_DEP_1) | instskip(SKIP_1) | instid1(VALU_DEP_1)
	v_mad_u64_u32 v[9:10], null, v4, s2, v[2:3]
	v_mad_u64_u32 v[10:11], null, v4, s3, v[5:6]
	v_dual_mov_b32 v2, v9 :: v_dual_mov_b32 v5, v10
.LBB19_55:
	v_cmp_ne_u32_e32 vcc_lo, 1, v3
	s_cbranch_vccnz .LBB19_61
; %bb.56:
	v_dual_mov_b32 v3, 0 :: v_dual_mov_b32 v4, 0
	s_cmp_lg_u32 s22, 0
	s_mov_b32 s6, 0
	s_cbranch_scc0 .LBB19_65
; %bb.57:
	s_min_u32 s7, s23, 15
	v_mov_b32_e32 v3, 0
	s_add_i32 s7, s7, 1
	s_cmp_eq_u32 s23, 2
	s_mov_b32 s8, 0
	s_cbranch_scc1 .LBB19_62
; %bb.58:
	v_dual_mov_b32 v4, 0 :: v_dual_mov_b32 v3, 0
	v_mov_b32_e32 v9, v8
	s_add_u32 s2, s0, 0xc4
	s_addc_u32 s3, s1, 0
	s_and_b32 s8, s7, 28
	s_mov_b32 s9, 0
	s_mov_b64 s[4:5], s[0:1]
.LBB19_59:                              ; =>This Inner Loop Header: Depth=1
	s_clause 0x1
	s_load_b256 s[12:19], s[4:5], 0x4
	s_load_b128 s[36:39], s[4:5], 0x24
	s_load_b256 s[24:31], s[2:3], 0x0
	s_add_u32 s4, s4, 48
	s_addc_u32 s5, s5, 0
	s_add_i32 s9, s9, 4
	s_add_u32 s2, s2, 32
	s_addc_u32 s3, s3, 0
	s_cmp_lg_u32 s8, s9
	s_waitcnt lgkmcnt(0)
	v_mul_hi_u32 v10, s13, v9
	s_delay_alu instid0(VALU_DEP_1) | instskip(NEXT) | instid1(VALU_DEP_1)
	v_add_nc_u32_e32 v10, v9, v10
	v_lshrrev_b32_e32 v10, s14, v10
	s_delay_alu instid0(VALU_DEP_1) | instskip(SKIP_1) | instid1(VALU_DEP_2)
	v_mul_hi_u32 v11, s16, v10
	v_mul_lo_u32 v13, v10, s12
	v_add_nc_u32_e32 v11, v10, v11
	s_delay_alu instid0(VALU_DEP_2) | instskip(NEXT) | instid1(VALU_DEP_2)
	v_sub_nc_u32_e32 v9, v9, v13
	v_lshrrev_b32_e32 v11, s17, v11
	s_delay_alu instid0(VALU_DEP_2) | instskip(SKIP_1) | instid1(VALU_DEP_3)
	v_mul_lo_u32 v13, v9, s24
	v_mul_lo_u32 v15, v9, s25
	v_mul_hi_u32 v12, s19, v11
	s_delay_alu instid0(VALU_DEP_1) | instskip(NEXT) | instid1(VALU_DEP_1)
	v_add_nc_u32_e32 v12, v11, v12
	v_lshrrev_b32_e32 v12, s36, v12
	s_delay_alu instid0(VALU_DEP_1) | instskip(SKIP_1) | instid1(VALU_DEP_2)
	v_mul_hi_u32 v14, s38, v12
	v_mul_lo_u32 v16, v12, s18
	v_add_nc_u32_e32 v9, v12, v14
	v_mul_lo_u32 v14, v11, s15
	s_delay_alu instid0(VALU_DEP_3) | instskip(NEXT) | instid1(VALU_DEP_3)
	v_sub_nc_u32_e32 v11, v11, v16
	v_lshrrev_b32_e32 v9, s39, v9
	s_delay_alu instid0(VALU_DEP_2) | instskip(SKIP_2) | instid1(VALU_DEP_4)
	v_mul_lo_u32 v16, v11, s28
	v_mul_lo_u32 v11, v11, s29
	v_sub_nc_u32_e32 v10, v10, v14
	v_mul_lo_u32 v17, v9, s37
	s_delay_alu instid0(VALU_DEP_2) | instskip(SKIP_1) | instid1(VALU_DEP_3)
	v_mul_lo_u32 v14, v10, s26
	v_mul_lo_u32 v10, v10, s27
	v_sub_nc_u32_e32 v12, v12, v17
	s_delay_alu instid0(VALU_DEP_3) | instskip(NEXT) | instid1(VALU_DEP_2)
	v_add3_u32 v3, v13, v3, v14
	v_mul_lo_u32 v17, v12, s30
	v_mul_lo_u32 v12, v12, s31
	v_add3_u32 v4, v15, v4, v10
	s_delay_alu instid0(VALU_DEP_3) | instskip(NEXT) | instid1(VALU_DEP_2)
	v_add3_u32 v3, v16, v3, v17
	v_add3_u32 v4, v11, v4, v12
	s_cbranch_scc1 .LBB19_59
; %bb.60:
	s_and_b32 s7, s7, 3
	s_delay_alu instid0(SALU_CYCLE_1)
	s_cmp_eq_u32 s7, 0
	s_cbranch_scc0 .LBB19_63
	s_branch .LBB19_65
.LBB19_61:
	s_mov_b32 s6, -1
                                        ; implicit-def: $vgpr3
                                        ; implicit-def: $vgpr4
	s_branch .LBB19_65
.LBB19_62:
	v_dual_mov_b32 v9, v8 :: v_dual_mov_b32 v4, 0
	s_and_b32 s7, s7, 3
	s_delay_alu instid0(SALU_CYCLE_1)
	s_cmp_eq_u32 s7, 0
	s_cbranch_scc1 .LBB19_65
.LBB19_63:
	s_lshl_b32 s2, s8, 3
	s_mul_i32 s4, s8, 12
	s_add_u32 s2, s2, s0
	s_addc_u32 s3, 0, s1
	s_add_u32 s2, s2, 0xc4
	s_addc_u32 s3, s3, 0
	;; [unrolled: 2-line block ×3, first 2 shown]
	.p2align	6
.LBB19_64:                              ; =>This Inner Loop Header: Depth=1
	s_clause 0x1
	s_load_b64 s[8:9], s[4:5], 0x4
	s_load_b32 s12, s[4:5], 0xc
	s_load_b64 s[10:11], s[2:3], 0x0
	s_add_u32 s4, s4, 12
	s_addc_u32 s5, s5, 0
	s_add_u32 s2, s2, 8
	s_addc_u32 s3, s3, 0
	s_add_i32 s7, s7, -1
	s_delay_alu instid0(SALU_CYCLE_1) | instskip(SKIP_2) | instid1(VALU_DEP_1)
	s_cmp_lg_u32 s7, 0
	s_waitcnt lgkmcnt(0)
	v_mul_hi_u32 v10, s9, v9
	v_add_nc_u32_e32 v10, v9, v10
	s_delay_alu instid0(VALU_DEP_1) | instskip(NEXT) | instid1(VALU_DEP_1)
	v_lshrrev_b32_e32 v13, s12, v10
	v_mul_lo_u32 v10, v13, s8
	s_delay_alu instid0(VALU_DEP_1) | instskip(NEXT) | instid1(VALU_DEP_1)
	v_sub_nc_u32_e32 v9, v9, v10
	v_mad_u64_u32 v[10:11], null, v9, s10, v[3:4]
	v_mad_u64_u32 v[11:12], null, v9, s11, v[4:5]
	v_mov_b32_e32 v9, v13
	s_delay_alu instid0(VALU_DEP_2)
	v_dual_mov_b32 v3, v10 :: v_dual_mov_b32 v4, v11
	s_cbranch_scc1 .LBB19_64
.LBB19_65:
	s_and_not1_b32 vcc_lo, exec_lo, s6
	s_cbranch_vccnz .LBB19_68
; %bb.66:
	s_clause 0x1
	s_load_b128 s[4:7], s[0:1], 0x4
	s_load_b64 s[2:3], s[0:1], 0xc4
	s_cmp_lt_u32 s22, 2
	s_waitcnt lgkmcnt(0)
	v_mul_hi_u32 v3, s5, v8
	s_delay_alu instid0(VALU_DEP_1) | instskip(NEXT) | instid1(VALU_DEP_1)
	v_add_nc_u32_e32 v3, v8, v3
	v_lshrrev_b32_e32 v9, s6, v3
	s_delay_alu instid0(VALU_DEP_1) | instskip(NEXT) | instid1(VALU_DEP_1)
	v_mul_lo_u32 v3, v9, s4
	v_sub_nc_u32_e32 v4, v8, v3
	s_delay_alu instid0(VALU_DEP_1)
	v_mul_lo_u32 v3, v4, s2
	v_mul_lo_u32 v4, v4, s3
	s_cbranch_scc1 .LBB19_68
; %bb.67:
	s_clause 0x1
	s_load_b128 s[4:7], s[0:1], 0x10
	s_load_b64 s[2:3], s[0:1], 0xcc
	s_waitcnt lgkmcnt(0)
	v_mul_hi_u32 v8, s5, v9
	s_delay_alu instid0(VALU_DEP_1) | instskip(NEXT) | instid1(VALU_DEP_1)
	v_add_nc_u32_e32 v8, v9, v8
	v_lshrrev_b32_e32 v8, s6, v8
	s_delay_alu instid0(VALU_DEP_1) | instskip(NEXT) | instid1(VALU_DEP_1)
	v_mul_lo_u32 v8, v8, s4
	v_sub_nc_u32_e32 v11, v9, v8
	s_delay_alu instid0(VALU_DEP_1) | instskip(SKIP_1) | instid1(VALU_DEP_1)
	v_mad_u64_u32 v[8:9], null, v11, s2, v[3:4]
	v_mad_u64_u32 v[9:10], null, v11, s3, v[4:5]
	v_dual_mov_b32 v3, v8 :: v_dual_mov_b32 v4, v9
.LBB19_68:
	s_load_b128 s[4:7], s[0:1], 0x148
	s_mov_b32 s2, exec_lo
	v_mov_b32_e32 v8, 0x7f800000
	s_waitcnt lgkmcnt(0)
	global_load_b32 v9, v7, s[6:7]
	v_mov_b32_e32 v7, 0x7f800000
	s_waitcnt vmcnt(0)
	v_cmpx_neq_f32_e32 0, v9
	s_cbranch_execz .LBB19_80
; %bb.69:
	v_mov_b32_e32 v8, 0x7fc00000
	s_mov_b32 s3, exec_lo
	v_cmpx_ngt_f32_e32 0, v9
	s_cbranch_execz .LBB19_79
; %bb.70:
                                        ; implicit-def: $vgpr8
	s_mov_b32 s0, exec_lo
	v_cmpx_ge_f32_e32 2.0, v9
	s_xor_b32 s8, exec_lo, s0
	s_cbranch_execz .LBB19_76
; %bb.71:
	v_mul_f32_e32 v8, 0.5, v9
	s_mov_b32 s0, exec_lo
                                        ; implicit-def: $vgpr11
                                        ; implicit-def: $vgpr10
	v_cmpx_ge_f32_e32 0x41000000, v9
	s_xor_b32 s0, exec_lo, s0
	s_cbranch_execz .LBB19_73
; %bb.72:
	v_add_f32_e32 v10, -2.0, v8
	s_mov_b32 s1, 0x224cf950
	v_mul_f32_e32 v13, 0x3fb8aa3b, v9
	v_cmp_ngt_f32_e32 vcc_lo, 0xc2ce8ed0, v9
	s_delay_alu instid0(VALU_DEP_3) | instskip(NEXT) | instid1(VALU_DEP_3)
	v_fmaak_f32 v11, s1, v10, 0xa3c2be86
	v_rndne_f32_e32 v14, v13
	v_fma_f32 v15, 0x3fb8aa3b, v9, -v13
	s_delay_alu instid0(VALU_DEP_2) | instskip(NEXT) | instid1(VALU_DEP_2)
	v_dual_fmaak_f32 v12, v10, v11, 0xa24cf950 :: v_dual_sub_f32 v13, v13, v14
	v_fmamk_f32 v15, v9, 0x32a5705f, v15
	s_delay_alu instid0(VALU_DEP_1) | instskip(NEXT) | instid1(VALU_DEP_1)
	v_dual_add_f32 v12, 0x25331f1f, v12 :: v_dual_add_f32 v13, v13, v15
	v_fma_f32 v11, v10, v12, -v11
	s_delay_alu instid0(VALU_DEP_1) | instskip(NEXT) | instid1(VALU_DEP_1)
	v_add_f32_e32 v11, 0xa69f5554, v11
	v_fma_f32 v12, v10, v11, -v12
	s_delay_alu instid0(VALU_DEP_1) | instskip(NEXT) | instid1(VALU_DEP_1)
	v_add_f32_e32 v12, 0x2808ebf8, v12
	v_fma_f32 v11, v10, v12, -v11
	s_delay_alu instid0(VALU_DEP_1) | instskip(NEXT) | instid1(VALU_DEP_1)
	v_add_f32_e32 v11, 0xa9631471, v11
	v_fma_f32 v12, v10, v11, -v12
	s_delay_alu instid0(VALU_DEP_1) | instskip(NEXT) | instid1(VALU_DEP_1)
	v_add_f32_e32 v12, 0x2ab57bc2, v12
	v_fma_f32 v11, v10, v12, -v11
	s_delay_alu instid0(VALU_DEP_1) | instskip(NEXT) | instid1(VALU_DEP_1)
	v_add_f32_e32 v11, 0xac0b9c1b, v11
	v_fma_f32 v12, v10, v11, -v12
	s_delay_alu instid0(VALU_DEP_1) | instskip(NEXT) | instid1(VALU_DEP_1)
	v_add_f32_e32 v12, 0x2d4e7716, v12
	v_fma_f32 v11, v10, v12, -v11
	s_delay_alu instid0(VALU_DEP_1) | instskip(NEXT) | instid1(VALU_DEP_1)
	v_add_f32_e32 v11, 0xae92881d, v11
	v_fma_f32 v12, v10, v11, -v12
	s_delay_alu instid0(VALU_DEP_1) | instskip(NEXT) | instid1(VALU_DEP_1)
	v_add_f32_e32 v12, 0x2fc751a6, v12
	v_fma_f32 v11, v10, v12, -v11
	s_delay_alu instid0(VALU_DEP_1) | instskip(NEXT) | instid1(VALU_DEP_1)
	v_add_f32_e32 v11, 0xb101b0d9, v11
	v_fma_f32 v12, v10, v11, -v12
	s_delay_alu instid0(VALU_DEP_1) | instskip(NEXT) | instid1(VALU_DEP_1)
	v_add_f32_e32 v12, 0x32212c70, v12
	v_fma_f32 v11, v10, v12, -v11
	s_delay_alu instid0(VALU_DEP_1) | instskip(NEXT) | instid1(VALU_DEP_1)
	v_add_f32_e32 v11, 0xb33ee9f1, v11
	v_fma_f32 v12, v10, v11, -v12
	s_delay_alu instid0(VALU_DEP_1) | instskip(NEXT) | instid1(VALU_DEP_1)
	v_add_f32_e32 v12, 0x34571a26, v12
	v_fma_f32 v11, v10, v12, -v11
	s_delay_alu instid0(VALU_DEP_1) | instskip(NEXT) | instid1(VALU_DEP_1)
	v_add_f32_e32 v11, 0xb56603cc, v11
	v_fma_f32 v12, v10, v11, -v12
	s_delay_alu instid0(VALU_DEP_1) | instskip(NEXT) | instid1(VALU_DEP_1)
	v_add_f32_e32 v12, 0x3668e277, v12
	v_fma_f32 v11, v10, v12, -v11
	s_delay_alu instid0(VALU_DEP_1) | instskip(NEXT) | instid1(VALU_DEP_1)
	v_add_f32_e32 v11, 0xb75eafce, v11
	v_fma_f32 v12, v10, v11, -v12
	s_delay_alu instid0(VALU_DEP_1) | instskip(NEXT) | instid1(VALU_DEP_1)
	v_add_f32_e32 v12, 0x38488daa, v12
	v_fma_f32 v11, v10, v12, -v11
	s_delay_alu instid0(VALU_DEP_1) | instskip(NEXT) | instid1(VALU_DEP_1)
	v_add_f32_e32 v11, 0xb9299e57, v11
	v_fma_f32 v12, v10, v11, -v12
	s_delay_alu instid0(VALU_DEP_1) | instskip(NEXT) | instid1(VALU_DEP_1)
	v_add_f32_e32 v12, 0x3a064aee, v12
	v_fma_f32 v11, v10, v12, -v11
	s_delay_alu instid0(VALU_DEP_1) | instskip(NEXT) | instid1(VALU_DEP_1)
	v_add_f32_e32 v11, 0xbac66310, v11
	v_fma_f32 v12, v10, v11, -v12
	s_delay_alu instid0(VALU_DEP_1) | instskip(NEXT) | instid1(VALU_DEP_1)
	v_add_f32_e32 v12, 0x3b88329a, v12
	v_fma_f32 v11, v10, v12, -v11
	s_delay_alu instid0(VALU_DEP_1) | instskip(NEXT) | instid1(VALU_DEP_1)
	v_add_f32_e32 v11, 0xbc2d14fc, v11
	v_fma_f32 v12, v10, v11, -v12
	s_delay_alu instid0(VALU_DEP_1) | instskip(NEXT) | instid1(VALU_DEP_1)
	v_add_f32_e32 v12, 0x3cca8f1f, v12
	v_fma_f32 v11, v10, v12, -v11
	s_delay_alu instid0(VALU_DEP_1) | instskip(NEXT) | instid1(VALU_DEP_1)
	v_add_f32_e32 v11, 0xbd58dde3, v11
	v_fma_f32 v12, v10, v11, -v12
	s_delay_alu instid0(VALU_DEP_1) | instskip(NEXT) | instid1(VALU_DEP_1)
	v_add_f32_e32 v12, 0x3dd236d7, v12
	v_fma_f32 v11, v10, v12, -v11
	s_delay_alu instid0(VALU_DEP_1) | instskip(NEXT) | instid1(VALU_DEP_1)
	v_add_f32_e32 v11, 0xbe34a688, v11
	v_fma_f32 v10, v10, v11, -v12
	v_exp_f32_e32 v11, v13
	v_cvt_i32_f32_e32 v13, v14
	s_delay_alu instid0(VALU_DEP_2) | instskip(NEXT) | instid1(VALU_DEP_1)
	v_add_f32_e32 v10, 0x3e81531c, v10
	v_sub_f32_e32 v10, v10, v12
	s_waitcnt_depctr 0xfff
	v_ldexp_f32 v11, v11, v13
	s_delay_alu instid0(VALU_DEP_1) | instskip(SKIP_1) | instid1(VALU_DEP_2)
	v_dual_mul_f32 v10, 0.5, v10 :: v_dual_cndmask_b32 v11, 0, v11
	v_cmp_nlt_f32_e32 vcc_lo, 0x42b17218, v9
	v_mul_f32_e32 v12, v9, v10
	s_delay_alu instid0(VALU_DEP_3) | instskip(NEXT) | instid1(VALU_DEP_1)
	v_cndmask_b32_e32 v10, 0x7f800000, v11, vcc_lo
	v_mul_f32_e32 v11, v10, v12
.LBB19_73:
	s_and_not1_saveexec_b32 s1, s0
	s_cbranch_execz .LBB19_75
; %bb.74:
	v_div_scale_f32 v10, null, v9, v9, 0x42000000
	v_div_scale_f32 v13, vcc_lo, 0x42000000, v9, 0x42000000
	s_mov_b32 s0, 0x230aab6e
	s_delay_alu instid0(VALU_DEP_2) | instskip(SKIP_2) | instid1(VALU_DEP_1)
	v_rcp_f32_e32 v11, v10
	s_waitcnt_depctr 0xfff
	v_fma_f32 v12, -v10, v11, 1.0
	v_fmac_f32_e32 v11, v12, v11
	s_delay_alu instid0(VALU_DEP_1) | instskip(NEXT) | instid1(VALU_DEP_1)
	v_mul_f32_e32 v12, v13, v11
	v_fma_f32 v14, -v10, v12, v13
	s_delay_alu instid0(VALU_DEP_1) | instskip(SKIP_1) | instid1(VALU_DEP_2)
	v_fmac_f32_e32 v12, v14, v11
	v_mul_f32_e32 v14, 0x3fb8aa3b, v9
	v_fma_f32 v10, -v10, v12, v13
	v_mul_f32_e32 v13, 0x4f800000, v9
	s_delay_alu instid0(VALU_DEP_3) | instskip(SKIP_1) | instid1(VALU_DEP_4)
	v_rndne_f32_e32 v15, v14
	v_fma_f32 v16, 0x3fb8aa3b, v9, -v14
	v_div_fmas_f32 v10, v10, v11, v12
	v_cmp_gt_f32_e32 vcc_lo, 0xf800000, v9
	s_delay_alu instid0(VALU_DEP_4) | instskip(NEXT) | instid1(VALU_DEP_4)
	v_sub_f32_e32 v14, v14, v15
	v_fmamk_f32 v16, v9, 0x32a5705f, v16
	v_cvt_i32_f32_e32 v15, v15
	v_div_fixup_f32 v10, v10, v9, 0x42000000
	s_delay_alu instid0(VALU_DEP_3) | instskip(NEXT) | instid1(VALU_DEP_2)
	v_dual_cndmask_b32 v13, v9, v13 :: v_dual_add_f32 v14, v14, v16
	v_add_f32_e32 v10, -2.0, v10
	s_delay_alu instid0(VALU_DEP_2) | instskip(NEXT) | instid1(VALU_DEP_2)
	v_sqrt_f32_e32 v17, v13
	v_exp_f32_e32 v14, v14
	s_delay_alu instid0(VALU_DEP_1) | instskip(NEXT) | instid1(VALU_DEP_1)
	v_fmaak_f32 v11, s0, v10, 0x22a2dc57
	v_fmaak_f32 v12, v10, v11, 0xa30aab6e
	s_waitcnt_depctr 0xfff
	v_add_nc_u32_e32 v16, -1, v17
	v_add_nc_u32_e32 v18, 1, v17
	v_add_f32_e32 v12, 0xa456751e, v12
	s_delay_alu instid0(VALU_DEP_3) | instskip(NEXT) | instid1(VALU_DEP_3)
	v_fma_f32 v19, -v16, v17, v13
	v_fma_f32 v20, -v18, v17, v13
	s_delay_alu instid0(VALU_DEP_3) | instskip(NEXT) | instid1(VALU_DEP_3)
	v_fma_f32 v11, v10, v12, -v11
	v_cmp_ge_f32_e64 s0, 0, v19
	s_delay_alu instid0(VALU_DEP_2) | instskip(NEXT) | instid1(VALU_DEP_2)
	v_add_f32_e32 v11, 0xa4140365, v11
	v_cndmask_b32_e64 v16, v17, v16, s0
	v_cmp_lt_f32_e64 s0, 0, v20
	s_delay_alu instid0(VALU_DEP_3) | instskip(NEXT) | instid1(VALU_DEP_1)
	v_fma_f32 v12, v10, v11, -v12
	v_add_f32_e32 v12, 0x25aac8b0, v12
	s_delay_alu instid0(VALU_DEP_1) | instskip(NEXT) | instid1(VALU_DEP_1)
	v_fma_f32 v11, v10, v12, -v11
	v_add_f32_e32 v11, 0x25beb473, v11
	s_delay_alu instid0(VALU_DEP_1) | instskip(NEXT) | instid1(VALU_DEP_1)
	;; [unrolled: 3-line block ×19, first 2 shown]
	v_fma_f32 v11, v10, v12, -v11
	v_add_f32_e32 v11, 0xbc1fed03, v11
	s_delay_alu instid0(VALU_DEP_1) | instskip(SKIP_3) | instid1(VALU_DEP_4)
	v_fma_f32 v10, v10, v11, -v12
	v_ldexp_f32 v11, v14, v15
	v_cndmask_b32_e64 v14, v16, v18, s0
	v_cmp_ngt_f32_e64 s0, 0xc2ce8ed0, v9
	v_add_f32_e32 v10, 0x3f4750c6, v10
	s_delay_alu instid0(VALU_DEP_3) | instskip(NEXT) | instid1(VALU_DEP_3)
	v_mul_f32_e32 v15, 0x37800000, v14
	v_cndmask_b32_e64 v11, 0, v11, s0
	v_cmp_nlt_f32_e64 s0, 0x42b17218, v9
	s_delay_alu instid0(VALU_DEP_4) | instskip(NEXT) | instid1(VALU_DEP_2)
	v_sub_f32_e32 v12, v10, v12
	v_cndmask_b32_e64 v10, 0x7f800000, v11, s0
	s_delay_alu instid0(VALU_DEP_2) | instskip(SKIP_1) | instid1(VALU_DEP_2)
	v_dual_cndmask_b32 v11, v14, v15 :: v_dual_mul_f32 v12, 0.5, v12
	v_cmp_class_f32_e64 vcc_lo, v13, 0x260
	v_dual_mul_f32 v12, v10, v12 :: v_dual_cndmask_b32 v11, v11, v13
	s_delay_alu instid0(VALU_DEP_1) | instskip(NEXT) | instid1(VALU_DEP_1)
	v_div_scale_f32 v13, null, v11, v11, v12
	v_rcp_f32_e32 v14, v13
	s_waitcnt_depctr 0xfff
	v_fma_f32 v15, -v13, v14, 1.0
	s_delay_alu instid0(VALU_DEP_1) | instskip(SKIP_1) | instid1(VALU_DEP_1)
	v_fmac_f32_e32 v14, v15, v14
	v_div_scale_f32 v15, vcc_lo, v12, v11, v12
	v_mul_f32_e32 v16, v15, v14
	s_delay_alu instid0(VALU_DEP_1) | instskip(NEXT) | instid1(VALU_DEP_1)
	v_fma_f32 v17, -v13, v16, v15
	v_fmac_f32_e32 v16, v17, v14
	s_delay_alu instid0(VALU_DEP_1) | instskip(NEXT) | instid1(VALU_DEP_1)
	v_fma_f32 v13, -v13, v16, v15
	v_div_fmas_f32 v13, v13, v14, v16
	s_delay_alu instid0(VALU_DEP_1)
	v_div_fixup_f32 v11, v13, v11, v12
.LBB19_75:
	s_or_b32 exec_lo, exec_lo, s1
	v_fma_f32 v12, v9, v9, -2.0
	s_mov_b32 s0, 0xa3019142
	v_cmp_gt_f32_e32 vcc_lo, 0x800000, v8
	s_delay_alu instid0(VALU_DEP_2) | instskip(NEXT) | instid1(VALU_DEP_1)
	v_fmaak_f32 v13, s0, v12, 0xa72eea8c
	v_fmaak_f32 v14, v12, v13, 0x23019142
	s_delay_alu instid0(VALU_DEP_1) | instskip(NEXT) | instid1(VALU_DEP_1)
	v_add_f32_e32 v14, 0xab3ba817, v14
	v_fma_f32 v13, v12, v14, -v13
	s_delay_alu instid0(VALU_DEP_1) | instskip(NEXT) | instid1(VALU_DEP_1)
	v_add_f32_e32 v13, 0xaf1b31de, v13
	v_fma_f32 v14, v12, v13, -v14
	s_delay_alu instid0(VALU_DEP_1) | instskip(NEXT) | instid1(VALU_DEP_1)
	v_add_f32_e32 v14, 0xb2be20e9, v14
	v_fma_f32 v13, v12, v14, -v13
	s_delay_alu instid0(VALU_DEP_1) | instskip(NEXT) | instid1(VALU_DEP_1)
	v_add_f32_e32 v13, 0xb6234d99, v13
	v_fma_f32 v14, v12, v13, -v14
	s_delay_alu instid0(VALU_DEP_1) | instskip(NEXT) | instid1(VALU_DEP_1)
	v_add_f32_e32 v14, 0xb9356f17, v14
	v_fma_f32 v13, v12, v14, -v13
	s_delay_alu instid0(VALU_DEP_1) | instskip(NEXT) | instid1(VALU_DEP_1)
	v_add_f32_e32 v13, 0xbbe4949d, v13
	v_fma_f32 v14, v12, v13, -v14
	s_delay_alu instid0(VALU_DEP_1) | instskip(NEXT) | instid1(VALU_DEP_1)
	v_add_f32_e32 v14, 0xbdfb1b92, v14
	v_fma_f32 v13, v12, v14, -v13
	s_delay_alu instid0(VALU_DEP_1) | instskip(NEXT) | instid1(VALU_DEP_1)
	v_add_f32_e32 v13, 0xbeb4d0dc, v13
	v_fma_f32 v12, v12, v13, -v14
	s_delay_alu instid0(VALU_DEP_1) | instskip(NEXT) | instid1(VALU_DEP_1)
	v_add_f32_e32 v12, 0x3fc33d0a, v12
	v_sub_f32_e32 v12, v12, v14
	v_cndmask_b32_e64 v14, 1.0, 0x4f800000, vcc_lo
	s_delay_alu instid0(VALU_DEP_2) | instskip(NEXT) | instid1(VALU_DEP_2)
	v_mul_f32_e32 v12, 0.5, v12
	v_mul_f32_e32 v8, v8, v14
	s_delay_alu instid0(VALU_DEP_2) | instskip(NEXT) | instid1(VALU_DEP_2)
	v_div_scale_f32 v13, null, v9, v9, v12
	v_log_f32_e32 v8, v8
	v_div_scale_f32 v16, s0, v12, v9, v12
	s_delay_alu instid0(VALU_DEP_2) | instskip(SKIP_3) | instid1(VALU_DEP_1)
	v_rcp_f32_e32 v15, v13
	s_waitcnt_depctr 0xfff
	v_cmp_gt_f32_e64 s1, 0x7f800000, |v8|
	v_fma_f32 v14, -v13, v15, 1.0
	v_dual_fmac_f32 v15, v14, v15 :: v_dual_mul_f32 v14, 0x3f317217, v8
	s_delay_alu instid0(VALU_DEP_1) | instskip(NEXT) | instid1(VALU_DEP_2)
	v_mul_f32_e32 v17, v16, v15
	v_fma_f32 v18, 0x3f317217, v8, -v14
	s_delay_alu instid0(VALU_DEP_2) | instskip(NEXT) | instid1(VALU_DEP_1)
	v_fma_f32 v19, -v13, v17, v16
	v_dual_fmamk_f32 v18, v8, 0x3377d1cf, v18 :: v_dual_fmac_f32 v17, v19, v15
	s_delay_alu instid0(VALU_DEP_1) | instskip(NEXT) | instid1(VALU_DEP_2)
	v_add_f32_e32 v14, v14, v18
	v_fma_f32 v13, -v13, v17, v16
	s_delay_alu instid0(VALU_DEP_2) | instskip(SKIP_2) | instid1(VALU_DEP_3)
	v_cndmask_b32_e64 v8, v8, v14, s1
	v_cndmask_b32_e64 v14, 0, 0x41b17218, vcc_lo
	s_mov_b32 vcc_lo, s0
	v_div_fmas_f32 v13, v13, v15, v17
	s_delay_alu instid0(VALU_DEP_2) | instskip(NEXT) | instid1(VALU_DEP_2)
	v_sub_f32_e32 v8, v8, v14
	v_div_fixup_f32 v9, v13, v9, v12
	s_delay_alu instid0(VALU_DEP_1) | instskip(NEXT) | instid1(VALU_DEP_1)
	v_fmac_f32_e32 v9, v8, v11
	v_mul_f32_e32 v8, v10, v9
                                        ; implicit-def: $vgpr9
.LBB19_76:
	s_and_not1_saveexec_b32 s1, s8
	s_cbranch_execz .LBB19_78
; %bb.77:
	v_div_scale_f32 v8, null, v9, v9, 0x41000000
	v_div_scale_f32 v12, vcc_lo, 0x41000000, v9, 0x41000000
	s_mov_b32 s0, 0xa2d462ea
	s_delay_alu instid0(VALU_DEP_2) | instskip(SKIP_2) | instid1(VALU_DEP_1)
	v_rcp_f32_e32 v10, v8
	s_waitcnt_depctr 0xfff
	v_fma_f32 v11, -v8, v10, 1.0
	v_fmac_f32_e32 v10, v11, v10
	s_delay_alu instid0(VALU_DEP_1) | instskip(NEXT) | instid1(VALU_DEP_1)
	v_mul_f32_e32 v11, v12, v10
	v_fma_f32 v13, -v8, v11, v12
	s_delay_alu instid0(VALU_DEP_1) | instskip(NEXT) | instid1(VALU_DEP_1)
	v_fmac_f32_e32 v11, v13, v10
	v_fma_f32 v8, -v8, v11, v12
	v_mul_f32_e32 v12, 0x4f800000, v9
	s_delay_alu instid0(VALU_DEP_2) | instskip(SKIP_1) | instid1(VALU_DEP_2)
	v_div_fmas_f32 v8, v8, v10, v11
	v_cmp_gt_f32_e32 vcc_lo, 0xf800000, v9
	v_div_fixup_f32 v8, v8, v9, 0x41000000
	s_delay_alu instid0(VALU_DEP_4) | instskip(NEXT) | instid1(VALU_DEP_2)
	v_cndmask_b32_e32 v9, v9, v12, vcc_lo
	v_add_f32_e32 v8, -2.0, v8
	s_delay_alu instid0(VALU_DEP_2) | instskip(NEXT) | instid1(VALU_DEP_1)
	v_sqrt_f32_e32 v12, v9
	v_fmaak_f32 v10, s0, v8, 0x23a578d4
	s_waitcnt_depctr 0xfff
	v_dual_fmaak_f32 v11, v8, v10, 0x22d462ea :: v_dual_add_nc_u32 v14, 1, v12
	v_add_nc_u32_e32 v13, -1, v12
	s_delay_alu instid0(VALU_DEP_2) | instskip(NEXT) | instid1(VALU_DEP_3)
	v_add_f32_e32 v11, 0xa48330a9, v11
	v_fma_f32 v16, -v14, v12, v9
	s_delay_alu instid0(VALU_DEP_3) | instskip(NEXT) | instid1(VALU_DEP_3)
	v_fma_f32 v15, -v13, v12, v9
	v_fma_f32 v10, v8, v11, -v10
	s_delay_alu instid0(VALU_DEP_2) | instskip(NEXT) | instid1(VALU_DEP_2)
	v_cmp_ge_f32_e64 s0, 0, v15
	v_add_f32_e32 v10, 0x2553eaf2, v10
	s_delay_alu instid0(VALU_DEP_2) | instskip(SKIP_1) | instid1(VALU_DEP_3)
	v_cndmask_b32_e64 v12, v12, v13, s0
	v_cmp_lt_f32_e64 s0, 0, v16
	v_fma_f32 v11, v8, v10, -v11
	s_delay_alu instid0(VALU_DEP_2) | instskip(NEXT) | instid1(VALU_DEP_2)
	v_cndmask_b32_e64 v12, v12, v14, s0
	v_add_f32_e32 v11, 0xa62e951f, v11
	s_delay_alu instid0(VALU_DEP_1) | instskip(NEXT) | instid1(VALU_DEP_1)
	v_fma_f32 v10, v8, v11, -v10
	v_add_f32_e32 v10, 0x2712e76f, v10
	s_delay_alu instid0(VALU_DEP_1) | instskip(NEXT) | instid1(VALU_DEP_1)
	v_fma_f32 v11, v8, v10, -v11
	;; [unrolled: 3-line block ×19, first 2 shown]
	v_add_f32_e32 v10, 0x3dd4d5f8, v10
	s_delay_alu instid0(VALU_DEP_1) | instskip(SKIP_1) | instid1(VALU_DEP_1)
	v_fma_f32 v8, v8, v10, -v11
	v_mul_f32_e32 v10, 0x37800000, v12
	v_cndmask_b32_e32 v10, v12, v10, vcc_lo
	v_cmp_class_f32_e64 vcc_lo, v9, 0x260
	s_delay_alu instid0(VALU_DEP_2) | instskip(NEXT) | instid1(VALU_DEP_1)
	v_dual_add_f32 v8, 0x402e1ebd, v8 :: v_dual_cndmask_b32 v9, v10, v9
	v_sub_f32_e32 v8, v8, v11
	s_delay_alu instid0(VALU_DEP_1) | instskip(NEXT) | instid1(VALU_DEP_1)
	v_mul_f32_e32 v8, 0.5, v8
	v_div_scale_f32 v10, null, v9, v9, v8
	s_delay_alu instid0(VALU_DEP_1) | instskip(SKIP_2) | instid1(VALU_DEP_1)
	v_rcp_f32_e32 v11, v10
	s_waitcnt_depctr 0xfff
	v_fma_f32 v12, -v10, v11, 1.0
	v_fmac_f32_e32 v11, v12, v11
	v_div_scale_f32 v12, vcc_lo, v8, v9, v8
	s_delay_alu instid0(VALU_DEP_1) | instskip(NEXT) | instid1(VALU_DEP_1)
	v_mul_f32_e32 v13, v12, v11
	v_fma_f32 v14, -v10, v13, v12
	s_delay_alu instid0(VALU_DEP_1) | instskip(NEXT) | instid1(VALU_DEP_1)
	v_fmac_f32_e32 v13, v14, v11
	v_fma_f32 v10, -v10, v13, v12
	s_delay_alu instid0(VALU_DEP_1) | instskip(NEXT) | instid1(VALU_DEP_1)
	v_div_fmas_f32 v10, v10, v11, v13
	v_div_fixup_f32 v8, v10, v9, v8
.LBB19_78:
	s_or_b32 exec_lo, exec_lo, s1
.LBB19_79:
	s_delay_alu instid0(SALU_CYCLE_1)
	s_or_b32 exec_lo, exec_lo, s3
.LBB19_80:
	s_delay_alu instid0(SALU_CYCLE_1)
	s_or_b32 exec_lo, exec_lo, s2
	global_load_b32 v6, v6, s[6:7]
	s_mov_b32 s2, exec_lo
	s_waitcnt vmcnt(0)
	v_cmpx_neq_f32_e32 0, v6
	s_cbranch_execz .LBB19_92
; %bb.81:
	v_mov_b32_e32 v7, 0x7fc00000
	s_mov_b32 s3, exec_lo
	v_cmpx_ngt_f32_e32 0, v6
	s_cbranch_execz .LBB19_91
; %bb.82:
                                        ; implicit-def: $vgpr7
	s_mov_b32 s0, exec_lo
	v_cmpx_ge_f32_e32 2.0, v6
	s_xor_b32 s8, exec_lo, s0
	s_cbranch_execz .LBB19_88
; %bb.83:
	v_mul_f32_e32 v7, 0.5, v6
	s_mov_b32 s0, exec_lo
                                        ; implicit-def: $vgpr10
                                        ; implicit-def: $vgpr9
	v_cmpx_ge_f32_e32 0x41000000, v6
	s_xor_b32 s0, exec_lo, s0
	s_cbranch_execz .LBB19_85
; %bb.84:
	v_add_f32_e32 v9, -2.0, v7
	s_mov_b32 s1, 0x224cf950
	v_mul_f32_e32 v12, 0x3fb8aa3b, v6
	v_cmp_ngt_f32_e32 vcc_lo, 0xc2ce8ed0, v6
	s_delay_alu instid0(VALU_DEP_3) | instskip(NEXT) | instid1(VALU_DEP_3)
	v_fmaak_f32 v10, s1, v9, 0xa3c2be86
	v_rndne_f32_e32 v13, v12
	v_fma_f32 v14, 0x3fb8aa3b, v6, -v12
	s_delay_alu instid0(VALU_DEP_2) | instskip(NEXT) | instid1(VALU_DEP_2)
	v_dual_fmaak_f32 v11, v9, v10, 0xa24cf950 :: v_dual_sub_f32 v12, v12, v13
	v_fmamk_f32 v14, v6, 0x32a5705f, v14
	s_delay_alu instid0(VALU_DEP_1) | instskip(NEXT) | instid1(VALU_DEP_1)
	v_dual_add_f32 v11, 0x25331f1f, v11 :: v_dual_add_f32 v12, v12, v14
	v_fma_f32 v10, v9, v11, -v10
	s_delay_alu instid0(VALU_DEP_1) | instskip(NEXT) | instid1(VALU_DEP_1)
	v_add_f32_e32 v10, 0xa69f5554, v10
	v_fma_f32 v11, v9, v10, -v11
	s_delay_alu instid0(VALU_DEP_1) | instskip(NEXT) | instid1(VALU_DEP_1)
	v_add_f32_e32 v11, 0x2808ebf8, v11
	;; [unrolled: 3-line block ×25, first 2 shown]
	v_fma_f32 v9, v9, v10, -v11
	v_exp_f32_e32 v10, v12
	v_cvt_i32_f32_e32 v12, v13
	s_delay_alu instid0(VALU_DEP_2) | instskip(NEXT) | instid1(VALU_DEP_1)
	v_add_f32_e32 v9, 0x3e81531c, v9
	v_sub_f32_e32 v9, v9, v11
	s_waitcnt_depctr 0xfff
	v_ldexp_f32 v10, v10, v12
	s_delay_alu instid0(VALU_DEP_1) | instskip(SKIP_1) | instid1(VALU_DEP_2)
	v_dual_mul_f32 v9, 0.5, v9 :: v_dual_cndmask_b32 v10, 0, v10
	v_cmp_nlt_f32_e32 vcc_lo, 0x42b17218, v6
	v_mul_f32_e32 v11, v6, v9
	s_delay_alu instid0(VALU_DEP_3) | instskip(NEXT) | instid1(VALU_DEP_1)
	v_cndmask_b32_e32 v9, 0x7f800000, v10, vcc_lo
	v_mul_f32_e32 v10, v9, v11
.LBB19_85:
	s_and_not1_saveexec_b32 s1, s0
	s_cbranch_execz .LBB19_87
; %bb.86:
	v_div_scale_f32 v9, null, v6, v6, 0x42000000
	v_div_scale_f32 v12, vcc_lo, 0x42000000, v6, 0x42000000
	s_mov_b32 s0, 0x230aab6e
	s_delay_alu instid0(VALU_DEP_2) | instskip(SKIP_2) | instid1(VALU_DEP_1)
	v_rcp_f32_e32 v10, v9
	s_waitcnt_depctr 0xfff
	v_fma_f32 v11, -v9, v10, 1.0
	v_fmac_f32_e32 v10, v11, v10
	s_delay_alu instid0(VALU_DEP_1) | instskip(NEXT) | instid1(VALU_DEP_1)
	v_mul_f32_e32 v11, v12, v10
	v_fma_f32 v13, -v9, v11, v12
	s_delay_alu instid0(VALU_DEP_1) | instskip(SKIP_1) | instid1(VALU_DEP_2)
	v_fmac_f32_e32 v11, v13, v10
	v_mul_f32_e32 v13, 0x3fb8aa3b, v6
	v_fma_f32 v9, -v9, v11, v12
	v_mul_f32_e32 v12, 0x4f800000, v6
	s_delay_alu instid0(VALU_DEP_3) | instskip(SKIP_1) | instid1(VALU_DEP_4)
	v_rndne_f32_e32 v14, v13
	v_fma_f32 v15, 0x3fb8aa3b, v6, -v13
	v_div_fmas_f32 v9, v9, v10, v11
	v_cmp_gt_f32_e32 vcc_lo, 0xf800000, v6
	s_delay_alu instid0(VALU_DEP_4) | instskip(NEXT) | instid1(VALU_DEP_4)
	v_sub_f32_e32 v13, v13, v14
	v_fmamk_f32 v15, v6, 0x32a5705f, v15
	v_cvt_i32_f32_e32 v14, v14
	v_div_fixup_f32 v9, v9, v6, 0x42000000
	s_delay_alu instid0(VALU_DEP_3) | instskip(NEXT) | instid1(VALU_DEP_2)
	v_dual_cndmask_b32 v12, v6, v12 :: v_dual_add_f32 v13, v13, v15
	v_add_f32_e32 v9, -2.0, v9
	s_delay_alu instid0(VALU_DEP_2) | instskip(NEXT) | instid1(VALU_DEP_2)
	v_sqrt_f32_e32 v16, v12
	v_exp_f32_e32 v13, v13
	s_delay_alu instid0(VALU_DEP_1) | instskip(NEXT) | instid1(VALU_DEP_1)
	v_fmaak_f32 v10, s0, v9, 0x22a2dc57
	v_fmaak_f32 v11, v9, v10, 0xa30aab6e
	s_waitcnt_depctr 0xfff
	v_add_nc_u32_e32 v15, -1, v16
	v_add_nc_u32_e32 v17, 1, v16
	v_add_f32_e32 v11, 0xa456751e, v11
	s_delay_alu instid0(VALU_DEP_3) | instskip(NEXT) | instid1(VALU_DEP_3)
	v_fma_f32 v18, -v15, v16, v12
	v_fma_f32 v19, -v17, v16, v12
	s_delay_alu instid0(VALU_DEP_3) | instskip(NEXT) | instid1(VALU_DEP_3)
	v_fma_f32 v10, v9, v11, -v10
	v_cmp_ge_f32_e64 s0, 0, v18
	s_delay_alu instid0(VALU_DEP_2) | instskip(NEXT) | instid1(VALU_DEP_2)
	v_add_f32_e32 v10, 0xa4140365, v10
	v_cndmask_b32_e64 v15, v16, v15, s0
	v_cmp_lt_f32_e64 s0, 0, v19
	s_delay_alu instid0(VALU_DEP_3) | instskip(NEXT) | instid1(VALU_DEP_1)
	v_fma_f32 v11, v9, v10, -v11
	v_add_f32_e32 v11, 0x25aac8b0, v11
	s_delay_alu instid0(VALU_DEP_1) | instskip(NEXT) | instid1(VALU_DEP_1)
	v_fma_f32 v10, v9, v11, -v10
	v_add_f32_e32 v10, 0x25beb473, v10
	s_delay_alu instid0(VALU_DEP_1) | instskip(NEXT) | instid1(VALU_DEP_1)
	;; [unrolled: 3-line block ×19, first 2 shown]
	v_fma_f32 v10, v9, v11, -v10
	v_add_f32_e32 v10, 0xbc1fed03, v10
	s_delay_alu instid0(VALU_DEP_1) | instskip(SKIP_3) | instid1(VALU_DEP_4)
	v_fma_f32 v9, v9, v10, -v11
	v_ldexp_f32 v10, v13, v14
	v_cndmask_b32_e64 v13, v15, v17, s0
	v_cmp_ngt_f32_e64 s0, 0xc2ce8ed0, v6
	v_add_f32_e32 v9, 0x3f4750c6, v9
	s_delay_alu instid0(VALU_DEP_3) | instskip(NEXT) | instid1(VALU_DEP_3)
	v_mul_f32_e32 v14, 0x37800000, v13
	v_cndmask_b32_e64 v10, 0, v10, s0
	v_cmp_nlt_f32_e64 s0, 0x42b17218, v6
	s_delay_alu instid0(VALU_DEP_4) | instskip(NEXT) | instid1(VALU_DEP_2)
	v_sub_f32_e32 v11, v9, v11
	v_cndmask_b32_e64 v9, 0x7f800000, v10, s0
	s_delay_alu instid0(VALU_DEP_2) | instskip(SKIP_1) | instid1(VALU_DEP_2)
	v_dual_cndmask_b32 v10, v13, v14 :: v_dual_mul_f32 v11, 0.5, v11
	v_cmp_class_f32_e64 vcc_lo, v12, 0x260
	v_dual_mul_f32 v11, v9, v11 :: v_dual_cndmask_b32 v10, v10, v12
	s_delay_alu instid0(VALU_DEP_1) | instskip(NEXT) | instid1(VALU_DEP_1)
	v_div_scale_f32 v12, null, v10, v10, v11
	v_rcp_f32_e32 v13, v12
	s_waitcnt_depctr 0xfff
	v_fma_f32 v14, -v12, v13, 1.0
	s_delay_alu instid0(VALU_DEP_1) | instskip(SKIP_1) | instid1(VALU_DEP_1)
	v_fmac_f32_e32 v13, v14, v13
	v_div_scale_f32 v14, vcc_lo, v11, v10, v11
	v_mul_f32_e32 v15, v14, v13
	s_delay_alu instid0(VALU_DEP_1) | instskip(NEXT) | instid1(VALU_DEP_1)
	v_fma_f32 v16, -v12, v15, v14
	v_fmac_f32_e32 v15, v16, v13
	s_delay_alu instid0(VALU_DEP_1) | instskip(NEXT) | instid1(VALU_DEP_1)
	v_fma_f32 v12, -v12, v15, v14
	v_div_fmas_f32 v12, v12, v13, v15
	s_delay_alu instid0(VALU_DEP_1)
	v_div_fixup_f32 v10, v12, v10, v11
.LBB19_87:
	s_or_b32 exec_lo, exec_lo, s1
	v_fma_f32 v11, v6, v6, -2.0
	s_mov_b32 s0, 0xa3019142
	v_cmp_gt_f32_e32 vcc_lo, 0x800000, v7
	s_delay_alu instid0(VALU_DEP_2) | instskip(NEXT) | instid1(VALU_DEP_1)
	v_fmaak_f32 v12, s0, v11, 0xa72eea8c
	v_fmaak_f32 v13, v11, v12, 0x23019142
	s_delay_alu instid0(VALU_DEP_1) | instskip(NEXT) | instid1(VALU_DEP_1)
	v_add_f32_e32 v13, 0xab3ba817, v13
	v_fma_f32 v12, v11, v13, -v12
	s_delay_alu instid0(VALU_DEP_1) | instskip(NEXT) | instid1(VALU_DEP_1)
	v_add_f32_e32 v12, 0xaf1b31de, v12
	v_fma_f32 v13, v11, v12, -v13
	;; [unrolled: 3-line block ×8, first 2 shown]
	s_delay_alu instid0(VALU_DEP_1) | instskip(NEXT) | instid1(VALU_DEP_1)
	v_add_f32_e32 v11, 0x3fc33d0a, v11
	v_sub_f32_e32 v11, v11, v13
	v_cndmask_b32_e64 v13, 1.0, 0x4f800000, vcc_lo
	s_delay_alu instid0(VALU_DEP_2) | instskip(NEXT) | instid1(VALU_DEP_2)
	v_mul_f32_e32 v11, 0.5, v11
	v_mul_f32_e32 v7, v7, v13
	s_delay_alu instid0(VALU_DEP_2) | instskip(NEXT) | instid1(VALU_DEP_2)
	v_div_scale_f32 v12, null, v6, v6, v11
	v_log_f32_e32 v7, v7
	v_div_scale_f32 v15, s0, v11, v6, v11
	s_delay_alu instid0(VALU_DEP_2) | instskip(SKIP_3) | instid1(VALU_DEP_1)
	v_rcp_f32_e32 v14, v12
	s_waitcnt_depctr 0xfff
	v_cmp_gt_f32_e64 s1, 0x7f800000, |v7|
	v_fma_f32 v13, -v12, v14, 1.0
	v_dual_fmac_f32 v14, v13, v14 :: v_dual_mul_f32 v13, 0x3f317217, v7
	s_delay_alu instid0(VALU_DEP_1) | instskip(NEXT) | instid1(VALU_DEP_2)
	v_mul_f32_e32 v16, v15, v14
	v_fma_f32 v17, 0x3f317217, v7, -v13
	s_delay_alu instid0(VALU_DEP_2) | instskip(NEXT) | instid1(VALU_DEP_1)
	v_fma_f32 v18, -v12, v16, v15
	v_dual_fmamk_f32 v17, v7, 0x3377d1cf, v17 :: v_dual_fmac_f32 v16, v18, v14
	s_delay_alu instid0(VALU_DEP_1) | instskip(NEXT) | instid1(VALU_DEP_2)
	v_add_f32_e32 v13, v13, v17
	v_fma_f32 v12, -v12, v16, v15
	s_delay_alu instid0(VALU_DEP_2) | instskip(SKIP_2) | instid1(VALU_DEP_3)
	v_cndmask_b32_e64 v7, v7, v13, s1
	v_cndmask_b32_e64 v13, 0, 0x41b17218, vcc_lo
	s_mov_b32 vcc_lo, s0
	v_div_fmas_f32 v12, v12, v14, v16
	s_delay_alu instid0(VALU_DEP_2) | instskip(NEXT) | instid1(VALU_DEP_2)
	v_sub_f32_e32 v7, v7, v13
	v_div_fixup_f32 v6, v12, v6, v11
	s_delay_alu instid0(VALU_DEP_1) | instskip(NEXT) | instid1(VALU_DEP_1)
	v_fmac_f32_e32 v6, v7, v10
	v_mul_f32_e32 v7, v9, v6
                                        ; implicit-def: $vgpr6
.LBB19_88:
	s_and_not1_saveexec_b32 s1, s8
	s_cbranch_execz .LBB19_90
; %bb.89:
	v_div_scale_f32 v7, null, v6, v6, 0x41000000
	v_div_scale_f32 v11, vcc_lo, 0x41000000, v6, 0x41000000
	s_mov_b32 s0, 0xa2d462ea
	s_delay_alu instid0(VALU_DEP_2) | instskip(SKIP_2) | instid1(VALU_DEP_1)
	v_rcp_f32_e32 v9, v7
	s_waitcnt_depctr 0xfff
	v_fma_f32 v10, -v7, v9, 1.0
	v_fmac_f32_e32 v9, v10, v9
	s_delay_alu instid0(VALU_DEP_1) | instskip(NEXT) | instid1(VALU_DEP_1)
	v_mul_f32_e32 v10, v11, v9
	v_fma_f32 v12, -v7, v10, v11
	s_delay_alu instid0(VALU_DEP_1) | instskip(NEXT) | instid1(VALU_DEP_1)
	v_fmac_f32_e32 v10, v12, v9
	v_fma_f32 v7, -v7, v10, v11
	v_mul_f32_e32 v11, 0x4f800000, v6
	s_delay_alu instid0(VALU_DEP_2) | instskip(SKIP_1) | instid1(VALU_DEP_2)
	v_div_fmas_f32 v7, v7, v9, v10
	v_cmp_gt_f32_e32 vcc_lo, 0xf800000, v6
	v_div_fixup_f32 v7, v7, v6, 0x41000000
	s_delay_alu instid0(VALU_DEP_4) | instskip(NEXT) | instid1(VALU_DEP_2)
	v_cndmask_b32_e32 v6, v6, v11, vcc_lo
	v_add_f32_e32 v7, -2.0, v7
	s_delay_alu instid0(VALU_DEP_2) | instskip(NEXT) | instid1(VALU_DEP_1)
	v_sqrt_f32_e32 v11, v6
	v_fmaak_f32 v9, s0, v7, 0x23a578d4
	s_waitcnt_depctr 0xfff
	v_dual_fmaak_f32 v10, v7, v9, 0x22d462ea :: v_dual_add_nc_u32 v13, 1, v11
	v_add_nc_u32_e32 v12, -1, v11
	s_delay_alu instid0(VALU_DEP_2) | instskip(NEXT) | instid1(VALU_DEP_3)
	v_add_f32_e32 v10, 0xa48330a9, v10
	v_fma_f32 v15, -v13, v11, v6
	s_delay_alu instid0(VALU_DEP_3) | instskip(NEXT) | instid1(VALU_DEP_3)
	v_fma_f32 v14, -v12, v11, v6
	v_fma_f32 v9, v7, v10, -v9
	s_delay_alu instid0(VALU_DEP_2) | instskip(NEXT) | instid1(VALU_DEP_2)
	v_cmp_ge_f32_e64 s0, 0, v14
	v_add_f32_e32 v9, 0x2553eaf2, v9
	s_delay_alu instid0(VALU_DEP_2) | instskip(SKIP_1) | instid1(VALU_DEP_3)
	v_cndmask_b32_e64 v11, v11, v12, s0
	v_cmp_lt_f32_e64 s0, 0, v15
	v_fma_f32 v10, v7, v9, -v10
	s_delay_alu instid0(VALU_DEP_2) | instskip(NEXT) | instid1(VALU_DEP_2)
	v_cndmask_b32_e64 v11, v11, v13, s0
	v_add_f32_e32 v10, 0xa62e951f, v10
	s_delay_alu instid0(VALU_DEP_1) | instskip(NEXT) | instid1(VALU_DEP_1)
	v_fma_f32 v9, v7, v10, -v9
	v_add_f32_e32 v9, 0x2712e76f, v9
	s_delay_alu instid0(VALU_DEP_1) | instskip(NEXT) | instid1(VALU_DEP_1)
	v_fma_f32 v10, v7, v9, -v10
	;; [unrolled: 3-line block ×19, first 2 shown]
	v_add_f32_e32 v9, 0x3dd4d5f8, v9
	s_delay_alu instid0(VALU_DEP_1) | instskip(SKIP_1) | instid1(VALU_DEP_1)
	v_fma_f32 v7, v7, v9, -v10
	v_mul_f32_e32 v9, 0x37800000, v11
	v_cndmask_b32_e32 v9, v11, v9, vcc_lo
	v_cmp_class_f32_e64 vcc_lo, v6, 0x260
	s_delay_alu instid0(VALU_DEP_2) | instskip(NEXT) | instid1(VALU_DEP_1)
	v_dual_add_f32 v7, 0x402e1ebd, v7 :: v_dual_cndmask_b32 v6, v9, v6
	v_sub_f32_e32 v7, v7, v10
	s_delay_alu instid0(VALU_DEP_1) | instskip(NEXT) | instid1(VALU_DEP_1)
	v_mul_f32_e32 v7, 0.5, v7
	v_div_scale_f32 v9, null, v6, v6, v7
	s_delay_alu instid0(VALU_DEP_1) | instskip(SKIP_2) | instid1(VALU_DEP_1)
	v_rcp_f32_e32 v10, v9
	s_waitcnt_depctr 0xfff
	v_fma_f32 v11, -v9, v10, 1.0
	v_fmac_f32_e32 v10, v11, v10
	v_div_scale_f32 v11, vcc_lo, v7, v6, v7
	s_delay_alu instid0(VALU_DEP_1) | instskip(NEXT) | instid1(VALU_DEP_1)
	v_mul_f32_e32 v12, v11, v10
	v_fma_f32 v13, -v9, v12, v11
	s_delay_alu instid0(VALU_DEP_1) | instskip(NEXT) | instid1(VALU_DEP_1)
	v_fmac_f32_e32 v12, v13, v10
	v_fma_f32 v9, -v9, v12, v11
	s_delay_alu instid0(VALU_DEP_1) | instskip(NEXT) | instid1(VALU_DEP_1)
	v_div_fmas_f32 v9, v9, v10, v12
	v_div_fixup_f32 v7, v9, v6, v7
.LBB19_90:
	s_or_b32 exec_lo, exec_lo, s1
.LBB19_91:
	s_delay_alu instid0(SALU_CYCLE_1)
	s_or_b32 exec_lo, exec_lo, s3
.LBB19_92:
	s_delay_alu instid0(SALU_CYCLE_1)
	s_or_b32 exec_lo, exec_lo, s2
	global_load_b32 v9, v5, s[6:7]
	v_dual_mov_b32 v5, 0x7f800000 :: v_dual_mov_b32 v6, 0x7f800000
	s_mov_b32 s2, exec_lo
	s_waitcnt vmcnt(0)
	v_cmpx_neq_f32_e32 0, v9
	s_cbranch_execz .LBB19_104
; %bb.93:
	v_mov_b32_e32 v6, 0x7fc00000
	s_mov_b32 s3, exec_lo
	v_cmpx_ngt_f32_e32 0, v9
	s_cbranch_execz .LBB19_103
; %bb.94:
                                        ; implicit-def: $vgpr6
	s_mov_b32 s0, exec_lo
	v_cmpx_ge_f32_e32 2.0, v9
	s_xor_b32 s8, exec_lo, s0
	s_cbranch_execz .LBB19_100
; %bb.95:
	v_mul_f32_e32 v6, 0.5, v9
	s_mov_b32 s0, exec_lo
                                        ; implicit-def: $vgpr11
                                        ; implicit-def: $vgpr10
	v_cmpx_ge_f32_e32 0x41000000, v9
	s_xor_b32 s0, exec_lo, s0
	s_cbranch_execz .LBB19_97
; %bb.96:
	v_add_f32_e32 v10, -2.0, v6
	s_mov_b32 s1, 0x224cf950
	v_mul_f32_e32 v13, 0x3fb8aa3b, v9
	v_cmp_ngt_f32_e32 vcc_lo, 0xc2ce8ed0, v9
	s_delay_alu instid0(VALU_DEP_3) | instskip(NEXT) | instid1(VALU_DEP_3)
	v_fmaak_f32 v11, s1, v10, 0xa3c2be86
	v_rndne_f32_e32 v14, v13
	v_fma_f32 v15, 0x3fb8aa3b, v9, -v13
	s_delay_alu instid0(VALU_DEP_2) | instskip(NEXT) | instid1(VALU_DEP_2)
	v_dual_fmaak_f32 v12, v10, v11, 0xa24cf950 :: v_dual_sub_f32 v13, v13, v14
	v_fmamk_f32 v15, v9, 0x32a5705f, v15
	s_delay_alu instid0(VALU_DEP_1) | instskip(NEXT) | instid1(VALU_DEP_1)
	v_dual_add_f32 v12, 0x25331f1f, v12 :: v_dual_add_f32 v13, v13, v15
	v_fma_f32 v11, v10, v12, -v11
	s_delay_alu instid0(VALU_DEP_1) | instskip(NEXT) | instid1(VALU_DEP_1)
	v_add_f32_e32 v11, 0xa69f5554, v11
	v_fma_f32 v12, v10, v11, -v12
	s_delay_alu instid0(VALU_DEP_1) | instskip(NEXT) | instid1(VALU_DEP_1)
	v_add_f32_e32 v12, 0x2808ebf8, v12
	;; [unrolled: 3-line block ×25, first 2 shown]
	v_fma_f32 v10, v10, v11, -v12
	v_exp_f32_e32 v11, v13
	v_cvt_i32_f32_e32 v13, v14
	s_delay_alu instid0(VALU_DEP_2) | instskip(NEXT) | instid1(VALU_DEP_1)
	v_add_f32_e32 v10, 0x3e81531c, v10
	v_sub_f32_e32 v10, v10, v12
	s_waitcnt_depctr 0xfff
	v_ldexp_f32 v11, v11, v13
	s_delay_alu instid0(VALU_DEP_1) | instskip(SKIP_1) | instid1(VALU_DEP_2)
	v_dual_mul_f32 v10, 0.5, v10 :: v_dual_cndmask_b32 v11, 0, v11
	v_cmp_nlt_f32_e32 vcc_lo, 0x42b17218, v9
	v_mul_f32_e32 v12, v9, v10
	s_delay_alu instid0(VALU_DEP_3) | instskip(NEXT) | instid1(VALU_DEP_1)
	v_cndmask_b32_e32 v10, 0x7f800000, v11, vcc_lo
	v_mul_f32_e32 v11, v10, v12
.LBB19_97:
	s_and_not1_saveexec_b32 s1, s0
	s_cbranch_execz .LBB19_99
; %bb.98:
	v_div_scale_f32 v10, null, v9, v9, 0x42000000
	v_div_scale_f32 v13, vcc_lo, 0x42000000, v9, 0x42000000
	s_mov_b32 s0, 0x230aab6e
	s_delay_alu instid0(VALU_DEP_2) | instskip(SKIP_2) | instid1(VALU_DEP_1)
	v_rcp_f32_e32 v11, v10
	s_waitcnt_depctr 0xfff
	v_fma_f32 v12, -v10, v11, 1.0
	v_fmac_f32_e32 v11, v12, v11
	s_delay_alu instid0(VALU_DEP_1) | instskip(NEXT) | instid1(VALU_DEP_1)
	v_mul_f32_e32 v12, v13, v11
	v_fma_f32 v14, -v10, v12, v13
	s_delay_alu instid0(VALU_DEP_1) | instskip(SKIP_1) | instid1(VALU_DEP_2)
	v_fmac_f32_e32 v12, v14, v11
	v_mul_f32_e32 v14, 0x3fb8aa3b, v9
	v_fma_f32 v10, -v10, v12, v13
	v_mul_f32_e32 v13, 0x4f800000, v9
	s_delay_alu instid0(VALU_DEP_3) | instskip(SKIP_1) | instid1(VALU_DEP_4)
	v_rndne_f32_e32 v15, v14
	v_fma_f32 v16, 0x3fb8aa3b, v9, -v14
	v_div_fmas_f32 v10, v10, v11, v12
	v_cmp_gt_f32_e32 vcc_lo, 0xf800000, v9
	s_delay_alu instid0(VALU_DEP_4) | instskip(NEXT) | instid1(VALU_DEP_4)
	v_sub_f32_e32 v14, v14, v15
	v_fmamk_f32 v16, v9, 0x32a5705f, v16
	v_cvt_i32_f32_e32 v15, v15
	v_div_fixup_f32 v10, v10, v9, 0x42000000
	s_delay_alu instid0(VALU_DEP_3) | instskip(NEXT) | instid1(VALU_DEP_2)
	v_dual_cndmask_b32 v13, v9, v13 :: v_dual_add_f32 v14, v14, v16
	v_add_f32_e32 v10, -2.0, v10
	s_delay_alu instid0(VALU_DEP_2) | instskip(NEXT) | instid1(VALU_DEP_2)
	v_sqrt_f32_e32 v17, v13
	v_exp_f32_e32 v14, v14
	s_delay_alu instid0(VALU_DEP_1) | instskip(NEXT) | instid1(VALU_DEP_1)
	v_fmaak_f32 v11, s0, v10, 0x22a2dc57
	v_fmaak_f32 v12, v10, v11, 0xa30aab6e
	s_waitcnt_depctr 0xfff
	v_add_nc_u32_e32 v16, -1, v17
	v_add_nc_u32_e32 v18, 1, v17
	v_add_f32_e32 v12, 0xa456751e, v12
	s_delay_alu instid0(VALU_DEP_3) | instskip(NEXT) | instid1(VALU_DEP_3)
	v_fma_f32 v19, -v16, v17, v13
	v_fma_f32 v20, -v18, v17, v13
	s_delay_alu instid0(VALU_DEP_3) | instskip(NEXT) | instid1(VALU_DEP_3)
	v_fma_f32 v11, v10, v12, -v11
	v_cmp_ge_f32_e64 s0, 0, v19
	s_delay_alu instid0(VALU_DEP_2) | instskip(NEXT) | instid1(VALU_DEP_2)
	v_add_f32_e32 v11, 0xa4140365, v11
	v_cndmask_b32_e64 v16, v17, v16, s0
	v_cmp_lt_f32_e64 s0, 0, v20
	s_delay_alu instid0(VALU_DEP_3) | instskip(NEXT) | instid1(VALU_DEP_1)
	v_fma_f32 v12, v10, v11, -v12
	v_add_f32_e32 v12, 0x25aac8b0, v12
	s_delay_alu instid0(VALU_DEP_1) | instskip(NEXT) | instid1(VALU_DEP_1)
	v_fma_f32 v11, v10, v12, -v11
	v_add_f32_e32 v11, 0x25beb473, v11
	s_delay_alu instid0(VALU_DEP_1) | instskip(NEXT) | instid1(VALU_DEP_1)
	;; [unrolled: 3-line block ×19, first 2 shown]
	v_fma_f32 v11, v10, v12, -v11
	v_add_f32_e32 v11, 0xbc1fed03, v11
	s_delay_alu instid0(VALU_DEP_1) | instskip(SKIP_3) | instid1(VALU_DEP_4)
	v_fma_f32 v10, v10, v11, -v12
	v_ldexp_f32 v11, v14, v15
	v_cndmask_b32_e64 v14, v16, v18, s0
	v_cmp_ngt_f32_e64 s0, 0xc2ce8ed0, v9
	v_add_f32_e32 v10, 0x3f4750c6, v10
	s_delay_alu instid0(VALU_DEP_3) | instskip(NEXT) | instid1(VALU_DEP_3)
	v_mul_f32_e32 v15, 0x37800000, v14
	v_cndmask_b32_e64 v11, 0, v11, s0
	v_cmp_nlt_f32_e64 s0, 0x42b17218, v9
	s_delay_alu instid0(VALU_DEP_4) | instskip(NEXT) | instid1(VALU_DEP_2)
	v_sub_f32_e32 v12, v10, v12
	v_cndmask_b32_e64 v10, 0x7f800000, v11, s0
	s_delay_alu instid0(VALU_DEP_2) | instskip(SKIP_1) | instid1(VALU_DEP_2)
	v_dual_cndmask_b32 v11, v14, v15 :: v_dual_mul_f32 v12, 0.5, v12
	v_cmp_class_f32_e64 vcc_lo, v13, 0x260
	v_dual_mul_f32 v12, v10, v12 :: v_dual_cndmask_b32 v11, v11, v13
	s_delay_alu instid0(VALU_DEP_1) | instskip(NEXT) | instid1(VALU_DEP_1)
	v_div_scale_f32 v13, null, v11, v11, v12
	v_rcp_f32_e32 v14, v13
	s_waitcnt_depctr 0xfff
	v_fma_f32 v15, -v13, v14, 1.0
	s_delay_alu instid0(VALU_DEP_1) | instskip(SKIP_1) | instid1(VALU_DEP_1)
	v_fmac_f32_e32 v14, v15, v14
	v_div_scale_f32 v15, vcc_lo, v12, v11, v12
	v_mul_f32_e32 v16, v15, v14
	s_delay_alu instid0(VALU_DEP_1) | instskip(NEXT) | instid1(VALU_DEP_1)
	v_fma_f32 v17, -v13, v16, v15
	v_fmac_f32_e32 v16, v17, v14
	s_delay_alu instid0(VALU_DEP_1) | instskip(NEXT) | instid1(VALU_DEP_1)
	v_fma_f32 v13, -v13, v16, v15
	v_div_fmas_f32 v13, v13, v14, v16
	s_delay_alu instid0(VALU_DEP_1)
	v_div_fixup_f32 v11, v13, v11, v12
.LBB19_99:
	s_or_b32 exec_lo, exec_lo, s1
	v_fma_f32 v12, v9, v9, -2.0
	s_mov_b32 s0, 0xa3019142
	v_cmp_gt_f32_e32 vcc_lo, 0x800000, v6
	s_delay_alu instid0(VALU_DEP_2) | instskip(NEXT) | instid1(VALU_DEP_1)
	v_fmaak_f32 v13, s0, v12, 0xa72eea8c
	v_fmaak_f32 v14, v12, v13, 0x23019142
	s_delay_alu instid0(VALU_DEP_1) | instskip(NEXT) | instid1(VALU_DEP_1)
	v_add_f32_e32 v14, 0xab3ba817, v14
	v_fma_f32 v13, v12, v14, -v13
	s_delay_alu instid0(VALU_DEP_1) | instskip(NEXT) | instid1(VALU_DEP_1)
	v_add_f32_e32 v13, 0xaf1b31de, v13
	v_fma_f32 v14, v12, v13, -v14
	;; [unrolled: 3-line block ×8, first 2 shown]
	s_delay_alu instid0(VALU_DEP_1) | instskip(NEXT) | instid1(VALU_DEP_1)
	v_add_f32_e32 v12, 0x3fc33d0a, v12
	v_sub_f32_e32 v12, v12, v14
	v_cndmask_b32_e64 v14, 1.0, 0x4f800000, vcc_lo
	s_delay_alu instid0(VALU_DEP_2) | instskip(NEXT) | instid1(VALU_DEP_2)
	v_mul_f32_e32 v12, 0.5, v12
	v_mul_f32_e32 v6, v6, v14
	s_delay_alu instid0(VALU_DEP_2) | instskip(NEXT) | instid1(VALU_DEP_2)
	v_div_scale_f32 v13, null, v9, v9, v12
	v_log_f32_e32 v6, v6
	v_div_scale_f32 v16, s0, v12, v9, v12
	s_delay_alu instid0(VALU_DEP_2) | instskip(SKIP_3) | instid1(VALU_DEP_1)
	v_rcp_f32_e32 v15, v13
	s_waitcnt_depctr 0xfff
	v_cmp_gt_f32_e64 s1, 0x7f800000, |v6|
	v_fma_f32 v14, -v13, v15, 1.0
	v_dual_fmac_f32 v15, v14, v15 :: v_dual_mul_f32 v14, 0x3f317217, v6
	s_delay_alu instid0(VALU_DEP_1) | instskip(NEXT) | instid1(VALU_DEP_2)
	v_mul_f32_e32 v17, v16, v15
	v_fma_f32 v18, 0x3f317217, v6, -v14
	s_delay_alu instid0(VALU_DEP_2) | instskip(NEXT) | instid1(VALU_DEP_1)
	v_fma_f32 v19, -v13, v17, v16
	v_dual_fmamk_f32 v18, v6, 0x3377d1cf, v18 :: v_dual_fmac_f32 v17, v19, v15
	s_delay_alu instid0(VALU_DEP_1) | instskip(NEXT) | instid1(VALU_DEP_2)
	v_add_f32_e32 v14, v14, v18
	v_fma_f32 v13, -v13, v17, v16
	s_delay_alu instid0(VALU_DEP_2) | instskip(SKIP_2) | instid1(VALU_DEP_3)
	v_cndmask_b32_e64 v6, v6, v14, s1
	v_cndmask_b32_e64 v14, 0, 0x41b17218, vcc_lo
	s_mov_b32 vcc_lo, s0
	v_div_fmas_f32 v13, v13, v15, v17
	s_delay_alu instid0(VALU_DEP_2) | instskip(NEXT) | instid1(VALU_DEP_2)
	v_sub_f32_e32 v6, v6, v14
	v_div_fixup_f32 v9, v13, v9, v12
	s_delay_alu instid0(VALU_DEP_1) | instskip(NEXT) | instid1(VALU_DEP_1)
	v_fmac_f32_e32 v9, v6, v11
	v_mul_f32_e32 v6, v10, v9
                                        ; implicit-def: $vgpr9
.LBB19_100:
	s_and_not1_saveexec_b32 s1, s8
	s_cbranch_execz .LBB19_102
; %bb.101:
	v_div_scale_f32 v6, null, v9, v9, 0x41000000
	v_div_scale_f32 v12, vcc_lo, 0x41000000, v9, 0x41000000
	s_mov_b32 s0, 0xa2d462ea
	s_delay_alu instid0(VALU_DEP_2) | instskip(SKIP_2) | instid1(VALU_DEP_1)
	v_rcp_f32_e32 v10, v6
	s_waitcnt_depctr 0xfff
	v_fma_f32 v11, -v6, v10, 1.0
	v_fmac_f32_e32 v10, v11, v10
	s_delay_alu instid0(VALU_DEP_1) | instskip(NEXT) | instid1(VALU_DEP_1)
	v_mul_f32_e32 v11, v12, v10
	v_fma_f32 v13, -v6, v11, v12
	s_delay_alu instid0(VALU_DEP_1) | instskip(NEXT) | instid1(VALU_DEP_1)
	v_fmac_f32_e32 v11, v13, v10
	v_fma_f32 v6, -v6, v11, v12
	v_mul_f32_e32 v12, 0x4f800000, v9
	s_delay_alu instid0(VALU_DEP_2) | instskip(SKIP_1) | instid1(VALU_DEP_2)
	v_div_fmas_f32 v6, v6, v10, v11
	v_cmp_gt_f32_e32 vcc_lo, 0xf800000, v9
	v_div_fixup_f32 v6, v6, v9, 0x41000000
	s_delay_alu instid0(VALU_DEP_1) | instskip(NEXT) | instid1(VALU_DEP_1)
	v_dual_cndmask_b32 v9, v9, v12 :: v_dual_add_f32 v6, -2.0, v6
	v_sqrt_f32_e32 v12, v9
	s_waitcnt_depctr 0xfff
	v_dual_fmaak_f32 v10, s0, v6, 0x23a578d4 :: v_dual_add_nc_u32 v13, -1, v12
	s_delay_alu instid0(VALU_DEP_1) | instskip(NEXT) | instid1(VALU_DEP_2)
	v_dual_fmaak_f32 v11, v6, v10, 0x22d462ea :: v_dual_add_nc_u32 v14, 1, v12
	v_fma_f32 v15, -v13, v12, v9
	s_delay_alu instid0(VALU_DEP_2) | instskip(NEXT) | instid1(VALU_DEP_3)
	v_add_f32_e32 v11, 0xa48330a9, v11
	v_fma_f32 v16, -v14, v12, v9
	s_delay_alu instid0(VALU_DEP_3) | instskip(NEXT) | instid1(VALU_DEP_3)
	v_cmp_ge_f32_e64 s0, 0, v15
	v_fma_f32 v10, v6, v11, -v10
	s_delay_alu instid0(VALU_DEP_2) | instskip(NEXT) | instid1(VALU_DEP_2)
	v_cndmask_b32_e64 v12, v12, v13, s0
	v_add_f32_e32 v10, 0x2553eaf2, v10
	v_cmp_lt_f32_e64 s0, 0, v16
	s_delay_alu instid0(VALU_DEP_2) | instskip(NEXT) | instid1(VALU_DEP_2)
	v_fma_f32 v11, v6, v10, -v11
	v_cndmask_b32_e64 v12, v12, v14, s0
	s_delay_alu instid0(VALU_DEP_2) | instskip(NEXT) | instid1(VALU_DEP_1)
	v_add_f32_e32 v11, 0xa62e951f, v11
	v_fma_f32 v10, v6, v11, -v10
	s_delay_alu instid0(VALU_DEP_1) | instskip(NEXT) | instid1(VALU_DEP_1)
	v_add_f32_e32 v10, 0x2712e76f, v10
	v_fma_f32 v11, v6, v10, -v11
	s_delay_alu instid0(VALU_DEP_1) | instskip(NEXT) | instid1(VALU_DEP_1)
	;; [unrolled: 3-line block ×19, first 2 shown]
	v_add_f32_e32 v10, 0x3dd4d5f8, v10
	v_fma_f32 v6, v6, v10, -v11
	v_mul_f32_e32 v10, 0x37800000, v12
	s_delay_alu instid0(VALU_DEP_1) | instskip(SKIP_1) | instid1(VALU_DEP_2)
	v_cndmask_b32_e32 v10, v12, v10, vcc_lo
	v_cmp_class_f32_e64 vcc_lo, v9, 0x260
	v_dual_add_f32 v6, 0x402e1ebd, v6 :: v_dual_cndmask_b32 v9, v10, v9
	s_delay_alu instid0(VALU_DEP_1) | instskip(NEXT) | instid1(VALU_DEP_1)
	v_sub_f32_e32 v6, v6, v11
	v_mul_f32_e32 v6, 0.5, v6
	s_delay_alu instid0(VALU_DEP_1) | instskip(NEXT) | instid1(VALU_DEP_1)
	v_div_scale_f32 v10, null, v9, v9, v6
	v_rcp_f32_e32 v11, v10
	s_waitcnt_depctr 0xfff
	v_fma_f32 v12, -v10, v11, 1.0
	s_delay_alu instid0(VALU_DEP_1) | instskip(SKIP_1) | instid1(VALU_DEP_1)
	v_fmac_f32_e32 v11, v12, v11
	v_div_scale_f32 v12, vcc_lo, v6, v9, v6
	v_mul_f32_e32 v13, v12, v11
	s_delay_alu instid0(VALU_DEP_1) | instskip(NEXT) | instid1(VALU_DEP_1)
	v_fma_f32 v14, -v10, v13, v12
	v_fmac_f32_e32 v13, v14, v11
	s_delay_alu instid0(VALU_DEP_1) | instskip(NEXT) | instid1(VALU_DEP_1)
	v_fma_f32 v10, -v10, v13, v12
	v_div_fmas_f32 v10, v10, v11, v13
	s_delay_alu instid0(VALU_DEP_1)
	v_div_fixup_f32 v6, v10, v9, v6
.LBB19_102:
	s_or_b32 exec_lo, exec_lo, s1
.LBB19_103:
	s_delay_alu instid0(SALU_CYCLE_1)
	s_or_b32 exec_lo, exec_lo, s3
.LBB19_104:
	s_delay_alu instid0(SALU_CYCLE_1)
	s_or_b32 exec_lo, exec_lo, s2
	global_load_b32 v4, v4, s[6:7]
	s_mov_b32 s2, exec_lo
	s_waitcnt vmcnt(0)
	v_cmpx_neq_f32_e32 0, v4
	s_cbranch_execz .LBB19_116
; %bb.105:
	v_mov_b32_e32 v5, 0x7fc00000
	s_mov_b32 s3, exec_lo
	v_cmpx_ngt_f32_e32 0, v4
	s_cbranch_execz .LBB19_115
; %bb.106:
                                        ; implicit-def: $vgpr5
	s_mov_b32 s0, exec_lo
	v_cmpx_ge_f32_e32 2.0, v4
	s_xor_b32 s6, exec_lo, s0
	s_cbranch_execz .LBB19_112
; %bb.107:
	v_mul_f32_e32 v5, 0.5, v4
	s_mov_b32 s0, exec_lo
                                        ; implicit-def: $vgpr10
                                        ; implicit-def: $vgpr9
	v_cmpx_ge_f32_e32 0x41000000, v4
	s_xor_b32 s0, exec_lo, s0
	s_cbranch_execz .LBB19_109
; %bb.108:
	v_add_f32_e32 v9, -2.0, v5
	s_mov_b32 s1, 0x224cf950
	v_mul_f32_e32 v12, 0x3fb8aa3b, v4
	v_cmp_ngt_f32_e32 vcc_lo, 0xc2ce8ed0, v4
	s_delay_alu instid0(VALU_DEP_3) | instskip(NEXT) | instid1(VALU_DEP_3)
	v_fmaak_f32 v10, s1, v9, 0xa3c2be86
	v_rndne_f32_e32 v13, v12
	v_fma_f32 v14, 0x3fb8aa3b, v4, -v12
	s_delay_alu instid0(VALU_DEP_2) | instskip(NEXT) | instid1(VALU_DEP_2)
	v_dual_fmaak_f32 v11, v9, v10, 0xa24cf950 :: v_dual_sub_f32 v12, v12, v13
	v_fmamk_f32 v14, v4, 0x32a5705f, v14
	s_delay_alu instid0(VALU_DEP_1) | instskip(NEXT) | instid1(VALU_DEP_1)
	v_dual_add_f32 v11, 0x25331f1f, v11 :: v_dual_add_f32 v12, v12, v14
	v_fma_f32 v10, v9, v11, -v10
	s_delay_alu instid0(VALU_DEP_1) | instskip(NEXT) | instid1(VALU_DEP_1)
	v_add_f32_e32 v10, 0xa69f5554, v10
	v_fma_f32 v11, v9, v10, -v11
	s_delay_alu instid0(VALU_DEP_1) | instskip(NEXT) | instid1(VALU_DEP_1)
	v_add_f32_e32 v11, 0x2808ebf8, v11
	;; [unrolled: 3-line block ×25, first 2 shown]
	v_fma_f32 v9, v9, v10, -v11
	v_exp_f32_e32 v10, v12
	v_cvt_i32_f32_e32 v12, v13
	s_delay_alu instid0(VALU_DEP_2) | instskip(NEXT) | instid1(VALU_DEP_1)
	v_add_f32_e32 v9, 0x3e81531c, v9
	v_sub_f32_e32 v9, v9, v11
	s_waitcnt_depctr 0xfff
	v_ldexp_f32 v10, v10, v12
	s_delay_alu instid0(VALU_DEP_1) | instskip(SKIP_1) | instid1(VALU_DEP_2)
	v_dual_mul_f32 v9, 0.5, v9 :: v_dual_cndmask_b32 v10, 0, v10
	v_cmp_nlt_f32_e32 vcc_lo, 0x42b17218, v4
	v_mul_f32_e32 v11, v4, v9
	s_delay_alu instid0(VALU_DEP_3) | instskip(NEXT) | instid1(VALU_DEP_1)
	v_cndmask_b32_e32 v9, 0x7f800000, v10, vcc_lo
	v_mul_f32_e32 v10, v9, v11
.LBB19_109:
	s_and_not1_saveexec_b32 s1, s0
	s_cbranch_execz .LBB19_111
; %bb.110:
	v_div_scale_f32 v9, null, v4, v4, 0x42000000
	v_div_scale_f32 v12, vcc_lo, 0x42000000, v4, 0x42000000
	s_mov_b32 s0, 0x230aab6e
	s_delay_alu instid0(VALU_DEP_2) | instskip(SKIP_2) | instid1(VALU_DEP_1)
	v_rcp_f32_e32 v10, v9
	s_waitcnt_depctr 0xfff
	v_fma_f32 v11, -v9, v10, 1.0
	v_fmac_f32_e32 v10, v11, v10
	s_delay_alu instid0(VALU_DEP_1) | instskip(NEXT) | instid1(VALU_DEP_1)
	v_mul_f32_e32 v11, v12, v10
	v_fma_f32 v13, -v9, v11, v12
	s_delay_alu instid0(VALU_DEP_1) | instskip(SKIP_1) | instid1(VALU_DEP_2)
	v_fmac_f32_e32 v11, v13, v10
	v_mul_f32_e32 v13, 0x3fb8aa3b, v4
	v_fma_f32 v9, -v9, v11, v12
	v_mul_f32_e32 v12, 0x4f800000, v4
	s_delay_alu instid0(VALU_DEP_3) | instskip(SKIP_1) | instid1(VALU_DEP_4)
	v_rndne_f32_e32 v14, v13
	v_fma_f32 v15, 0x3fb8aa3b, v4, -v13
	v_div_fmas_f32 v9, v9, v10, v11
	v_cmp_gt_f32_e32 vcc_lo, 0xf800000, v4
	s_delay_alu instid0(VALU_DEP_4) | instskip(NEXT) | instid1(VALU_DEP_4)
	v_sub_f32_e32 v13, v13, v14
	v_fmamk_f32 v15, v4, 0x32a5705f, v15
	v_cvt_i32_f32_e32 v14, v14
	v_div_fixup_f32 v9, v9, v4, 0x42000000
	s_delay_alu instid0(VALU_DEP_3) | instskip(NEXT) | instid1(VALU_DEP_2)
	v_dual_cndmask_b32 v12, v4, v12 :: v_dual_add_f32 v13, v13, v15
	v_add_f32_e32 v9, -2.0, v9
	s_delay_alu instid0(VALU_DEP_2) | instskip(NEXT) | instid1(VALU_DEP_2)
	v_sqrt_f32_e32 v16, v12
	v_exp_f32_e32 v13, v13
	s_delay_alu instid0(VALU_DEP_1) | instskip(NEXT) | instid1(VALU_DEP_1)
	v_fmaak_f32 v10, s0, v9, 0x22a2dc57
	v_fmaak_f32 v11, v9, v10, 0xa30aab6e
	s_waitcnt_depctr 0xfff
	v_add_nc_u32_e32 v15, -1, v16
	v_add_nc_u32_e32 v17, 1, v16
	v_add_f32_e32 v11, 0xa456751e, v11
	s_delay_alu instid0(VALU_DEP_3) | instskip(NEXT) | instid1(VALU_DEP_3)
	v_fma_f32 v18, -v15, v16, v12
	v_fma_f32 v19, -v17, v16, v12
	s_delay_alu instid0(VALU_DEP_3) | instskip(NEXT) | instid1(VALU_DEP_3)
	v_fma_f32 v10, v9, v11, -v10
	v_cmp_ge_f32_e64 s0, 0, v18
	s_delay_alu instid0(VALU_DEP_2) | instskip(NEXT) | instid1(VALU_DEP_2)
	v_add_f32_e32 v10, 0xa4140365, v10
	v_cndmask_b32_e64 v15, v16, v15, s0
	v_cmp_lt_f32_e64 s0, 0, v19
	s_delay_alu instid0(VALU_DEP_3) | instskip(NEXT) | instid1(VALU_DEP_1)
	v_fma_f32 v11, v9, v10, -v11
	v_add_f32_e32 v11, 0x25aac8b0, v11
	s_delay_alu instid0(VALU_DEP_1) | instskip(NEXT) | instid1(VALU_DEP_1)
	v_fma_f32 v10, v9, v11, -v10
	v_add_f32_e32 v10, 0x25beb473, v10
	s_delay_alu instid0(VALU_DEP_1) | instskip(NEXT) | instid1(VALU_DEP_1)
	;; [unrolled: 3-line block ×19, first 2 shown]
	v_fma_f32 v10, v9, v11, -v10
	v_add_f32_e32 v10, 0xbc1fed03, v10
	s_delay_alu instid0(VALU_DEP_1) | instskip(SKIP_3) | instid1(VALU_DEP_4)
	v_fma_f32 v9, v9, v10, -v11
	v_ldexp_f32 v10, v13, v14
	v_cndmask_b32_e64 v13, v15, v17, s0
	v_cmp_ngt_f32_e64 s0, 0xc2ce8ed0, v4
	v_add_f32_e32 v9, 0x3f4750c6, v9
	s_delay_alu instid0(VALU_DEP_3) | instskip(NEXT) | instid1(VALU_DEP_3)
	v_mul_f32_e32 v14, 0x37800000, v13
	v_cndmask_b32_e64 v10, 0, v10, s0
	v_cmp_nlt_f32_e64 s0, 0x42b17218, v4
	s_delay_alu instid0(VALU_DEP_4) | instskip(NEXT) | instid1(VALU_DEP_2)
	v_sub_f32_e32 v11, v9, v11
	v_cndmask_b32_e64 v9, 0x7f800000, v10, s0
	s_delay_alu instid0(VALU_DEP_2) | instskip(SKIP_1) | instid1(VALU_DEP_2)
	v_dual_cndmask_b32 v10, v13, v14 :: v_dual_mul_f32 v11, 0.5, v11
	v_cmp_class_f32_e64 vcc_lo, v12, 0x260
	v_dual_mul_f32 v11, v9, v11 :: v_dual_cndmask_b32 v10, v10, v12
	s_delay_alu instid0(VALU_DEP_1) | instskip(NEXT) | instid1(VALU_DEP_1)
	v_div_scale_f32 v12, null, v10, v10, v11
	v_rcp_f32_e32 v13, v12
	s_waitcnt_depctr 0xfff
	v_fma_f32 v14, -v12, v13, 1.0
	s_delay_alu instid0(VALU_DEP_1) | instskip(SKIP_1) | instid1(VALU_DEP_1)
	v_fmac_f32_e32 v13, v14, v13
	v_div_scale_f32 v14, vcc_lo, v11, v10, v11
	v_mul_f32_e32 v15, v14, v13
	s_delay_alu instid0(VALU_DEP_1) | instskip(NEXT) | instid1(VALU_DEP_1)
	v_fma_f32 v16, -v12, v15, v14
	v_fmac_f32_e32 v15, v16, v13
	s_delay_alu instid0(VALU_DEP_1) | instskip(NEXT) | instid1(VALU_DEP_1)
	v_fma_f32 v12, -v12, v15, v14
	v_div_fmas_f32 v12, v12, v13, v15
	s_delay_alu instid0(VALU_DEP_1)
	v_div_fixup_f32 v10, v12, v10, v11
.LBB19_111:
	s_or_b32 exec_lo, exec_lo, s1
	v_fma_f32 v11, v4, v4, -2.0
	s_mov_b32 s0, 0xa3019142
	v_cmp_gt_f32_e32 vcc_lo, 0x800000, v5
	s_delay_alu instid0(VALU_DEP_2) | instskip(NEXT) | instid1(VALU_DEP_1)
	v_fmaak_f32 v12, s0, v11, 0xa72eea8c
	v_fmaak_f32 v13, v11, v12, 0x23019142
	s_delay_alu instid0(VALU_DEP_1) | instskip(NEXT) | instid1(VALU_DEP_1)
	v_add_f32_e32 v13, 0xab3ba817, v13
	v_fma_f32 v12, v11, v13, -v12
	s_delay_alu instid0(VALU_DEP_1) | instskip(NEXT) | instid1(VALU_DEP_1)
	v_add_f32_e32 v12, 0xaf1b31de, v12
	v_fma_f32 v13, v11, v12, -v13
	;; [unrolled: 3-line block ×8, first 2 shown]
	s_delay_alu instid0(VALU_DEP_1) | instskip(NEXT) | instid1(VALU_DEP_1)
	v_add_f32_e32 v11, 0x3fc33d0a, v11
	v_sub_f32_e32 v11, v11, v13
	v_cndmask_b32_e64 v13, 1.0, 0x4f800000, vcc_lo
	s_delay_alu instid0(VALU_DEP_2) | instskip(NEXT) | instid1(VALU_DEP_2)
	v_mul_f32_e32 v11, 0.5, v11
	v_mul_f32_e32 v5, v5, v13
	s_delay_alu instid0(VALU_DEP_2) | instskip(NEXT) | instid1(VALU_DEP_2)
	v_div_scale_f32 v12, null, v4, v4, v11
	v_log_f32_e32 v5, v5
	v_div_scale_f32 v15, s0, v11, v4, v11
	s_delay_alu instid0(VALU_DEP_2) | instskip(SKIP_3) | instid1(VALU_DEP_1)
	v_rcp_f32_e32 v14, v12
	s_waitcnt_depctr 0xfff
	v_cmp_gt_f32_e64 s1, 0x7f800000, |v5|
	v_fma_f32 v13, -v12, v14, 1.0
	v_dual_fmac_f32 v14, v13, v14 :: v_dual_mul_f32 v13, 0x3f317217, v5
	s_delay_alu instid0(VALU_DEP_1) | instskip(NEXT) | instid1(VALU_DEP_2)
	v_mul_f32_e32 v16, v15, v14
	v_fma_f32 v17, 0x3f317217, v5, -v13
	s_delay_alu instid0(VALU_DEP_2) | instskip(NEXT) | instid1(VALU_DEP_1)
	v_fma_f32 v18, -v12, v16, v15
	v_dual_fmamk_f32 v17, v5, 0x3377d1cf, v17 :: v_dual_fmac_f32 v16, v18, v14
	s_delay_alu instid0(VALU_DEP_1) | instskip(NEXT) | instid1(VALU_DEP_2)
	v_add_f32_e32 v13, v13, v17
	v_fma_f32 v12, -v12, v16, v15
	s_delay_alu instid0(VALU_DEP_2) | instskip(SKIP_2) | instid1(VALU_DEP_3)
	v_cndmask_b32_e64 v5, v5, v13, s1
	v_cndmask_b32_e64 v13, 0, 0x41b17218, vcc_lo
	s_mov_b32 vcc_lo, s0
	v_div_fmas_f32 v12, v12, v14, v16
	s_delay_alu instid0(VALU_DEP_2) | instskip(NEXT) | instid1(VALU_DEP_2)
	v_sub_f32_e32 v5, v5, v13
	v_div_fixup_f32 v4, v12, v4, v11
	s_delay_alu instid0(VALU_DEP_1) | instskip(NEXT) | instid1(VALU_DEP_1)
	v_fmac_f32_e32 v4, v5, v10
	v_mul_f32_e32 v5, v9, v4
                                        ; implicit-def: $vgpr4
.LBB19_112:
	s_and_not1_saveexec_b32 s1, s6
	s_cbranch_execz .LBB19_114
; %bb.113:
	v_div_scale_f32 v5, null, v4, v4, 0x41000000
	v_div_scale_f32 v11, vcc_lo, 0x41000000, v4, 0x41000000
	s_mov_b32 s0, 0xa2d462ea
	s_delay_alu instid0(VALU_DEP_2) | instskip(SKIP_2) | instid1(VALU_DEP_1)
	v_rcp_f32_e32 v9, v5
	s_waitcnt_depctr 0xfff
	v_fma_f32 v10, -v5, v9, 1.0
	v_fmac_f32_e32 v9, v10, v9
	s_delay_alu instid0(VALU_DEP_1) | instskip(NEXT) | instid1(VALU_DEP_1)
	v_mul_f32_e32 v10, v11, v9
	v_fma_f32 v12, -v5, v10, v11
	s_delay_alu instid0(VALU_DEP_1) | instskip(NEXT) | instid1(VALU_DEP_1)
	v_fmac_f32_e32 v10, v12, v9
	v_fma_f32 v5, -v5, v10, v11
	v_mul_f32_e32 v11, 0x4f800000, v4
	s_delay_alu instid0(VALU_DEP_2) | instskip(SKIP_1) | instid1(VALU_DEP_2)
	v_div_fmas_f32 v5, v5, v9, v10
	v_cmp_gt_f32_e32 vcc_lo, 0xf800000, v4
	v_div_fixup_f32 v5, v5, v4, 0x41000000
	s_delay_alu instid0(VALU_DEP_1) | instskip(NEXT) | instid1(VALU_DEP_1)
	v_dual_cndmask_b32 v4, v4, v11 :: v_dual_add_f32 v5, -2.0, v5
	v_sqrt_f32_e32 v11, v4
	s_waitcnt_depctr 0xfff
	v_dual_fmaak_f32 v9, s0, v5, 0x23a578d4 :: v_dual_add_nc_u32 v12, -1, v11
	s_delay_alu instid0(VALU_DEP_1) | instskip(NEXT) | instid1(VALU_DEP_2)
	v_dual_fmaak_f32 v10, v5, v9, 0x22d462ea :: v_dual_add_nc_u32 v13, 1, v11
	v_fma_f32 v14, -v12, v11, v4
	s_delay_alu instid0(VALU_DEP_2) | instskip(NEXT) | instid1(VALU_DEP_3)
	v_add_f32_e32 v10, 0xa48330a9, v10
	v_fma_f32 v15, -v13, v11, v4
	s_delay_alu instid0(VALU_DEP_3) | instskip(NEXT) | instid1(VALU_DEP_3)
	v_cmp_ge_f32_e64 s0, 0, v14
	v_fma_f32 v9, v5, v10, -v9
	s_delay_alu instid0(VALU_DEP_2) | instskip(NEXT) | instid1(VALU_DEP_2)
	v_cndmask_b32_e64 v11, v11, v12, s0
	v_add_f32_e32 v9, 0x2553eaf2, v9
	v_cmp_lt_f32_e64 s0, 0, v15
	s_delay_alu instid0(VALU_DEP_2) | instskip(NEXT) | instid1(VALU_DEP_2)
	v_fma_f32 v10, v5, v9, -v10
	v_cndmask_b32_e64 v11, v11, v13, s0
	s_delay_alu instid0(VALU_DEP_2) | instskip(NEXT) | instid1(VALU_DEP_1)
	v_add_f32_e32 v10, 0xa62e951f, v10
	v_fma_f32 v9, v5, v10, -v9
	s_delay_alu instid0(VALU_DEP_1) | instskip(NEXT) | instid1(VALU_DEP_1)
	v_add_f32_e32 v9, 0x2712e76f, v9
	v_fma_f32 v10, v5, v9, -v10
	s_delay_alu instid0(VALU_DEP_1) | instskip(NEXT) | instid1(VALU_DEP_1)
	;; [unrolled: 3-line block ×19, first 2 shown]
	v_add_f32_e32 v9, 0x3dd4d5f8, v9
	v_fma_f32 v5, v5, v9, -v10
	v_mul_f32_e32 v9, 0x37800000, v11
	s_delay_alu instid0(VALU_DEP_1) | instskip(SKIP_1) | instid1(VALU_DEP_2)
	v_cndmask_b32_e32 v9, v11, v9, vcc_lo
	v_cmp_class_f32_e64 vcc_lo, v4, 0x260
	v_dual_add_f32 v5, 0x402e1ebd, v5 :: v_dual_cndmask_b32 v4, v9, v4
	s_delay_alu instid0(VALU_DEP_1) | instskip(NEXT) | instid1(VALU_DEP_1)
	v_sub_f32_e32 v5, v5, v10
	v_mul_f32_e32 v5, 0.5, v5
	s_delay_alu instid0(VALU_DEP_1) | instskip(NEXT) | instid1(VALU_DEP_1)
	v_div_scale_f32 v9, null, v4, v4, v5
	v_rcp_f32_e32 v10, v9
	s_waitcnt_depctr 0xfff
	v_fma_f32 v11, -v9, v10, 1.0
	s_delay_alu instid0(VALU_DEP_1) | instskip(SKIP_1) | instid1(VALU_DEP_1)
	v_fmac_f32_e32 v10, v11, v10
	v_div_scale_f32 v11, vcc_lo, v5, v4, v5
	v_mul_f32_e32 v12, v11, v10
	s_delay_alu instid0(VALU_DEP_1) | instskip(NEXT) | instid1(VALU_DEP_1)
	v_fma_f32 v13, -v9, v12, v11
	v_fmac_f32_e32 v12, v13, v10
	s_delay_alu instid0(VALU_DEP_1) | instskip(NEXT) | instid1(VALU_DEP_1)
	v_fma_f32 v9, -v9, v12, v11
	v_div_fmas_f32 v9, v9, v10, v12
	s_delay_alu instid0(VALU_DEP_1)
	v_div_fixup_f32 v5, v9, v4, v5
.LBB19_114:
	s_or_b32 exec_lo, exec_lo, s1
.LBB19_115:
	s_delay_alu instid0(SALU_CYCLE_1)
	s_or_b32 exec_lo, exec_lo, s3
.LBB19_116:
	s_delay_alu instid0(SALU_CYCLE_1)
	s_or_b32 exec_lo, exec_lo, s2
	s_clause 0x3
	global_store_b32 v0, v8, s[4:5]
	global_store_b32 v1, v7, s[4:5]
	;; [unrolled: 1-line block ×4, first 2 shown]
	s_nop 0
	s_sendmsg sendmsg(MSG_DEALLOC_VGPRS)
	s_endpgm
.LBB19_117:
	v_mov_b32_e32 v3, v2
	v_mov_b32_e32 v1, 0
.LBB19_118:
	s_and_b32 s34, s34, 3
	s_delay_alu instid0(SALU_CYCLE_1)
	s_cmp_eq_u32 s34, 0
	s_cbranch_scc1 .LBB19_121
; %bb.119:
	s_lshl_b32 s2, s33, 3
	s_mul_i32 s20, s33, 12
	s_add_u32 s2, s2, s0
	s_addc_u32 s3, s1, 0
	s_add_u32 s2, s2, 0xc4
	s_addc_u32 s3, s3, 0
	;; [unrolled: 2-line block ×3, first 2 shown]
	.p2align	6
.LBB19_120:                             ; =>This Inner Loop Header: Depth=1
	s_clause 0x1
	s_load_b64 s[36:37], s[20:21], 0x4
	s_load_b32 s33, s[20:21], 0xc
	s_load_b64 s[38:39], s[2:3], 0x0
	s_add_u32 s20, s20, 12
	s_addc_u32 s21, s21, 0
	s_add_u32 s2, s2, 8
	s_addc_u32 s3, s3, 0
	s_add_i32 s34, s34, -1
	s_delay_alu instid0(SALU_CYCLE_1) | instskip(SKIP_2) | instid1(VALU_DEP_1)
	s_cmp_lg_u32 s34, 0
	s_waitcnt lgkmcnt(0)
	v_mul_hi_u32 v4, s37, v3
	v_add_nc_u32_e32 v4, v3, v4
	s_delay_alu instid0(VALU_DEP_1) | instskip(NEXT) | instid1(VALU_DEP_1)
	v_lshrrev_b32_e32 v7, s33, v4
	v_mul_lo_u32 v4, v7, s36
	s_delay_alu instid0(VALU_DEP_1) | instskip(NEXT) | instid1(VALU_DEP_1)
	v_sub_nc_u32_e32 v3, v3, v4
	v_mad_u64_u32 v[4:5], null, v3, s38, v[0:1]
	v_mad_u64_u32 v[5:6], null, v3, s39, v[1:2]
	s_delay_alu instid0(VALU_DEP_2) | instskip(NEXT) | instid1(VALU_DEP_2)
	v_dual_mov_b32 v3, v7 :: v_dual_mov_b32 v0, v4
	v_mov_b32_e32 v1, v5
	s_cbranch_scc1 .LBB19_120
.LBB19_121:
	s_and_not1_b32 vcc_lo, exec_lo, s31
	s_cbranch_vccnz .LBB19_124
; %bb.122:
	s_waitcnt lgkmcnt(0)
	v_mul_hi_u32 v0, s13, v2
	s_and_not1_b32 vcc_lo, exec_lo, s26
	s_delay_alu instid0(VALU_DEP_1) | instskip(NEXT) | instid1(VALU_DEP_1)
	v_add_nc_u32_e32 v0, v2, v0
	v_lshrrev_b32_e32 v3, s14, v0
	s_delay_alu instid0(VALU_DEP_1) | instskip(NEXT) | instid1(VALU_DEP_1)
	v_mul_lo_u32 v0, v3, s12
	v_sub_nc_u32_e32 v1, v2, v0
	s_delay_alu instid0(VALU_DEP_1)
	v_mul_lo_u32 v0, v1, s8
	v_mul_lo_u32 v1, v1, s9
	s_cbranch_vccnz .LBB19_124
; %bb.123:
	v_mul_hi_u32 v4, s16, v3
	s_delay_alu instid0(VALU_DEP_1) | instskip(NEXT) | instid1(VALU_DEP_1)
	v_add_nc_u32_e32 v4, v3, v4
	v_lshrrev_b32_e32 v4, s17, v4
	s_delay_alu instid0(VALU_DEP_1) | instskip(NEXT) | instid1(VALU_DEP_1)
	v_mul_lo_u32 v4, v4, s15
	v_sub_nc_u32_e32 v6, v3, v4
	s_delay_alu instid0(VALU_DEP_1) | instskip(SKIP_1) | instid1(VALU_DEP_1)
	v_mad_u64_u32 v[3:4], null, v6, s10, v[0:1]
	v_mad_u64_u32 v[4:5], null, v6, s11, v[1:2]
	v_dual_mov_b32 v0, v3 :: v_dual_mov_b32 v1, v4
.LBB19_124:
	s_waitcnt lgkmcnt(0)
	global_load_b32 v1, v1, s[6:7]
	v_mov_b32_e32 v3, 0x7f800000
	s_mov_b32 s20, exec_lo
	s_waitcnt vmcnt(0)
	v_cmpx_neq_f32_e32 0, v1
	s_cbranch_execz .LBB19_136
; %bb.125:
	v_mov_b32_e32 v3, 0x7fc00000
	s_mov_b32 s21, exec_lo
	v_cmpx_ngt_f32_e32 0, v1
	s_cbranch_execz .LBB19_135
; %bb.126:
                                        ; implicit-def: $vgpr3
	s_mov_b32 s2, exec_lo
	v_cmpx_ge_f32_e32 2.0, v1
	s_xor_b32 s31, exec_lo, s2
	s_cbranch_execz .LBB19_132
; %bb.127:
	v_mul_f32_e32 v3, 0.5, v1
	s_mov_b32 s2, exec_lo
                                        ; implicit-def: $vgpr5
                                        ; implicit-def: $vgpr4
	v_cmpx_ge_f32_e32 0x41000000, v1
	s_xor_b32 s2, exec_lo, s2
	s_cbranch_execz .LBB19_129
; %bb.128:
	v_add_f32_e32 v4, -2.0, v3
	s_mov_b32 s3, 0x224cf950
	v_mul_f32_e32 v7, 0x3fb8aa3b, v1
	v_cmp_ngt_f32_e32 vcc_lo, 0xc2ce8ed0, v1
	s_delay_alu instid0(VALU_DEP_3) | instskip(NEXT) | instid1(VALU_DEP_3)
	v_fmaak_f32 v5, s3, v4, 0xa3c2be86
	v_rndne_f32_e32 v8, v7
	v_fma_f32 v9, 0x3fb8aa3b, v1, -v7
	s_delay_alu instid0(VALU_DEP_2) | instskip(NEXT) | instid1(VALU_DEP_2)
	v_dual_fmaak_f32 v6, v4, v5, 0xa24cf950 :: v_dual_sub_f32 v7, v7, v8
	v_fmamk_f32 v9, v1, 0x32a5705f, v9
	s_delay_alu instid0(VALU_DEP_1) | instskip(NEXT) | instid1(VALU_DEP_1)
	v_dual_add_f32 v6, 0x25331f1f, v6 :: v_dual_add_f32 v7, v7, v9
	v_fma_f32 v5, v4, v6, -v5
	s_delay_alu instid0(VALU_DEP_1) | instskip(NEXT) | instid1(VALU_DEP_1)
	v_add_f32_e32 v5, 0xa69f5554, v5
	v_fma_f32 v6, v4, v5, -v6
	s_delay_alu instid0(VALU_DEP_1) | instskip(NEXT) | instid1(VALU_DEP_1)
	v_add_f32_e32 v6, 0x2808ebf8, v6
	v_fma_f32 v5, v4, v6, -v5
	s_delay_alu instid0(VALU_DEP_1) | instskip(NEXT) | instid1(VALU_DEP_1)
	v_add_f32_e32 v5, 0xa9631471, v5
	v_fma_f32 v6, v4, v5, -v6
	s_delay_alu instid0(VALU_DEP_1) | instskip(NEXT) | instid1(VALU_DEP_1)
	v_add_f32_e32 v6, 0x2ab57bc2, v6
	v_fma_f32 v5, v4, v6, -v5
	s_delay_alu instid0(VALU_DEP_1) | instskip(NEXT) | instid1(VALU_DEP_1)
	v_add_f32_e32 v5, 0xac0b9c1b, v5
	v_fma_f32 v6, v4, v5, -v6
	s_delay_alu instid0(VALU_DEP_1) | instskip(NEXT) | instid1(VALU_DEP_1)
	v_add_f32_e32 v6, 0x2d4e7716, v6
	v_fma_f32 v5, v4, v6, -v5
	s_delay_alu instid0(VALU_DEP_1) | instskip(NEXT) | instid1(VALU_DEP_1)
	v_add_f32_e32 v5, 0xae92881d, v5
	v_fma_f32 v6, v4, v5, -v6
	s_delay_alu instid0(VALU_DEP_1) | instskip(NEXT) | instid1(VALU_DEP_1)
	v_add_f32_e32 v6, 0x2fc751a6, v6
	v_fma_f32 v5, v4, v6, -v5
	s_delay_alu instid0(VALU_DEP_1) | instskip(NEXT) | instid1(VALU_DEP_1)
	v_add_f32_e32 v5, 0xb101b0d9, v5
	v_fma_f32 v6, v4, v5, -v6
	s_delay_alu instid0(VALU_DEP_1) | instskip(NEXT) | instid1(VALU_DEP_1)
	v_add_f32_e32 v6, 0x32212c70, v6
	v_fma_f32 v5, v4, v6, -v5
	s_delay_alu instid0(VALU_DEP_1) | instskip(NEXT) | instid1(VALU_DEP_1)
	v_add_f32_e32 v5, 0xb33ee9f1, v5
	v_fma_f32 v6, v4, v5, -v6
	s_delay_alu instid0(VALU_DEP_1) | instskip(NEXT) | instid1(VALU_DEP_1)
	v_add_f32_e32 v6, 0x34571a26, v6
	v_fma_f32 v5, v4, v6, -v5
	s_delay_alu instid0(VALU_DEP_1) | instskip(NEXT) | instid1(VALU_DEP_1)
	v_add_f32_e32 v5, 0xb56603cc, v5
	v_fma_f32 v6, v4, v5, -v6
	s_delay_alu instid0(VALU_DEP_1) | instskip(NEXT) | instid1(VALU_DEP_1)
	v_add_f32_e32 v6, 0x3668e277, v6
	v_fma_f32 v5, v4, v6, -v5
	s_delay_alu instid0(VALU_DEP_1) | instskip(NEXT) | instid1(VALU_DEP_1)
	v_add_f32_e32 v5, 0xb75eafce, v5
	v_fma_f32 v6, v4, v5, -v6
	s_delay_alu instid0(VALU_DEP_1) | instskip(NEXT) | instid1(VALU_DEP_1)
	v_add_f32_e32 v6, 0x38488daa, v6
	v_fma_f32 v5, v4, v6, -v5
	s_delay_alu instid0(VALU_DEP_1) | instskip(NEXT) | instid1(VALU_DEP_1)
	v_add_f32_e32 v5, 0xb9299e57, v5
	v_fma_f32 v6, v4, v5, -v6
	s_delay_alu instid0(VALU_DEP_1) | instskip(NEXT) | instid1(VALU_DEP_1)
	v_add_f32_e32 v6, 0x3a064aee, v6
	v_fma_f32 v5, v4, v6, -v5
	s_delay_alu instid0(VALU_DEP_1) | instskip(NEXT) | instid1(VALU_DEP_1)
	v_add_f32_e32 v5, 0xbac66310, v5
	v_fma_f32 v6, v4, v5, -v6
	s_delay_alu instid0(VALU_DEP_1) | instskip(NEXT) | instid1(VALU_DEP_1)
	v_add_f32_e32 v6, 0x3b88329a, v6
	v_fma_f32 v5, v4, v6, -v5
	s_delay_alu instid0(VALU_DEP_1) | instskip(NEXT) | instid1(VALU_DEP_1)
	v_add_f32_e32 v5, 0xbc2d14fc, v5
	v_fma_f32 v6, v4, v5, -v6
	s_delay_alu instid0(VALU_DEP_1) | instskip(NEXT) | instid1(VALU_DEP_1)
	v_add_f32_e32 v6, 0x3cca8f1f, v6
	v_fma_f32 v5, v4, v6, -v5
	s_delay_alu instid0(VALU_DEP_1) | instskip(NEXT) | instid1(VALU_DEP_1)
	v_add_f32_e32 v5, 0xbd58dde3, v5
	v_fma_f32 v6, v4, v5, -v6
	s_delay_alu instid0(VALU_DEP_1) | instskip(NEXT) | instid1(VALU_DEP_1)
	v_add_f32_e32 v6, 0x3dd236d7, v6
	v_fma_f32 v5, v4, v6, -v5
	s_delay_alu instid0(VALU_DEP_1) | instskip(NEXT) | instid1(VALU_DEP_1)
	v_add_f32_e32 v5, 0xbe34a688, v5
	v_fma_f32 v4, v4, v5, -v6
	v_exp_f32_e32 v5, v7
	v_cvt_i32_f32_e32 v7, v8
	s_delay_alu instid0(VALU_DEP_2) | instskip(NEXT) | instid1(VALU_DEP_1)
	v_add_f32_e32 v4, 0x3e81531c, v4
	v_sub_f32_e32 v4, v4, v6
	s_waitcnt_depctr 0xfff
	v_ldexp_f32 v5, v5, v7
	s_delay_alu instid0(VALU_DEP_1) | instskip(SKIP_1) | instid1(VALU_DEP_2)
	v_dual_mul_f32 v4, 0.5, v4 :: v_dual_cndmask_b32 v5, 0, v5
	v_cmp_nlt_f32_e32 vcc_lo, 0x42b17218, v1
	v_mul_f32_e32 v6, v1, v4
	s_delay_alu instid0(VALU_DEP_3) | instskip(NEXT) | instid1(VALU_DEP_1)
	v_cndmask_b32_e32 v4, 0x7f800000, v5, vcc_lo
	v_mul_f32_e32 v5, v4, v6
.LBB19_129:
	s_and_not1_saveexec_b32 s3, s2
	s_cbranch_execz .LBB19_131
; %bb.130:
	v_div_scale_f32 v4, null, v1, v1, 0x42000000
	v_div_scale_f32 v7, vcc_lo, 0x42000000, v1, 0x42000000
	s_mov_b32 s2, 0x230aab6e
	s_delay_alu instid0(VALU_DEP_2) | instskip(SKIP_2) | instid1(VALU_DEP_1)
	v_rcp_f32_e32 v5, v4
	s_waitcnt_depctr 0xfff
	v_fma_f32 v6, -v4, v5, 1.0
	v_fmac_f32_e32 v5, v6, v5
	s_delay_alu instid0(VALU_DEP_1) | instskip(NEXT) | instid1(VALU_DEP_1)
	v_mul_f32_e32 v6, v7, v5
	v_fma_f32 v8, -v4, v6, v7
	s_delay_alu instid0(VALU_DEP_1) | instskip(SKIP_1) | instid1(VALU_DEP_2)
	v_fmac_f32_e32 v6, v8, v5
	v_mul_f32_e32 v8, 0x3fb8aa3b, v1
	v_fma_f32 v4, -v4, v6, v7
	v_mul_f32_e32 v7, 0x4f800000, v1
	s_delay_alu instid0(VALU_DEP_3) | instskip(SKIP_1) | instid1(VALU_DEP_4)
	v_rndne_f32_e32 v9, v8
	v_fma_f32 v10, 0x3fb8aa3b, v1, -v8
	v_div_fmas_f32 v4, v4, v5, v6
	v_cmp_gt_f32_e32 vcc_lo, 0xf800000, v1
	s_delay_alu instid0(VALU_DEP_4) | instskip(NEXT) | instid1(VALU_DEP_4)
	v_sub_f32_e32 v8, v8, v9
	v_fmamk_f32 v10, v1, 0x32a5705f, v10
	v_cvt_i32_f32_e32 v9, v9
	v_div_fixup_f32 v4, v4, v1, 0x42000000
	s_delay_alu instid0(VALU_DEP_3) | instskip(NEXT) | instid1(VALU_DEP_2)
	v_dual_cndmask_b32 v7, v1, v7 :: v_dual_add_f32 v8, v8, v10
	v_add_f32_e32 v4, -2.0, v4
	s_delay_alu instid0(VALU_DEP_2) | instskip(NEXT) | instid1(VALU_DEP_2)
	v_sqrt_f32_e32 v11, v7
	v_exp_f32_e32 v8, v8
	s_delay_alu instid0(VALU_DEP_1) | instskip(NEXT) | instid1(VALU_DEP_1)
	v_fmaak_f32 v5, s2, v4, 0x22a2dc57
	v_fmaak_f32 v6, v4, v5, 0xa30aab6e
	s_waitcnt_depctr 0xfff
	v_add_nc_u32_e32 v10, -1, v11
	v_add_nc_u32_e32 v12, 1, v11
	v_add_f32_e32 v6, 0xa456751e, v6
	s_delay_alu instid0(VALU_DEP_3) | instskip(NEXT) | instid1(VALU_DEP_3)
	v_fma_f32 v13, -v10, v11, v7
	v_fma_f32 v14, -v12, v11, v7
	s_delay_alu instid0(VALU_DEP_3) | instskip(NEXT) | instid1(VALU_DEP_3)
	v_fma_f32 v5, v4, v6, -v5
	v_cmp_ge_f32_e64 s2, 0, v13
	s_delay_alu instid0(VALU_DEP_2) | instskip(NEXT) | instid1(VALU_DEP_2)
	v_add_f32_e32 v5, 0xa4140365, v5
	v_cndmask_b32_e64 v10, v11, v10, s2
	v_cmp_lt_f32_e64 s2, 0, v14
	s_delay_alu instid0(VALU_DEP_3) | instskip(NEXT) | instid1(VALU_DEP_1)
	v_fma_f32 v6, v4, v5, -v6
	v_add_f32_e32 v6, 0x25aac8b0, v6
	s_delay_alu instid0(VALU_DEP_1) | instskip(NEXT) | instid1(VALU_DEP_1)
	v_fma_f32 v5, v4, v6, -v5
	v_add_f32_e32 v5, 0x25beb473, v5
	s_delay_alu instid0(VALU_DEP_1) | instskip(NEXT) | instid1(VALU_DEP_1)
	;; [unrolled: 3-line block ×19, first 2 shown]
	v_fma_f32 v5, v4, v6, -v5
	v_add_f32_e32 v5, 0xbc1fed03, v5
	s_delay_alu instid0(VALU_DEP_1) | instskip(SKIP_3) | instid1(VALU_DEP_4)
	v_fma_f32 v4, v4, v5, -v6
	v_ldexp_f32 v5, v8, v9
	v_cndmask_b32_e64 v8, v10, v12, s2
	v_cmp_ngt_f32_e64 s2, 0xc2ce8ed0, v1
	v_add_f32_e32 v4, 0x3f4750c6, v4
	s_delay_alu instid0(VALU_DEP_3) | instskip(NEXT) | instid1(VALU_DEP_3)
	v_mul_f32_e32 v9, 0x37800000, v8
	v_cndmask_b32_e64 v5, 0, v5, s2
	v_cmp_nlt_f32_e64 s2, 0x42b17218, v1
	s_delay_alu instid0(VALU_DEP_4) | instskip(NEXT) | instid1(VALU_DEP_2)
	v_sub_f32_e32 v6, v4, v6
	v_cndmask_b32_e64 v4, 0x7f800000, v5, s2
	s_delay_alu instid0(VALU_DEP_2) | instskip(SKIP_1) | instid1(VALU_DEP_2)
	v_dual_cndmask_b32 v5, v8, v9 :: v_dual_mul_f32 v6, 0.5, v6
	v_cmp_class_f32_e64 vcc_lo, v7, 0x260
	v_dual_mul_f32 v6, v4, v6 :: v_dual_cndmask_b32 v5, v5, v7
	s_delay_alu instid0(VALU_DEP_1) | instskip(NEXT) | instid1(VALU_DEP_1)
	v_div_scale_f32 v7, null, v5, v5, v6
	v_rcp_f32_e32 v8, v7
	s_waitcnt_depctr 0xfff
	v_fma_f32 v9, -v7, v8, 1.0
	s_delay_alu instid0(VALU_DEP_1) | instskip(SKIP_1) | instid1(VALU_DEP_1)
	v_fmac_f32_e32 v8, v9, v8
	v_div_scale_f32 v9, vcc_lo, v6, v5, v6
	v_mul_f32_e32 v10, v9, v8
	s_delay_alu instid0(VALU_DEP_1) | instskip(NEXT) | instid1(VALU_DEP_1)
	v_fma_f32 v11, -v7, v10, v9
	v_fmac_f32_e32 v10, v11, v8
	s_delay_alu instid0(VALU_DEP_1) | instskip(NEXT) | instid1(VALU_DEP_1)
	v_fma_f32 v7, -v7, v10, v9
	v_div_fmas_f32 v7, v7, v8, v10
	s_delay_alu instid0(VALU_DEP_1)
	v_div_fixup_f32 v5, v7, v5, v6
.LBB19_131:
	s_or_b32 exec_lo, exec_lo, s3
	v_fma_f32 v6, v1, v1, -2.0
	s_mov_b32 s2, 0xa3019142
	v_cmp_gt_f32_e32 vcc_lo, 0x800000, v3
	s_delay_alu instid0(VALU_DEP_2) | instskip(NEXT) | instid1(VALU_DEP_1)
	v_fmaak_f32 v7, s2, v6, 0xa72eea8c
	v_fmaak_f32 v8, v6, v7, 0x23019142
	s_delay_alu instid0(VALU_DEP_1) | instskip(NEXT) | instid1(VALU_DEP_1)
	v_add_f32_e32 v8, 0xab3ba817, v8
	v_fma_f32 v7, v6, v8, -v7
	s_delay_alu instid0(VALU_DEP_1) | instskip(NEXT) | instid1(VALU_DEP_1)
	v_add_f32_e32 v7, 0xaf1b31de, v7
	v_fma_f32 v8, v6, v7, -v8
	;; [unrolled: 3-line block ×8, first 2 shown]
	s_delay_alu instid0(VALU_DEP_1) | instskip(NEXT) | instid1(VALU_DEP_1)
	v_add_f32_e32 v6, 0x3fc33d0a, v6
	v_sub_f32_e32 v6, v6, v8
	v_cndmask_b32_e64 v8, 1.0, 0x4f800000, vcc_lo
	s_delay_alu instid0(VALU_DEP_1) | instskip(NEXT) | instid1(VALU_DEP_1)
	v_dual_mul_f32 v6, 0.5, v6 :: v_dual_mul_f32 v3, v3, v8
	v_div_scale_f32 v7, null, v1, v1, v6
	s_delay_alu instid0(VALU_DEP_2) | instskip(SKIP_1) | instid1(VALU_DEP_2)
	v_log_f32_e32 v3, v3
	v_div_scale_f32 v10, s2, v6, v1, v6
	v_rcp_f32_e32 v9, v7
	s_waitcnt_depctr 0xfff
	v_cmp_gt_f32_e64 s3, 0x7f800000, |v3|
	v_fma_f32 v8, -v7, v9, 1.0
	s_delay_alu instid0(VALU_DEP_1) | instskip(NEXT) | instid1(VALU_DEP_1)
	v_dual_fmac_f32 v9, v8, v9 :: v_dual_mul_f32 v8, 0x3f317217, v3
	v_mul_f32_e32 v11, v10, v9
	s_delay_alu instid0(VALU_DEP_2) | instskip(NEXT) | instid1(VALU_DEP_2)
	v_fma_f32 v12, 0x3f317217, v3, -v8
	v_fma_f32 v13, -v7, v11, v10
	s_delay_alu instid0(VALU_DEP_1) | instskip(NEXT) | instid1(VALU_DEP_1)
	v_dual_fmamk_f32 v12, v3, 0x3377d1cf, v12 :: v_dual_fmac_f32 v11, v13, v9
	v_add_f32_e32 v8, v8, v12
	s_delay_alu instid0(VALU_DEP_2) | instskip(NEXT) | instid1(VALU_DEP_2)
	v_fma_f32 v7, -v7, v11, v10
	v_cndmask_b32_e64 v3, v3, v8, s3
	v_cndmask_b32_e64 v8, 0, 0x41b17218, vcc_lo
	s_mov_b32 vcc_lo, s2
	s_delay_alu instid0(VALU_DEP_3) | instskip(NEXT) | instid1(VALU_DEP_2)
	v_div_fmas_f32 v7, v7, v9, v11
	v_sub_f32_e32 v3, v3, v8
	s_delay_alu instid0(VALU_DEP_2) | instskip(NEXT) | instid1(VALU_DEP_1)
	v_div_fixup_f32 v1, v7, v1, v6
	v_fmac_f32_e32 v1, v3, v5
	s_delay_alu instid0(VALU_DEP_1)
	v_mul_f32_e32 v3, v4, v1
                                        ; implicit-def: $vgpr1
.LBB19_132:
	s_and_not1_saveexec_b32 s3, s31
	s_cbranch_execz .LBB19_134
; %bb.133:
	v_div_scale_f32 v3, null, v1, v1, 0x41000000
	v_div_scale_f32 v6, vcc_lo, 0x41000000, v1, 0x41000000
	s_mov_b32 s2, 0xa2d462ea
	s_delay_alu instid0(VALU_DEP_2) | instskip(SKIP_2) | instid1(VALU_DEP_1)
	v_rcp_f32_e32 v4, v3
	s_waitcnt_depctr 0xfff
	v_fma_f32 v5, -v3, v4, 1.0
	v_fmac_f32_e32 v4, v5, v4
	s_delay_alu instid0(VALU_DEP_1) | instskip(NEXT) | instid1(VALU_DEP_1)
	v_mul_f32_e32 v5, v6, v4
	v_fma_f32 v7, -v3, v5, v6
	s_delay_alu instid0(VALU_DEP_1) | instskip(NEXT) | instid1(VALU_DEP_1)
	v_fmac_f32_e32 v5, v7, v4
	v_fma_f32 v3, -v3, v5, v6
	v_mul_f32_e32 v6, 0x4f800000, v1
	s_delay_alu instid0(VALU_DEP_2) | instskip(SKIP_1) | instid1(VALU_DEP_2)
	v_div_fmas_f32 v3, v3, v4, v5
	v_cmp_gt_f32_e32 vcc_lo, 0xf800000, v1
	v_div_fixup_f32 v3, v3, v1, 0x41000000
	s_delay_alu instid0(VALU_DEP_4) | instskip(NEXT) | instid1(VALU_DEP_2)
	v_cndmask_b32_e32 v1, v1, v6, vcc_lo
	v_add_f32_e32 v3, -2.0, v3
	s_delay_alu instid0(VALU_DEP_2) | instskip(NEXT) | instid1(VALU_DEP_1)
	v_sqrt_f32_e32 v6, v1
	v_fmaak_f32 v4, s2, v3, 0x23a578d4
	s_waitcnt_depctr 0xfff
	v_dual_fmaak_f32 v5, v3, v4, 0x22d462ea :: v_dual_add_nc_u32 v8, 1, v6
	v_add_nc_u32_e32 v7, -1, v6
	s_delay_alu instid0(VALU_DEP_2) | instskip(NEXT) | instid1(VALU_DEP_2)
	v_fma_f32 v10, -v8, v6, v1
	v_fma_f32 v9, -v7, v6, v1
	s_delay_alu instid0(VALU_DEP_1) | instskip(NEXT) | instid1(VALU_DEP_1)
	v_cmp_ge_f32_e64 s2, 0, v9
	v_cndmask_b32_e64 v6, v6, v7, s2
	s_delay_alu instid0(VALU_DEP_4) | instskip(NEXT) | instid1(VALU_DEP_1)
	v_cmp_lt_f32_e64 s2, 0, v10
	v_cndmask_b32_e64 v6, v6, v8, s2
	v_add_f32_e32 v5, 0xa48330a9, v5
	s_delay_alu instid0(VALU_DEP_1) | instskip(NEXT) | instid1(VALU_DEP_1)
	v_fma_f32 v4, v3, v5, -v4
	v_add_f32_e32 v4, 0x2553eaf2, v4
	s_delay_alu instid0(VALU_DEP_1) | instskip(NEXT) | instid1(VALU_DEP_1)
	v_fma_f32 v5, v3, v4, -v5
	v_add_f32_e32 v5, 0xa62e951f, v5
	s_delay_alu instid0(VALU_DEP_1) | instskip(NEXT) | instid1(VALU_DEP_1)
	v_fma_f32 v4, v3, v5, -v4
	v_add_f32_e32 v4, 0x2712e76f, v4
	s_delay_alu instid0(VALU_DEP_1) | instskip(NEXT) | instid1(VALU_DEP_1)
	v_fma_f32 v5, v3, v4, -v5
	v_add_f32_e32 v5, 0xa7fcea92, v5
	s_delay_alu instid0(VALU_DEP_1) | instskip(NEXT) | instid1(VALU_DEP_1)
	v_fma_f32 v4, v3, v5, -v4
	v_add_f32_e32 v4, 0x28df1f4b, v4
	s_delay_alu instid0(VALU_DEP_1) | instskip(NEXT) | instid1(VALU_DEP_1)
	v_fma_f32 v5, v3, v4, -v5
	v_add_f32_e32 v5, 0xa9ca232f, v5
	s_delay_alu instid0(VALU_DEP_1) | instskip(NEXT) | instid1(VALU_DEP_1)
	v_fma_f32 v4, v3, v5, -v4
	v_add_f32_e32 v4, 0x2abc7fd0, v4
	s_delay_alu instid0(VALU_DEP_1) | instskip(NEXT) | instid1(VALU_DEP_1)
	v_fma_f32 v5, v3, v4, -v5
	v_add_f32_e32 v5, 0xabb56f63, v5
	s_delay_alu instid0(VALU_DEP_1) | instskip(NEXT) | instid1(VALU_DEP_1)
	v_fma_f32 v4, v3, v5, -v4
	v_add_f32_e32 v4, 0x2cb4d5c2, v4
	s_delay_alu instid0(VALU_DEP_1) | instskip(NEXT) | instid1(VALU_DEP_1)
	v_fma_f32 v5, v3, v4, -v5
	v_add_f32_e32 v5, 0xadbb5a9d, v5
	s_delay_alu instid0(VALU_DEP_1) | instskip(NEXT) | instid1(VALU_DEP_1)
	v_fma_f32 v4, v3, v5, -v4
	v_add_f32_e32 v4, 0x2ecab680, v4
	s_delay_alu instid0(VALU_DEP_1) | instskip(NEXT) | instid1(VALU_DEP_1)
	v_fma_f32 v5, v3, v4, -v5
	v_add_f32_e32 v5, 0xafe65e00, v5
	s_delay_alu instid0(VALU_DEP_1) | instskip(NEXT) | instid1(VALU_DEP_1)
	v_fma_f32 v4, v3, v5, -v4
	v_add_f32_e32 v4, 0x310a7921, v4
	s_delay_alu instid0(VALU_DEP_1) | instskip(NEXT) | instid1(VALU_DEP_1)
	v_fma_f32 v5, v3, v4, -v5
	v_add_f32_e32 v5, 0xb231bd25, v5
	s_delay_alu instid0(VALU_DEP_1) | instskip(NEXT) | instid1(VALU_DEP_1)
	v_fma_f32 v4, v3, v5, -v4
	v_add_f32_e32 v4, 0x337693e3, v4
	s_delay_alu instid0(VALU_DEP_1) | instskip(NEXT) | instid1(VALU_DEP_1)
	v_fma_f32 v5, v3, v4, -v5
	v_add_f32_e32 v5, 0xb4bc0294, v5
	s_delay_alu instid0(VALU_DEP_1) | instskip(NEXT) | instid1(VALU_DEP_1)
	v_fma_f32 v4, v3, v5, -v4
	v_add_f32_e32 v4, 0x36217f19, v4
	s_delay_alu instid0(VALU_DEP_1) | instskip(NEXT) | instid1(VALU_DEP_1)
	v_fma_f32 v5, v3, v4, -v5
	v_add_f32_e32 v5, 0xb7a26b89, v5
	s_delay_alu instid0(VALU_DEP_1) | instskip(NEXT) | instid1(VALU_DEP_1)
	v_fma_f32 v4, v3, v5, -v4
	v_add_f32_e32 v4, 0x394cb2c4, v4
	s_delay_alu instid0(VALU_DEP_1) | instskip(NEXT) | instid1(VALU_DEP_1)
	v_fma_f32 v5, v3, v4, -v5
	v_add_f32_e32 v5, 0xbb3b4a36, v5
	s_delay_alu instid0(VALU_DEP_1) | instskip(NEXT) | instid1(VALU_DEP_1)
	v_fma_f32 v4, v3, v5, -v4
	v_add_f32_e32 v4, 0x3dd4d5f8, v4
	s_delay_alu instid0(VALU_DEP_1) | instskip(SKIP_1) | instid1(VALU_DEP_1)
	v_fma_f32 v3, v3, v4, -v5
	v_mul_f32_e32 v4, 0x37800000, v6
	v_dual_add_f32 v3, 0x402e1ebd, v3 :: v_dual_cndmask_b32 v4, v6, v4
	v_cmp_class_f32_e64 vcc_lo, v1, 0x260
	s_delay_alu instid0(VALU_DEP_2) | instskip(NEXT) | instid1(VALU_DEP_3)
	v_sub_f32_e32 v3, v3, v5
	v_cndmask_b32_e32 v1, v4, v1, vcc_lo
	s_delay_alu instid0(VALU_DEP_2) | instskip(NEXT) | instid1(VALU_DEP_1)
	v_mul_f32_e32 v3, 0.5, v3
	v_div_scale_f32 v4, null, v1, v1, v3
	s_delay_alu instid0(VALU_DEP_1) | instskip(SKIP_2) | instid1(VALU_DEP_1)
	v_rcp_f32_e32 v5, v4
	s_waitcnt_depctr 0xfff
	v_fma_f32 v6, -v4, v5, 1.0
	v_fmac_f32_e32 v5, v6, v5
	v_div_scale_f32 v6, vcc_lo, v3, v1, v3
	s_delay_alu instid0(VALU_DEP_1) | instskip(NEXT) | instid1(VALU_DEP_1)
	v_mul_f32_e32 v7, v6, v5
	v_fma_f32 v8, -v4, v7, v6
	s_delay_alu instid0(VALU_DEP_1) | instskip(NEXT) | instid1(VALU_DEP_1)
	v_fmac_f32_e32 v7, v8, v5
	v_fma_f32 v4, -v4, v7, v6
	s_delay_alu instid0(VALU_DEP_1) | instskip(NEXT) | instid1(VALU_DEP_1)
	v_div_fmas_f32 v4, v4, v5, v7
	v_div_fixup_f32 v3, v4, v1, v3
.LBB19_134:
	s_or_b32 exec_lo, exec_lo, s3
.LBB19_135:
	s_delay_alu instid0(SALU_CYCLE_1)
	s_or_b32 exec_lo, exec_lo, s21
.LBB19_136:
	s_delay_alu instid0(SALU_CYCLE_1) | instskip(SKIP_3) | instid1(SALU_CYCLE_1)
	s_or_b32 exec_lo, exec_lo, s20
	v_add_nc_u32_e32 v2, 0x80, v2
	global_store_b32 v0, v3, s[4:5]
	s_or_b32 exec_lo, exec_lo, s30
	s_mov_b32 s30, exec_lo
	v_cmpx_gt_i32_e64 s27, v2
	s_cbranch_execnz .LBB19_15
.LBB19_137:
	s_or_b32 exec_lo, exec_lo, s30
	s_delay_alu instid0(SALU_CYCLE_1)
	s_mov_b32 s30, exec_lo
	v_cmpx_gt_i32_e64 s27, v2
	s_cbranch_execz .LBB19_164
.LBB19_138:
	s_and_not1_b32 vcc_lo, exec_lo, s24
	s_cbranch_vccnz .LBB19_143
; %bb.139:
	v_dual_mov_b32 v0, 0 :: v_dual_mov_b32 v1, 0
	s_and_not1_b32 vcc_lo, exec_lo, s29
	s_mov_b32 s31, 0
	s_cbranch_vccnz .LBB19_171
; %bb.140:
	v_mov_b32_e32 v0, 0
	s_add_i32 s34, s28, 1
	s_cmp_eq_u32 s23, 2
	s_mov_b32 s33, 0
	s_cbranch_scc1 .LBB19_167
; %bb.141:
	v_dual_mov_b32 v1, 0 :: v_dual_mov_b32 v0, 0
	v_mov_b32_e32 v3, v2
	s_and_b32 s33, s34, 28
	s_mov_b32 s35, 0
	s_mov_b64 s[2:3], s[18:19]
	s_mov_b64 s[20:21], s[0:1]
.LBB19_142:                             ; =>This Inner Loop Header: Depth=1
	s_clause 0x1
	s_load_b256 s[36:43], s[20:21], 0x4
	s_load_b128 s[52:55], s[20:21], 0x24
	s_load_b256 s[44:51], s[2:3], 0x0
	s_add_u32 s20, s20, 48
	s_addc_u32 s21, s21, 0
	s_add_i32 s35, s35, 4
	s_add_u32 s2, s2, 32
	s_addc_u32 s3, s3, 0
	s_cmp_eq_u32 s33, s35
	s_waitcnt lgkmcnt(0)
	v_mul_hi_u32 v4, s37, v3
	s_delay_alu instid0(VALU_DEP_1) | instskip(NEXT) | instid1(VALU_DEP_1)
	v_add_nc_u32_e32 v4, v3, v4
	v_lshrrev_b32_e32 v4, s38, v4
	s_delay_alu instid0(VALU_DEP_1) | instskip(SKIP_1) | instid1(VALU_DEP_2)
	v_mul_hi_u32 v5, s40, v4
	v_mul_lo_u32 v7, v4, s36
	v_add_nc_u32_e32 v5, v4, v5
	s_delay_alu instid0(VALU_DEP_2) | instskip(NEXT) | instid1(VALU_DEP_2)
	v_sub_nc_u32_e32 v3, v3, v7
	v_lshrrev_b32_e32 v5, s41, v5
	s_delay_alu instid0(VALU_DEP_2) | instskip(SKIP_1) | instid1(VALU_DEP_3)
	v_mul_lo_u32 v7, v3, s44
	v_mul_lo_u32 v9, v3, s45
	v_mul_hi_u32 v6, s43, v5
	s_delay_alu instid0(VALU_DEP_1) | instskip(NEXT) | instid1(VALU_DEP_1)
	v_add_nc_u32_e32 v6, v5, v6
	v_lshrrev_b32_e32 v6, s52, v6
	s_delay_alu instid0(VALU_DEP_1) | instskip(SKIP_1) | instid1(VALU_DEP_2)
	v_mul_hi_u32 v8, s54, v6
	v_mul_lo_u32 v10, v6, s42
	v_add_nc_u32_e32 v3, v6, v8
	v_mul_lo_u32 v8, v5, s39
	s_delay_alu instid0(VALU_DEP_3) | instskip(NEXT) | instid1(VALU_DEP_3)
	v_sub_nc_u32_e32 v5, v5, v10
	v_lshrrev_b32_e32 v3, s55, v3
	s_delay_alu instid0(VALU_DEP_2) | instskip(SKIP_2) | instid1(VALU_DEP_4)
	v_mul_lo_u32 v10, v5, s48
	v_mul_lo_u32 v5, v5, s49
	v_sub_nc_u32_e32 v4, v4, v8
	v_mul_lo_u32 v11, v3, s53
	s_delay_alu instid0(VALU_DEP_2) | instskip(SKIP_1) | instid1(VALU_DEP_3)
	v_mul_lo_u32 v8, v4, s46
	v_mul_lo_u32 v4, v4, s47
	v_sub_nc_u32_e32 v6, v6, v11
	s_delay_alu instid0(VALU_DEP_3) | instskip(NEXT) | instid1(VALU_DEP_2)
	v_add3_u32 v0, v7, v0, v8
	v_mul_lo_u32 v11, v6, s50
	v_mul_lo_u32 v6, v6, s51
	v_add3_u32 v1, v9, v1, v4
	s_delay_alu instid0(VALU_DEP_3) | instskip(NEXT) | instid1(VALU_DEP_2)
	v_add3_u32 v0, v10, v0, v11
	v_add3_u32 v1, v5, v1, v6
	s_cbranch_scc0 .LBB19_142
	s_branch .LBB19_168
.LBB19_143:
	s_mov_b32 s31, -1
                                        ; implicit-def: $vgpr0
                                        ; implicit-def: $vgpr1
	s_branch .LBB19_171
.LBB19_144:
	v_mov_b32_e32 v3, v2
	v_mov_b32_e32 v1, 0
.LBB19_145:
	s_and_b32 s34, s34, 3
	s_delay_alu instid0(SALU_CYCLE_1)
	s_cmp_eq_u32 s34, 0
	s_cbranch_scc1 .LBB19_148
; %bb.146:
	s_lshl_b32 s2, s33, 3
	s_mul_i32 s20, s33, 12
	s_add_u32 s2, s2, s0
	s_addc_u32 s3, s1, 0
	s_add_u32 s2, s2, 0xc4
	s_addc_u32 s3, s3, 0
	;; [unrolled: 2-line block ×3, first 2 shown]
	.p2align	6
.LBB19_147:                             ; =>This Inner Loop Header: Depth=1
	s_clause 0x1
	s_load_b64 s[36:37], s[20:21], 0x4
	s_load_b32 s33, s[20:21], 0xc
	s_load_b64 s[38:39], s[2:3], 0x0
	s_add_u32 s20, s20, 12
	s_addc_u32 s21, s21, 0
	s_add_u32 s2, s2, 8
	s_addc_u32 s3, s3, 0
	s_add_i32 s34, s34, -1
	s_delay_alu instid0(SALU_CYCLE_1) | instskip(SKIP_2) | instid1(VALU_DEP_1)
	s_cmp_lg_u32 s34, 0
	s_waitcnt lgkmcnt(0)
	v_mul_hi_u32 v4, s37, v3
	v_add_nc_u32_e32 v4, v3, v4
	s_delay_alu instid0(VALU_DEP_1) | instskip(NEXT) | instid1(VALU_DEP_1)
	v_lshrrev_b32_e32 v7, s33, v4
	v_mul_lo_u32 v4, v7, s36
	s_delay_alu instid0(VALU_DEP_1) | instskip(NEXT) | instid1(VALU_DEP_1)
	v_sub_nc_u32_e32 v3, v3, v4
	v_mad_u64_u32 v[4:5], null, v3, s38, v[0:1]
	v_mad_u64_u32 v[5:6], null, v3, s39, v[1:2]
	s_delay_alu instid0(VALU_DEP_2) | instskip(NEXT) | instid1(VALU_DEP_2)
	v_dual_mov_b32 v3, v7 :: v_dual_mov_b32 v0, v4
	v_mov_b32_e32 v1, v5
	s_cbranch_scc1 .LBB19_147
.LBB19_148:
	s_and_not1_b32 vcc_lo, exec_lo, s31
	s_cbranch_vccnz .LBB19_151
; %bb.149:
	s_waitcnt lgkmcnt(0)
	v_mul_hi_u32 v0, s13, v2
	s_and_not1_b32 vcc_lo, exec_lo, s26
	s_delay_alu instid0(VALU_DEP_1) | instskip(NEXT) | instid1(VALU_DEP_1)
	v_add_nc_u32_e32 v0, v2, v0
	v_lshrrev_b32_e32 v3, s14, v0
	s_delay_alu instid0(VALU_DEP_1) | instskip(NEXT) | instid1(VALU_DEP_1)
	v_mul_lo_u32 v0, v3, s12
	v_sub_nc_u32_e32 v1, v2, v0
	s_delay_alu instid0(VALU_DEP_1)
	v_mul_lo_u32 v0, v1, s8
	v_mul_lo_u32 v1, v1, s9
	s_cbranch_vccnz .LBB19_151
; %bb.150:
	v_mul_hi_u32 v4, s16, v3
	s_delay_alu instid0(VALU_DEP_1) | instskip(NEXT) | instid1(VALU_DEP_1)
	v_add_nc_u32_e32 v4, v3, v4
	v_lshrrev_b32_e32 v4, s17, v4
	s_delay_alu instid0(VALU_DEP_1) | instskip(NEXT) | instid1(VALU_DEP_1)
	v_mul_lo_u32 v4, v4, s15
	v_sub_nc_u32_e32 v6, v3, v4
	s_delay_alu instid0(VALU_DEP_1) | instskip(SKIP_1) | instid1(VALU_DEP_1)
	v_mad_u64_u32 v[3:4], null, v6, s10, v[0:1]
	v_mad_u64_u32 v[4:5], null, v6, s11, v[1:2]
	v_dual_mov_b32 v0, v3 :: v_dual_mov_b32 v1, v4
.LBB19_151:
	s_waitcnt lgkmcnt(0)
	global_load_b32 v1, v1, s[6:7]
	v_mov_b32_e32 v3, 0x7f800000
	s_mov_b32 s20, exec_lo
	s_waitcnt vmcnt(0)
	v_cmpx_neq_f32_e32 0, v1
	s_cbranch_execz .LBB19_163
; %bb.152:
	v_mov_b32_e32 v3, 0x7fc00000
	s_mov_b32 s21, exec_lo
	v_cmpx_ngt_f32_e32 0, v1
	s_cbranch_execz .LBB19_162
; %bb.153:
                                        ; implicit-def: $vgpr3
	s_mov_b32 s2, exec_lo
	v_cmpx_ge_f32_e32 2.0, v1
	s_xor_b32 s31, exec_lo, s2
	s_cbranch_execz .LBB19_159
; %bb.154:
	v_mul_f32_e32 v3, 0.5, v1
	s_mov_b32 s2, exec_lo
                                        ; implicit-def: $vgpr5
                                        ; implicit-def: $vgpr4
	v_cmpx_ge_f32_e32 0x41000000, v1
	s_xor_b32 s2, exec_lo, s2
	s_cbranch_execz .LBB19_156
; %bb.155:
	v_add_f32_e32 v4, -2.0, v3
	s_mov_b32 s3, 0x224cf950
	v_mul_f32_e32 v7, 0x3fb8aa3b, v1
	v_cmp_ngt_f32_e32 vcc_lo, 0xc2ce8ed0, v1
	s_delay_alu instid0(VALU_DEP_3) | instskip(NEXT) | instid1(VALU_DEP_3)
	v_fmaak_f32 v5, s3, v4, 0xa3c2be86
	v_rndne_f32_e32 v8, v7
	v_fma_f32 v9, 0x3fb8aa3b, v1, -v7
	s_delay_alu instid0(VALU_DEP_2) | instskip(NEXT) | instid1(VALU_DEP_2)
	v_dual_fmaak_f32 v6, v4, v5, 0xa24cf950 :: v_dual_sub_f32 v7, v7, v8
	v_fmamk_f32 v9, v1, 0x32a5705f, v9
	s_delay_alu instid0(VALU_DEP_1) | instskip(NEXT) | instid1(VALU_DEP_1)
	v_dual_add_f32 v6, 0x25331f1f, v6 :: v_dual_add_f32 v7, v7, v9
	v_fma_f32 v5, v4, v6, -v5
	s_delay_alu instid0(VALU_DEP_1) | instskip(NEXT) | instid1(VALU_DEP_1)
	v_add_f32_e32 v5, 0xa69f5554, v5
	v_fma_f32 v6, v4, v5, -v6
	s_delay_alu instid0(VALU_DEP_1) | instskip(NEXT) | instid1(VALU_DEP_1)
	v_add_f32_e32 v6, 0x2808ebf8, v6
	;; [unrolled: 3-line block ×25, first 2 shown]
	v_fma_f32 v4, v4, v5, -v6
	v_exp_f32_e32 v5, v7
	v_cvt_i32_f32_e32 v7, v8
	s_delay_alu instid0(VALU_DEP_2) | instskip(NEXT) | instid1(VALU_DEP_1)
	v_add_f32_e32 v4, 0x3e81531c, v4
	v_sub_f32_e32 v4, v4, v6
	s_waitcnt_depctr 0xfff
	v_ldexp_f32 v5, v5, v7
	s_delay_alu instid0(VALU_DEP_1) | instskip(SKIP_1) | instid1(VALU_DEP_2)
	v_dual_mul_f32 v4, 0.5, v4 :: v_dual_cndmask_b32 v5, 0, v5
	v_cmp_nlt_f32_e32 vcc_lo, 0x42b17218, v1
	v_mul_f32_e32 v6, v1, v4
	s_delay_alu instid0(VALU_DEP_3) | instskip(NEXT) | instid1(VALU_DEP_1)
	v_cndmask_b32_e32 v4, 0x7f800000, v5, vcc_lo
	v_mul_f32_e32 v5, v4, v6
.LBB19_156:
	s_and_not1_saveexec_b32 s3, s2
	s_cbranch_execz .LBB19_158
; %bb.157:
	v_div_scale_f32 v4, null, v1, v1, 0x42000000
	v_div_scale_f32 v7, vcc_lo, 0x42000000, v1, 0x42000000
	s_mov_b32 s2, 0x230aab6e
	s_delay_alu instid0(VALU_DEP_2) | instskip(SKIP_2) | instid1(VALU_DEP_1)
	v_rcp_f32_e32 v5, v4
	s_waitcnt_depctr 0xfff
	v_fma_f32 v6, -v4, v5, 1.0
	v_fmac_f32_e32 v5, v6, v5
	s_delay_alu instid0(VALU_DEP_1) | instskip(NEXT) | instid1(VALU_DEP_1)
	v_mul_f32_e32 v6, v7, v5
	v_fma_f32 v8, -v4, v6, v7
	s_delay_alu instid0(VALU_DEP_1) | instskip(SKIP_1) | instid1(VALU_DEP_2)
	v_fmac_f32_e32 v6, v8, v5
	v_mul_f32_e32 v8, 0x3fb8aa3b, v1
	v_fma_f32 v4, -v4, v6, v7
	v_mul_f32_e32 v7, 0x4f800000, v1
	s_delay_alu instid0(VALU_DEP_3) | instskip(SKIP_1) | instid1(VALU_DEP_4)
	v_rndne_f32_e32 v9, v8
	v_fma_f32 v10, 0x3fb8aa3b, v1, -v8
	v_div_fmas_f32 v4, v4, v5, v6
	v_cmp_gt_f32_e32 vcc_lo, 0xf800000, v1
	s_delay_alu instid0(VALU_DEP_4) | instskip(NEXT) | instid1(VALU_DEP_4)
	v_sub_f32_e32 v8, v8, v9
	v_fmamk_f32 v10, v1, 0x32a5705f, v10
	v_cvt_i32_f32_e32 v9, v9
	v_div_fixup_f32 v4, v4, v1, 0x42000000
	s_delay_alu instid0(VALU_DEP_3) | instskip(NEXT) | instid1(VALU_DEP_2)
	v_dual_cndmask_b32 v7, v1, v7 :: v_dual_add_f32 v8, v8, v10
	v_add_f32_e32 v4, -2.0, v4
	s_delay_alu instid0(VALU_DEP_2) | instskip(NEXT) | instid1(VALU_DEP_2)
	v_sqrt_f32_e32 v11, v7
	v_exp_f32_e32 v8, v8
	s_delay_alu instid0(VALU_DEP_1) | instskip(NEXT) | instid1(VALU_DEP_1)
	v_fmaak_f32 v5, s2, v4, 0x22a2dc57
	v_fmaak_f32 v6, v4, v5, 0xa30aab6e
	s_waitcnt_depctr 0xfff
	v_add_nc_u32_e32 v10, -1, v11
	v_add_nc_u32_e32 v12, 1, v11
	v_add_f32_e32 v6, 0xa456751e, v6
	s_delay_alu instid0(VALU_DEP_3) | instskip(NEXT) | instid1(VALU_DEP_3)
	v_fma_f32 v13, -v10, v11, v7
	v_fma_f32 v14, -v12, v11, v7
	s_delay_alu instid0(VALU_DEP_3) | instskip(NEXT) | instid1(VALU_DEP_3)
	v_fma_f32 v5, v4, v6, -v5
	v_cmp_ge_f32_e64 s2, 0, v13
	s_delay_alu instid0(VALU_DEP_2) | instskip(NEXT) | instid1(VALU_DEP_2)
	v_add_f32_e32 v5, 0xa4140365, v5
	v_cndmask_b32_e64 v10, v11, v10, s2
	v_cmp_lt_f32_e64 s2, 0, v14
	s_delay_alu instid0(VALU_DEP_3) | instskip(NEXT) | instid1(VALU_DEP_1)
	v_fma_f32 v6, v4, v5, -v6
	v_add_f32_e32 v6, 0x25aac8b0, v6
	s_delay_alu instid0(VALU_DEP_1) | instskip(NEXT) | instid1(VALU_DEP_1)
	v_fma_f32 v5, v4, v6, -v5
	v_add_f32_e32 v5, 0x25beb473, v5
	s_delay_alu instid0(VALU_DEP_1) | instskip(NEXT) | instid1(VALU_DEP_1)
	;; [unrolled: 3-line block ×19, first 2 shown]
	v_fma_f32 v5, v4, v6, -v5
	v_add_f32_e32 v5, 0xbc1fed03, v5
	s_delay_alu instid0(VALU_DEP_1) | instskip(SKIP_3) | instid1(VALU_DEP_4)
	v_fma_f32 v4, v4, v5, -v6
	v_ldexp_f32 v5, v8, v9
	v_cndmask_b32_e64 v8, v10, v12, s2
	v_cmp_ngt_f32_e64 s2, 0xc2ce8ed0, v1
	v_add_f32_e32 v4, 0x3f4750c6, v4
	s_delay_alu instid0(VALU_DEP_3) | instskip(NEXT) | instid1(VALU_DEP_3)
	v_mul_f32_e32 v9, 0x37800000, v8
	v_cndmask_b32_e64 v5, 0, v5, s2
	v_cmp_nlt_f32_e64 s2, 0x42b17218, v1
	s_delay_alu instid0(VALU_DEP_4) | instskip(NEXT) | instid1(VALU_DEP_2)
	v_sub_f32_e32 v6, v4, v6
	v_cndmask_b32_e64 v4, 0x7f800000, v5, s2
	s_delay_alu instid0(VALU_DEP_2) | instskip(SKIP_1) | instid1(VALU_DEP_2)
	v_dual_cndmask_b32 v5, v8, v9 :: v_dual_mul_f32 v6, 0.5, v6
	v_cmp_class_f32_e64 vcc_lo, v7, 0x260
	v_dual_mul_f32 v6, v4, v6 :: v_dual_cndmask_b32 v5, v5, v7
	s_delay_alu instid0(VALU_DEP_1) | instskip(NEXT) | instid1(VALU_DEP_1)
	v_div_scale_f32 v7, null, v5, v5, v6
	v_rcp_f32_e32 v8, v7
	s_waitcnt_depctr 0xfff
	v_fma_f32 v9, -v7, v8, 1.0
	s_delay_alu instid0(VALU_DEP_1) | instskip(SKIP_1) | instid1(VALU_DEP_1)
	v_fmac_f32_e32 v8, v9, v8
	v_div_scale_f32 v9, vcc_lo, v6, v5, v6
	v_mul_f32_e32 v10, v9, v8
	s_delay_alu instid0(VALU_DEP_1) | instskip(NEXT) | instid1(VALU_DEP_1)
	v_fma_f32 v11, -v7, v10, v9
	v_fmac_f32_e32 v10, v11, v8
	s_delay_alu instid0(VALU_DEP_1) | instskip(NEXT) | instid1(VALU_DEP_1)
	v_fma_f32 v7, -v7, v10, v9
	v_div_fmas_f32 v7, v7, v8, v10
	s_delay_alu instid0(VALU_DEP_1)
	v_div_fixup_f32 v5, v7, v5, v6
.LBB19_158:
	s_or_b32 exec_lo, exec_lo, s3
	v_fma_f32 v6, v1, v1, -2.0
	s_mov_b32 s2, 0xa3019142
	v_cmp_gt_f32_e32 vcc_lo, 0x800000, v3
	s_delay_alu instid0(VALU_DEP_2) | instskip(NEXT) | instid1(VALU_DEP_1)
	v_fmaak_f32 v7, s2, v6, 0xa72eea8c
	v_fmaak_f32 v8, v6, v7, 0x23019142
	s_delay_alu instid0(VALU_DEP_1) | instskip(NEXT) | instid1(VALU_DEP_1)
	v_add_f32_e32 v8, 0xab3ba817, v8
	v_fma_f32 v7, v6, v8, -v7
	s_delay_alu instid0(VALU_DEP_1) | instskip(NEXT) | instid1(VALU_DEP_1)
	v_add_f32_e32 v7, 0xaf1b31de, v7
	v_fma_f32 v8, v6, v7, -v8
	;; [unrolled: 3-line block ×8, first 2 shown]
	s_delay_alu instid0(VALU_DEP_1) | instskip(NEXT) | instid1(VALU_DEP_1)
	v_add_f32_e32 v6, 0x3fc33d0a, v6
	v_sub_f32_e32 v6, v6, v8
	v_cndmask_b32_e64 v8, 1.0, 0x4f800000, vcc_lo
	s_delay_alu instid0(VALU_DEP_1) | instskip(NEXT) | instid1(VALU_DEP_1)
	v_dual_mul_f32 v6, 0.5, v6 :: v_dual_mul_f32 v3, v3, v8
	v_div_scale_f32 v7, null, v1, v1, v6
	s_delay_alu instid0(VALU_DEP_2) | instskip(SKIP_1) | instid1(VALU_DEP_2)
	v_log_f32_e32 v3, v3
	v_div_scale_f32 v10, s2, v6, v1, v6
	v_rcp_f32_e32 v9, v7
	s_waitcnt_depctr 0xfff
	v_cmp_gt_f32_e64 s3, 0x7f800000, |v3|
	v_fma_f32 v8, -v7, v9, 1.0
	s_delay_alu instid0(VALU_DEP_1) | instskip(NEXT) | instid1(VALU_DEP_1)
	v_dual_fmac_f32 v9, v8, v9 :: v_dual_mul_f32 v8, 0x3f317217, v3
	v_mul_f32_e32 v11, v10, v9
	s_delay_alu instid0(VALU_DEP_2) | instskip(NEXT) | instid1(VALU_DEP_2)
	v_fma_f32 v12, 0x3f317217, v3, -v8
	v_fma_f32 v13, -v7, v11, v10
	s_delay_alu instid0(VALU_DEP_1) | instskip(NEXT) | instid1(VALU_DEP_1)
	v_dual_fmamk_f32 v12, v3, 0x3377d1cf, v12 :: v_dual_fmac_f32 v11, v13, v9
	v_add_f32_e32 v8, v8, v12
	s_delay_alu instid0(VALU_DEP_2) | instskip(NEXT) | instid1(VALU_DEP_2)
	v_fma_f32 v7, -v7, v11, v10
	v_cndmask_b32_e64 v3, v3, v8, s3
	v_cndmask_b32_e64 v8, 0, 0x41b17218, vcc_lo
	s_mov_b32 vcc_lo, s2
	s_delay_alu instid0(VALU_DEP_3) | instskip(NEXT) | instid1(VALU_DEP_2)
	v_div_fmas_f32 v7, v7, v9, v11
	v_sub_f32_e32 v3, v3, v8
	s_delay_alu instid0(VALU_DEP_2) | instskip(NEXT) | instid1(VALU_DEP_1)
	v_div_fixup_f32 v1, v7, v1, v6
	v_fmac_f32_e32 v1, v3, v5
	s_delay_alu instid0(VALU_DEP_1)
	v_mul_f32_e32 v3, v4, v1
                                        ; implicit-def: $vgpr1
.LBB19_159:
	s_and_not1_saveexec_b32 s3, s31
	s_cbranch_execz .LBB19_161
; %bb.160:
	v_div_scale_f32 v3, null, v1, v1, 0x41000000
	v_div_scale_f32 v6, vcc_lo, 0x41000000, v1, 0x41000000
	s_mov_b32 s2, 0xa2d462ea
	s_delay_alu instid0(VALU_DEP_2) | instskip(SKIP_2) | instid1(VALU_DEP_1)
	v_rcp_f32_e32 v4, v3
	s_waitcnt_depctr 0xfff
	v_fma_f32 v5, -v3, v4, 1.0
	v_fmac_f32_e32 v4, v5, v4
	s_delay_alu instid0(VALU_DEP_1) | instskip(NEXT) | instid1(VALU_DEP_1)
	v_mul_f32_e32 v5, v6, v4
	v_fma_f32 v7, -v3, v5, v6
	s_delay_alu instid0(VALU_DEP_1) | instskip(NEXT) | instid1(VALU_DEP_1)
	v_fmac_f32_e32 v5, v7, v4
	v_fma_f32 v3, -v3, v5, v6
	v_mul_f32_e32 v6, 0x4f800000, v1
	s_delay_alu instid0(VALU_DEP_2) | instskip(SKIP_1) | instid1(VALU_DEP_2)
	v_div_fmas_f32 v3, v3, v4, v5
	v_cmp_gt_f32_e32 vcc_lo, 0xf800000, v1
	v_div_fixup_f32 v3, v3, v1, 0x41000000
	s_delay_alu instid0(VALU_DEP_4) | instskip(NEXT) | instid1(VALU_DEP_2)
	v_cndmask_b32_e32 v1, v1, v6, vcc_lo
	v_add_f32_e32 v3, -2.0, v3
	s_delay_alu instid0(VALU_DEP_2) | instskip(NEXT) | instid1(VALU_DEP_1)
	v_sqrt_f32_e32 v6, v1
	v_fmaak_f32 v4, s2, v3, 0x23a578d4
	s_waitcnt_depctr 0xfff
	v_dual_fmaak_f32 v5, v3, v4, 0x22d462ea :: v_dual_add_nc_u32 v8, 1, v6
	v_add_nc_u32_e32 v7, -1, v6
	s_delay_alu instid0(VALU_DEP_2) | instskip(NEXT) | instid1(VALU_DEP_2)
	v_fma_f32 v10, -v8, v6, v1
	v_fma_f32 v9, -v7, v6, v1
	s_delay_alu instid0(VALU_DEP_1) | instskip(NEXT) | instid1(VALU_DEP_1)
	v_cmp_ge_f32_e64 s2, 0, v9
	v_cndmask_b32_e64 v6, v6, v7, s2
	s_delay_alu instid0(VALU_DEP_4) | instskip(NEXT) | instid1(VALU_DEP_1)
	v_cmp_lt_f32_e64 s2, 0, v10
	v_cndmask_b32_e64 v6, v6, v8, s2
	v_add_f32_e32 v5, 0xa48330a9, v5
	s_delay_alu instid0(VALU_DEP_1) | instskip(NEXT) | instid1(VALU_DEP_1)
	v_fma_f32 v4, v3, v5, -v4
	v_add_f32_e32 v4, 0x2553eaf2, v4
	s_delay_alu instid0(VALU_DEP_1) | instskip(NEXT) | instid1(VALU_DEP_1)
	v_fma_f32 v5, v3, v4, -v5
	;; [unrolled: 3-line block ×21, first 2 shown]
	v_add_f32_e32 v4, 0x3dd4d5f8, v4
	s_delay_alu instid0(VALU_DEP_1) | instskip(SKIP_1) | instid1(VALU_DEP_1)
	v_fma_f32 v3, v3, v4, -v5
	v_mul_f32_e32 v4, 0x37800000, v6
	v_dual_add_f32 v3, 0x402e1ebd, v3 :: v_dual_cndmask_b32 v4, v6, v4
	v_cmp_class_f32_e64 vcc_lo, v1, 0x260
	s_delay_alu instid0(VALU_DEP_2) | instskip(NEXT) | instid1(VALU_DEP_3)
	v_sub_f32_e32 v3, v3, v5
	v_cndmask_b32_e32 v1, v4, v1, vcc_lo
	s_delay_alu instid0(VALU_DEP_2) | instskip(NEXT) | instid1(VALU_DEP_1)
	v_mul_f32_e32 v3, 0.5, v3
	v_div_scale_f32 v4, null, v1, v1, v3
	s_delay_alu instid0(VALU_DEP_1) | instskip(SKIP_2) | instid1(VALU_DEP_1)
	v_rcp_f32_e32 v5, v4
	s_waitcnt_depctr 0xfff
	v_fma_f32 v6, -v4, v5, 1.0
	v_fmac_f32_e32 v5, v6, v5
	v_div_scale_f32 v6, vcc_lo, v3, v1, v3
	s_delay_alu instid0(VALU_DEP_1) | instskip(NEXT) | instid1(VALU_DEP_1)
	v_mul_f32_e32 v7, v6, v5
	v_fma_f32 v8, -v4, v7, v6
	s_delay_alu instid0(VALU_DEP_1) | instskip(NEXT) | instid1(VALU_DEP_1)
	v_fmac_f32_e32 v7, v8, v5
	v_fma_f32 v4, -v4, v7, v6
	s_delay_alu instid0(VALU_DEP_1) | instskip(NEXT) | instid1(VALU_DEP_1)
	v_div_fmas_f32 v4, v4, v5, v7
	v_div_fixup_f32 v3, v4, v1, v3
.LBB19_161:
	s_or_b32 exec_lo, exec_lo, s3
.LBB19_162:
	s_delay_alu instid0(SALU_CYCLE_1)
	s_or_b32 exec_lo, exec_lo, s21
.LBB19_163:
	s_delay_alu instid0(SALU_CYCLE_1) | instskip(SKIP_3) | instid1(SALU_CYCLE_1)
	s_or_b32 exec_lo, exec_lo, s20
	v_add_nc_u32_e32 v2, 0x80, v2
	global_store_b32 v0, v3, s[4:5]
	s_or_b32 exec_lo, exec_lo, s30
	s_mov_b32 s30, exec_lo
	v_cmpx_gt_i32_e64 s27, v2
	s_cbranch_execnz .LBB19_138
.LBB19_164:
	s_or_b32 exec_lo, exec_lo, s30
	s_delay_alu instid0(SALU_CYCLE_1)
	s_mov_b32 s20, exec_lo
	v_cmpx_gt_i32_e64 s27, v2
	s_cbranch_execnz .LBB19_187
.LBB19_165:
	s_or_b32 exec_lo, exec_lo, s20
                                        ; implicit-def: $vgpr8
                                        ; implicit-def: $vgpr2
	s_and_not1_saveexec_b32 s2, s25
	s_cbranch_execnz .LBB19_8
.LBB19_166:
	s_nop 0
	s_sendmsg sendmsg(MSG_DEALLOC_VGPRS)
	s_endpgm
.LBB19_167:
	v_mov_b32_e32 v3, v2
	v_mov_b32_e32 v1, 0
.LBB19_168:
	s_and_b32 s34, s34, 3
	s_delay_alu instid0(SALU_CYCLE_1)
	s_cmp_eq_u32 s34, 0
	s_cbranch_scc1 .LBB19_171
; %bb.169:
	s_lshl_b32 s2, s33, 3
	s_mul_i32 s20, s33, 12
	s_add_u32 s2, s2, s0
	s_addc_u32 s3, s1, 0
	s_add_u32 s2, s2, 0xc4
	s_addc_u32 s3, s3, 0
	;; [unrolled: 2-line block ×3, first 2 shown]
	.p2align	6
.LBB19_170:                             ; =>This Inner Loop Header: Depth=1
	s_clause 0x1
	s_load_b64 s[36:37], s[20:21], 0x4
	s_load_b32 s33, s[20:21], 0xc
	s_load_b64 s[38:39], s[2:3], 0x0
	s_add_u32 s20, s20, 12
	s_addc_u32 s21, s21, 0
	s_add_u32 s2, s2, 8
	s_addc_u32 s3, s3, 0
	s_add_i32 s34, s34, -1
	s_delay_alu instid0(SALU_CYCLE_1) | instskip(SKIP_2) | instid1(VALU_DEP_1)
	s_cmp_lg_u32 s34, 0
	s_waitcnt lgkmcnt(0)
	v_mul_hi_u32 v4, s37, v3
	v_add_nc_u32_e32 v4, v3, v4
	s_delay_alu instid0(VALU_DEP_1) | instskip(NEXT) | instid1(VALU_DEP_1)
	v_lshrrev_b32_e32 v7, s33, v4
	v_mul_lo_u32 v4, v7, s36
	s_delay_alu instid0(VALU_DEP_1) | instskip(NEXT) | instid1(VALU_DEP_1)
	v_sub_nc_u32_e32 v3, v3, v4
	v_mad_u64_u32 v[4:5], null, v3, s38, v[0:1]
	v_mad_u64_u32 v[5:6], null, v3, s39, v[1:2]
	s_delay_alu instid0(VALU_DEP_2) | instskip(NEXT) | instid1(VALU_DEP_2)
	v_dual_mov_b32 v3, v7 :: v_dual_mov_b32 v0, v4
	v_mov_b32_e32 v1, v5
	s_cbranch_scc1 .LBB19_170
.LBB19_171:
	s_and_not1_b32 vcc_lo, exec_lo, s31
	s_cbranch_vccnz .LBB19_174
; %bb.172:
	s_waitcnt lgkmcnt(0)
	v_mul_hi_u32 v0, s13, v2
	s_and_not1_b32 vcc_lo, exec_lo, s26
	s_delay_alu instid0(VALU_DEP_1) | instskip(NEXT) | instid1(VALU_DEP_1)
	v_add_nc_u32_e32 v0, v2, v0
	v_lshrrev_b32_e32 v3, s14, v0
	s_delay_alu instid0(VALU_DEP_1) | instskip(NEXT) | instid1(VALU_DEP_1)
	v_mul_lo_u32 v0, v3, s12
	v_sub_nc_u32_e32 v1, v2, v0
	s_delay_alu instid0(VALU_DEP_1)
	v_mul_lo_u32 v0, v1, s8
	v_mul_lo_u32 v1, v1, s9
	s_cbranch_vccnz .LBB19_174
; %bb.173:
	v_mul_hi_u32 v4, s16, v3
	s_delay_alu instid0(VALU_DEP_1) | instskip(NEXT) | instid1(VALU_DEP_1)
	v_add_nc_u32_e32 v4, v3, v4
	v_lshrrev_b32_e32 v4, s17, v4
	s_delay_alu instid0(VALU_DEP_1) | instskip(NEXT) | instid1(VALU_DEP_1)
	v_mul_lo_u32 v4, v4, s15
	v_sub_nc_u32_e32 v6, v3, v4
	s_delay_alu instid0(VALU_DEP_1) | instskip(SKIP_1) | instid1(VALU_DEP_1)
	v_mad_u64_u32 v[3:4], null, v6, s10, v[0:1]
	v_mad_u64_u32 v[4:5], null, v6, s11, v[1:2]
	v_dual_mov_b32 v0, v3 :: v_dual_mov_b32 v1, v4
.LBB19_174:
	s_waitcnt lgkmcnt(0)
	global_load_b32 v1, v1, s[6:7]
	v_mov_b32_e32 v3, 0x7f800000
	s_mov_b32 s20, exec_lo
	s_waitcnt vmcnt(0)
	v_cmpx_neq_f32_e32 0, v1
	s_cbranch_execz .LBB19_186
; %bb.175:
	v_mov_b32_e32 v3, 0x7fc00000
	s_mov_b32 s21, exec_lo
	v_cmpx_ngt_f32_e32 0, v1
	s_cbranch_execz .LBB19_185
; %bb.176:
                                        ; implicit-def: $vgpr3
	s_mov_b32 s2, exec_lo
	v_cmpx_ge_f32_e32 2.0, v1
	s_xor_b32 s31, exec_lo, s2
	s_cbranch_execz .LBB19_182
; %bb.177:
	v_mul_f32_e32 v3, 0.5, v1
	s_mov_b32 s2, exec_lo
                                        ; implicit-def: $vgpr5
                                        ; implicit-def: $vgpr4
	v_cmpx_ge_f32_e32 0x41000000, v1
	s_xor_b32 s2, exec_lo, s2
	s_cbranch_execz .LBB19_179
; %bb.178:
	v_add_f32_e32 v4, -2.0, v3
	s_mov_b32 s3, 0x224cf950
	v_mul_f32_e32 v7, 0x3fb8aa3b, v1
	v_cmp_ngt_f32_e32 vcc_lo, 0xc2ce8ed0, v1
	s_delay_alu instid0(VALU_DEP_3) | instskip(NEXT) | instid1(VALU_DEP_3)
	v_fmaak_f32 v5, s3, v4, 0xa3c2be86
	v_rndne_f32_e32 v8, v7
	v_fma_f32 v9, 0x3fb8aa3b, v1, -v7
	s_delay_alu instid0(VALU_DEP_2) | instskip(NEXT) | instid1(VALU_DEP_2)
	v_dual_fmaak_f32 v6, v4, v5, 0xa24cf950 :: v_dual_sub_f32 v7, v7, v8
	v_fmamk_f32 v9, v1, 0x32a5705f, v9
	s_delay_alu instid0(VALU_DEP_1) | instskip(NEXT) | instid1(VALU_DEP_1)
	v_dual_add_f32 v6, 0x25331f1f, v6 :: v_dual_add_f32 v7, v7, v9
	v_fma_f32 v5, v4, v6, -v5
	s_delay_alu instid0(VALU_DEP_1) | instskip(NEXT) | instid1(VALU_DEP_1)
	v_add_f32_e32 v5, 0xa69f5554, v5
	v_fma_f32 v6, v4, v5, -v6
	s_delay_alu instid0(VALU_DEP_1) | instskip(NEXT) | instid1(VALU_DEP_1)
	v_add_f32_e32 v6, 0x2808ebf8, v6
	;; [unrolled: 3-line block ×25, first 2 shown]
	v_fma_f32 v4, v4, v5, -v6
	v_exp_f32_e32 v5, v7
	v_cvt_i32_f32_e32 v7, v8
	s_delay_alu instid0(VALU_DEP_2) | instskip(NEXT) | instid1(VALU_DEP_1)
	v_add_f32_e32 v4, 0x3e81531c, v4
	v_sub_f32_e32 v4, v4, v6
	s_waitcnt_depctr 0xfff
	v_ldexp_f32 v5, v5, v7
	s_delay_alu instid0(VALU_DEP_1) | instskip(SKIP_1) | instid1(VALU_DEP_2)
	v_dual_mul_f32 v4, 0.5, v4 :: v_dual_cndmask_b32 v5, 0, v5
	v_cmp_nlt_f32_e32 vcc_lo, 0x42b17218, v1
	v_mul_f32_e32 v6, v1, v4
	s_delay_alu instid0(VALU_DEP_3) | instskip(NEXT) | instid1(VALU_DEP_1)
	v_cndmask_b32_e32 v4, 0x7f800000, v5, vcc_lo
	v_mul_f32_e32 v5, v4, v6
.LBB19_179:
	s_and_not1_saveexec_b32 s3, s2
	s_cbranch_execz .LBB19_181
; %bb.180:
	v_div_scale_f32 v4, null, v1, v1, 0x42000000
	v_div_scale_f32 v7, vcc_lo, 0x42000000, v1, 0x42000000
	s_mov_b32 s2, 0x230aab6e
	s_delay_alu instid0(VALU_DEP_2) | instskip(SKIP_2) | instid1(VALU_DEP_1)
	v_rcp_f32_e32 v5, v4
	s_waitcnt_depctr 0xfff
	v_fma_f32 v6, -v4, v5, 1.0
	v_fmac_f32_e32 v5, v6, v5
	s_delay_alu instid0(VALU_DEP_1) | instskip(NEXT) | instid1(VALU_DEP_1)
	v_mul_f32_e32 v6, v7, v5
	v_fma_f32 v8, -v4, v6, v7
	s_delay_alu instid0(VALU_DEP_1) | instskip(SKIP_1) | instid1(VALU_DEP_2)
	v_fmac_f32_e32 v6, v8, v5
	v_mul_f32_e32 v8, 0x3fb8aa3b, v1
	v_fma_f32 v4, -v4, v6, v7
	v_mul_f32_e32 v7, 0x4f800000, v1
	s_delay_alu instid0(VALU_DEP_3) | instskip(SKIP_1) | instid1(VALU_DEP_4)
	v_rndne_f32_e32 v9, v8
	v_fma_f32 v10, 0x3fb8aa3b, v1, -v8
	v_div_fmas_f32 v4, v4, v5, v6
	v_cmp_gt_f32_e32 vcc_lo, 0xf800000, v1
	s_delay_alu instid0(VALU_DEP_4) | instskip(NEXT) | instid1(VALU_DEP_4)
	v_sub_f32_e32 v8, v8, v9
	v_fmamk_f32 v10, v1, 0x32a5705f, v10
	v_cvt_i32_f32_e32 v9, v9
	v_div_fixup_f32 v4, v4, v1, 0x42000000
	s_delay_alu instid0(VALU_DEP_3) | instskip(NEXT) | instid1(VALU_DEP_2)
	v_dual_cndmask_b32 v7, v1, v7 :: v_dual_add_f32 v8, v8, v10
	v_add_f32_e32 v4, -2.0, v4
	s_delay_alu instid0(VALU_DEP_2) | instskip(NEXT) | instid1(VALU_DEP_2)
	v_sqrt_f32_e32 v11, v7
	v_exp_f32_e32 v8, v8
	s_delay_alu instid0(VALU_DEP_1) | instskip(NEXT) | instid1(VALU_DEP_1)
	v_fmaak_f32 v5, s2, v4, 0x22a2dc57
	v_fmaak_f32 v6, v4, v5, 0xa30aab6e
	s_waitcnt_depctr 0xfff
	v_add_nc_u32_e32 v10, -1, v11
	v_add_nc_u32_e32 v12, 1, v11
	v_add_f32_e32 v6, 0xa456751e, v6
	s_delay_alu instid0(VALU_DEP_3) | instskip(NEXT) | instid1(VALU_DEP_3)
	v_fma_f32 v13, -v10, v11, v7
	v_fma_f32 v14, -v12, v11, v7
	s_delay_alu instid0(VALU_DEP_3) | instskip(NEXT) | instid1(VALU_DEP_3)
	v_fma_f32 v5, v4, v6, -v5
	v_cmp_ge_f32_e64 s2, 0, v13
	s_delay_alu instid0(VALU_DEP_2) | instskip(NEXT) | instid1(VALU_DEP_2)
	v_add_f32_e32 v5, 0xa4140365, v5
	v_cndmask_b32_e64 v10, v11, v10, s2
	v_cmp_lt_f32_e64 s2, 0, v14
	s_delay_alu instid0(VALU_DEP_3) | instskip(NEXT) | instid1(VALU_DEP_1)
	v_fma_f32 v6, v4, v5, -v6
	v_add_f32_e32 v6, 0x25aac8b0, v6
	s_delay_alu instid0(VALU_DEP_1) | instskip(NEXT) | instid1(VALU_DEP_1)
	v_fma_f32 v5, v4, v6, -v5
	v_add_f32_e32 v5, 0x25beb473, v5
	s_delay_alu instid0(VALU_DEP_1) | instskip(NEXT) | instid1(VALU_DEP_1)
	;; [unrolled: 3-line block ×19, first 2 shown]
	v_fma_f32 v5, v4, v6, -v5
	v_add_f32_e32 v5, 0xbc1fed03, v5
	s_delay_alu instid0(VALU_DEP_1) | instskip(SKIP_3) | instid1(VALU_DEP_4)
	v_fma_f32 v4, v4, v5, -v6
	v_ldexp_f32 v5, v8, v9
	v_cndmask_b32_e64 v8, v10, v12, s2
	v_cmp_ngt_f32_e64 s2, 0xc2ce8ed0, v1
	v_add_f32_e32 v4, 0x3f4750c6, v4
	s_delay_alu instid0(VALU_DEP_3) | instskip(NEXT) | instid1(VALU_DEP_3)
	v_mul_f32_e32 v9, 0x37800000, v8
	v_cndmask_b32_e64 v5, 0, v5, s2
	v_cmp_nlt_f32_e64 s2, 0x42b17218, v1
	s_delay_alu instid0(VALU_DEP_4) | instskip(NEXT) | instid1(VALU_DEP_2)
	v_sub_f32_e32 v6, v4, v6
	v_cndmask_b32_e64 v4, 0x7f800000, v5, s2
	s_delay_alu instid0(VALU_DEP_2) | instskip(SKIP_1) | instid1(VALU_DEP_2)
	v_dual_cndmask_b32 v5, v8, v9 :: v_dual_mul_f32 v6, 0.5, v6
	v_cmp_class_f32_e64 vcc_lo, v7, 0x260
	v_dual_mul_f32 v6, v4, v6 :: v_dual_cndmask_b32 v5, v5, v7
	s_delay_alu instid0(VALU_DEP_1) | instskip(NEXT) | instid1(VALU_DEP_1)
	v_div_scale_f32 v7, null, v5, v5, v6
	v_rcp_f32_e32 v8, v7
	s_waitcnt_depctr 0xfff
	v_fma_f32 v9, -v7, v8, 1.0
	s_delay_alu instid0(VALU_DEP_1) | instskip(SKIP_1) | instid1(VALU_DEP_1)
	v_fmac_f32_e32 v8, v9, v8
	v_div_scale_f32 v9, vcc_lo, v6, v5, v6
	v_mul_f32_e32 v10, v9, v8
	s_delay_alu instid0(VALU_DEP_1) | instskip(NEXT) | instid1(VALU_DEP_1)
	v_fma_f32 v11, -v7, v10, v9
	v_fmac_f32_e32 v10, v11, v8
	s_delay_alu instid0(VALU_DEP_1) | instskip(NEXT) | instid1(VALU_DEP_1)
	v_fma_f32 v7, -v7, v10, v9
	v_div_fmas_f32 v7, v7, v8, v10
	s_delay_alu instid0(VALU_DEP_1)
	v_div_fixup_f32 v5, v7, v5, v6
.LBB19_181:
	s_or_b32 exec_lo, exec_lo, s3
	v_fma_f32 v6, v1, v1, -2.0
	s_mov_b32 s2, 0xa3019142
	v_cmp_gt_f32_e32 vcc_lo, 0x800000, v3
	s_delay_alu instid0(VALU_DEP_2) | instskip(NEXT) | instid1(VALU_DEP_1)
	v_fmaak_f32 v7, s2, v6, 0xa72eea8c
	v_fmaak_f32 v8, v6, v7, 0x23019142
	s_delay_alu instid0(VALU_DEP_1) | instskip(NEXT) | instid1(VALU_DEP_1)
	v_add_f32_e32 v8, 0xab3ba817, v8
	v_fma_f32 v7, v6, v8, -v7
	s_delay_alu instid0(VALU_DEP_1) | instskip(NEXT) | instid1(VALU_DEP_1)
	v_add_f32_e32 v7, 0xaf1b31de, v7
	v_fma_f32 v8, v6, v7, -v8
	;; [unrolled: 3-line block ×8, first 2 shown]
	s_delay_alu instid0(VALU_DEP_1) | instskip(NEXT) | instid1(VALU_DEP_1)
	v_add_f32_e32 v6, 0x3fc33d0a, v6
	v_sub_f32_e32 v6, v6, v8
	v_cndmask_b32_e64 v8, 1.0, 0x4f800000, vcc_lo
	s_delay_alu instid0(VALU_DEP_1) | instskip(NEXT) | instid1(VALU_DEP_1)
	v_dual_mul_f32 v6, 0.5, v6 :: v_dual_mul_f32 v3, v3, v8
	v_div_scale_f32 v7, null, v1, v1, v6
	s_delay_alu instid0(VALU_DEP_2) | instskip(SKIP_1) | instid1(VALU_DEP_2)
	v_log_f32_e32 v3, v3
	v_div_scale_f32 v10, s2, v6, v1, v6
	v_rcp_f32_e32 v9, v7
	s_waitcnt_depctr 0xfff
	v_cmp_gt_f32_e64 s3, 0x7f800000, |v3|
	v_fma_f32 v8, -v7, v9, 1.0
	s_delay_alu instid0(VALU_DEP_1) | instskip(NEXT) | instid1(VALU_DEP_1)
	v_dual_fmac_f32 v9, v8, v9 :: v_dual_mul_f32 v8, 0x3f317217, v3
	v_mul_f32_e32 v11, v10, v9
	s_delay_alu instid0(VALU_DEP_2) | instskip(NEXT) | instid1(VALU_DEP_2)
	v_fma_f32 v12, 0x3f317217, v3, -v8
	v_fma_f32 v13, -v7, v11, v10
	s_delay_alu instid0(VALU_DEP_1) | instskip(NEXT) | instid1(VALU_DEP_1)
	v_dual_fmamk_f32 v12, v3, 0x3377d1cf, v12 :: v_dual_fmac_f32 v11, v13, v9
	v_add_f32_e32 v8, v8, v12
	s_delay_alu instid0(VALU_DEP_2) | instskip(NEXT) | instid1(VALU_DEP_2)
	v_fma_f32 v7, -v7, v11, v10
	v_cndmask_b32_e64 v3, v3, v8, s3
	v_cndmask_b32_e64 v8, 0, 0x41b17218, vcc_lo
	s_mov_b32 vcc_lo, s2
	s_delay_alu instid0(VALU_DEP_3) | instskip(NEXT) | instid1(VALU_DEP_2)
	v_div_fmas_f32 v7, v7, v9, v11
	v_sub_f32_e32 v3, v3, v8
	s_delay_alu instid0(VALU_DEP_2) | instskip(NEXT) | instid1(VALU_DEP_1)
	v_div_fixup_f32 v1, v7, v1, v6
	v_fmac_f32_e32 v1, v3, v5
	s_delay_alu instid0(VALU_DEP_1)
	v_mul_f32_e32 v3, v4, v1
                                        ; implicit-def: $vgpr1
.LBB19_182:
	s_and_not1_saveexec_b32 s3, s31
	s_cbranch_execz .LBB19_184
; %bb.183:
	v_div_scale_f32 v3, null, v1, v1, 0x41000000
	v_div_scale_f32 v6, vcc_lo, 0x41000000, v1, 0x41000000
	s_mov_b32 s2, 0xa2d462ea
	s_delay_alu instid0(VALU_DEP_2) | instskip(SKIP_2) | instid1(VALU_DEP_1)
	v_rcp_f32_e32 v4, v3
	s_waitcnt_depctr 0xfff
	v_fma_f32 v5, -v3, v4, 1.0
	v_fmac_f32_e32 v4, v5, v4
	s_delay_alu instid0(VALU_DEP_1) | instskip(NEXT) | instid1(VALU_DEP_1)
	v_mul_f32_e32 v5, v6, v4
	v_fma_f32 v7, -v3, v5, v6
	s_delay_alu instid0(VALU_DEP_1) | instskip(NEXT) | instid1(VALU_DEP_1)
	v_fmac_f32_e32 v5, v7, v4
	v_fma_f32 v3, -v3, v5, v6
	v_mul_f32_e32 v6, 0x4f800000, v1
	s_delay_alu instid0(VALU_DEP_2) | instskip(SKIP_1) | instid1(VALU_DEP_2)
	v_div_fmas_f32 v3, v3, v4, v5
	v_cmp_gt_f32_e32 vcc_lo, 0xf800000, v1
	v_div_fixup_f32 v3, v3, v1, 0x41000000
	s_delay_alu instid0(VALU_DEP_4) | instskip(NEXT) | instid1(VALU_DEP_2)
	v_cndmask_b32_e32 v1, v1, v6, vcc_lo
	v_add_f32_e32 v3, -2.0, v3
	s_delay_alu instid0(VALU_DEP_2) | instskip(NEXT) | instid1(VALU_DEP_1)
	v_sqrt_f32_e32 v6, v1
	v_fmaak_f32 v4, s2, v3, 0x23a578d4
	s_waitcnt_depctr 0xfff
	v_dual_fmaak_f32 v5, v3, v4, 0x22d462ea :: v_dual_add_nc_u32 v8, 1, v6
	v_add_nc_u32_e32 v7, -1, v6
	s_delay_alu instid0(VALU_DEP_2) | instskip(NEXT) | instid1(VALU_DEP_2)
	v_fma_f32 v10, -v8, v6, v1
	v_fma_f32 v9, -v7, v6, v1
	s_delay_alu instid0(VALU_DEP_1) | instskip(NEXT) | instid1(VALU_DEP_1)
	v_cmp_ge_f32_e64 s2, 0, v9
	v_cndmask_b32_e64 v6, v6, v7, s2
	s_delay_alu instid0(VALU_DEP_4) | instskip(NEXT) | instid1(VALU_DEP_1)
	v_cmp_lt_f32_e64 s2, 0, v10
	v_cndmask_b32_e64 v6, v6, v8, s2
	v_add_f32_e32 v5, 0xa48330a9, v5
	s_delay_alu instid0(VALU_DEP_1) | instskip(NEXT) | instid1(VALU_DEP_1)
	v_fma_f32 v4, v3, v5, -v4
	v_add_f32_e32 v4, 0x2553eaf2, v4
	s_delay_alu instid0(VALU_DEP_1) | instskip(NEXT) | instid1(VALU_DEP_1)
	v_fma_f32 v5, v3, v4, -v5
	;; [unrolled: 3-line block ×21, first 2 shown]
	v_add_f32_e32 v4, 0x3dd4d5f8, v4
	s_delay_alu instid0(VALU_DEP_1) | instskip(SKIP_1) | instid1(VALU_DEP_1)
	v_fma_f32 v3, v3, v4, -v5
	v_mul_f32_e32 v4, 0x37800000, v6
	v_dual_add_f32 v3, 0x402e1ebd, v3 :: v_dual_cndmask_b32 v4, v6, v4
	v_cmp_class_f32_e64 vcc_lo, v1, 0x260
	s_delay_alu instid0(VALU_DEP_2) | instskip(NEXT) | instid1(VALU_DEP_3)
	v_sub_f32_e32 v3, v3, v5
	v_cndmask_b32_e32 v1, v4, v1, vcc_lo
	s_delay_alu instid0(VALU_DEP_2) | instskip(NEXT) | instid1(VALU_DEP_1)
	v_mul_f32_e32 v3, 0.5, v3
	v_div_scale_f32 v4, null, v1, v1, v3
	s_delay_alu instid0(VALU_DEP_1) | instskip(SKIP_2) | instid1(VALU_DEP_1)
	v_rcp_f32_e32 v5, v4
	s_waitcnt_depctr 0xfff
	v_fma_f32 v6, -v4, v5, 1.0
	v_fmac_f32_e32 v5, v6, v5
	v_div_scale_f32 v6, vcc_lo, v3, v1, v3
	s_delay_alu instid0(VALU_DEP_1) | instskip(NEXT) | instid1(VALU_DEP_1)
	v_mul_f32_e32 v7, v6, v5
	v_fma_f32 v8, -v4, v7, v6
	s_delay_alu instid0(VALU_DEP_1) | instskip(NEXT) | instid1(VALU_DEP_1)
	v_fmac_f32_e32 v7, v8, v5
	v_fma_f32 v4, -v4, v7, v6
	s_delay_alu instid0(VALU_DEP_1) | instskip(NEXT) | instid1(VALU_DEP_1)
	v_div_fmas_f32 v4, v4, v5, v7
	v_div_fixup_f32 v3, v4, v1, v3
.LBB19_184:
	s_or_b32 exec_lo, exec_lo, s3
.LBB19_185:
	s_delay_alu instid0(SALU_CYCLE_1)
	s_or_b32 exec_lo, exec_lo, s21
.LBB19_186:
	s_delay_alu instid0(SALU_CYCLE_1) | instskip(SKIP_3) | instid1(SALU_CYCLE_1)
	s_or_b32 exec_lo, exec_lo, s20
	v_add_nc_u32_e32 v2, 0x80, v2
	global_store_b32 v0, v3, s[4:5]
	s_or_b32 exec_lo, exec_lo, s30
	s_mov_b32 s20, exec_lo
	v_cmpx_gt_i32_e64 s27, v2
	s_cbranch_execz .LBB19_165
.LBB19_187:
	s_and_not1_b32 vcc_lo, exec_lo, s24
	s_cbranch_vccnz .LBB19_192
; %bb.188:
	v_dual_mov_b32 v0, 0 :: v_dual_mov_b32 v1, 0
	s_and_not1_b32 vcc_lo, exec_lo, s29
	s_mov_b32 s21, 0
	s_cbranch_vccnz .LBB19_197
; %bb.189:
	v_mov_b32_e32 v0, 0
	s_add_i32 s28, s28, 1
	s_cmp_eq_u32 s23, 2
	s_mov_b32 s27, 0
	s_cbranch_scc1 .LBB19_193
; %bb.190:
	v_dual_mov_b32 v1, 0 :: v_dual_mov_b32 v0, 0
	v_mov_b32_e32 v3, v2
	s_and_b32 s27, s28, 28
	s_mov_b32 s29, 0
	s_mov_b64 s[2:3], s[0:1]
.LBB19_191:                             ; =>This Inner Loop Header: Depth=1
	s_clause 0x1
	s_load_b256 s[36:43], s[2:3], 0x4
	s_load_b128 s[52:55], s[2:3], 0x24
	s_load_b256 s[44:51], s[18:19], 0x0
	s_add_u32 s2, s2, 48
	s_addc_u32 s3, s3, 0
	s_add_i32 s29, s29, 4
	s_add_u32 s18, s18, 32
	s_addc_u32 s19, s19, 0
	s_cmp_eq_u32 s27, s29
	s_waitcnt lgkmcnt(0)
	v_mul_hi_u32 v4, s37, v3
	s_delay_alu instid0(VALU_DEP_1) | instskip(NEXT) | instid1(VALU_DEP_1)
	v_add_nc_u32_e32 v4, v3, v4
	v_lshrrev_b32_e32 v4, s38, v4
	s_delay_alu instid0(VALU_DEP_1) | instskip(SKIP_1) | instid1(VALU_DEP_2)
	v_mul_hi_u32 v5, s40, v4
	v_mul_lo_u32 v7, v4, s36
	v_add_nc_u32_e32 v5, v4, v5
	s_delay_alu instid0(VALU_DEP_2) | instskip(NEXT) | instid1(VALU_DEP_2)
	v_sub_nc_u32_e32 v3, v3, v7
	v_lshrrev_b32_e32 v5, s41, v5
	s_delay_alu instid0(VALU_DEP_2) | instskip(SKIP_1) | instid1(VALU_DEP_3)
	v_mul_lo_u32 v7, v3, s44
	v_mul_lo_u32 v9, v3, s45
	v_mul_hi_u32 v6, s43, v5
	s_delay_alu instid0(VALU_DEP_1) | instskip(NEXT) | instid1(VALU_DEP_1)
	v_add_nc_u32_e32 v6, v5, v6
	v_lshrrev_b32_e32 v6, s52, v6
	s_delay_alu instid0(VALU_DEP_1) | instskip(SKIP_1) | instid1(VALU_DEP_2)
	v_mul_hi_u32 v8, s54, v6
	v_mul_lo_u32 v10, v6, s42
	v_add_nc_u32_e32 v3, v6, v8
	v_mul_lo_u32 v8, v5, s39
	s_delay_alu instid0(VALU_DEP_3) | instskip(NEXT) | instid1(VALU_DEP_3)
	v_sub_nc_u32_e32 v5, v5, v10
	v_lshrrev_b32_e32 v3, s55, v3
	s_delay_alu instid0(VALU_DEP_2) | instskip(SKIP_2) | instid1(VALU_DEP_4)
	v_mul_lo_u32 v10, v5, s48
	v_mul_lo_u32 v5, v5, s49
	v_sub_nc_u32_e32 v4, v4, v8
	v_mul_lo_u32 v11, v3, s53
	s_delay_alu instid0(VALU_DEP_2) | instskip(SKIP_1) | instid1(VALU_DEP_3)
	v_mul_lo_u32 v8, v4, s46
	v_mul_lo_u32 v4, v4, s47
	v_sub_nc_u32_e32 v6, v6, v11
	s_delay_alu instid0(VALU_DEP_3) | instskip(NEXT) | instid1(VALU_DEP_2)
	v_add3_u32 v0, v7, v0, v8
	v_mul_lo_u32 v11, v6, s50
	v_mul_lo_u32 v6, v6, s51
	v_add3_u32 v1, v9, v1, v4
	s_delay_alu instid0(VALU_DEP_3) | instskip(NEXT) | instid1(VALU_DEP_2)
	v_add3_u32 v0, v10, v0, v11
	v_add3_u32 v1, v5, v1, v6
	s_cbranch_scc0 .LBB19_191
	s_branch .LBB19_194
.LBB19_192:
	s_mov_b32 s21, -1
                                        ; implicit-def: $vgpr0
                                        ; implicit-def: $vgpr1
	s_branch .LBB19_197
.LBB19_193:
	v_mov_b32_e32 v3, v2
	v_mov_b32_e32 v1, 0
.LBB19_194:
	s_and_b32 s28, s28, 3
	s_delay_alu instid0(SALU_CYCLE_1)
	s_cmp_eq_u32 s28, 0
	s_cbranch_scc1 .LBB19_197
; %bb.195:
	s_lshl_b32 s2, s27, 3
	s_mul_i32 s18, s27, 12
	s_add_u32 s2, s2, s0
	s_addc_u32 s3, s1, 0
	s_add_u32 s2, s2, 0xc4
	s_addc_u32 s3, s3, 0
	;; [unrolled: 2-line block ×3, first 2 shown]
	.p2align	6
.LBB19_196:                             ; =>This Inner Loop Header: Depth=1
	s_clause 0x1
	s_load_b64 s[30:31], s[18:19], 0x4
	s_load_b32 s27, s[18:19], 0xc
	s_load_b64 s[34:35], s[2:3], 0x0
	s_add_u32 s18, s18, 12
	s_addc_u32 s19, s19, 0
	s_add_u32 s2, s2, 8
	s_addc_u32 s3, s3, 0
	s_add_i32 s28, s28, -1
	s_delay_alu instid0(SALU_CYCLE_1) | instskip(SKIP_2) | instid1(VALU_DEP_1)
	s_cmp_lg_u32 s28, 0
	s_waitcnt lgkmcnt(0)
	v_mul_hi_u32 v4, s31, v3
	v_add_nc_u32_e32 v4, v3, v4
	s_delay_alu instid0(VALU_DEP_1) | instskip(NEXT) | instid1(VALU_DEP_1)
	v_lshrrev_b32_e32 v7, s27, v4
	v_mul_lo_u32 v4, v7, s30
	s_delay_alu instid0(VALU_DEP_1) | instskip(NEXT) | instid1(VALU_DEP_1)
	v_sub_nc_u32_e32 v3, v3, v4
	v_mad_u64_u32 v[4:5], null, v3, s34, v[0:1]
	v_mad_u64_u32 v[5:6], null, v3, s35, v[1:2]
	s_delay_alu instid0(VALU_DEP_2) | instskip(NEXT) | instid1(VALU_DEP_2)
	v_dual_mov_b32 v3, v7 :: v_dual_mov_b32 v0, v4
	v_mov_b32_e32 v1, v5
	s_cbranch_scc1 .LBB19_196
.LBB19_197:
	s_and_not1_b32 vcc_lo, exec_lo, s21
	s_cbranch_vccnz .LBB19_200
; %bb.198:
	s_waitcnt lgkmcnt(0)
	v_mul_hi_u32 v0, s13, v2
	s_and_not1_b32 vcc_lo, exec_lo, s26
	s_delay_alu instid0(VALU_DEP_1) | instskip(NEXT) | instid1(VALU_DEP_1)
	v_add_nc_u32_e32 v0, v2, v0
	v_lshrrev_b32_e32 v3, s14, v0
	s_delay_alu instid0(VALU_DEP_1) | instskip(NEXT) | instid1(VALU_DEP_1)
	v_mul_lo_u32 v0, v3, s12
	v_sub_nc_u32_e32 v1, v2, v0
	s_delay_alu instid0(VALU_DEP_1)
	v_mul_lo_u32 v0, v1, s8
	v_mul_lo_u32 v1, v1, s9
	s_cbranch_vccnz .LBB19_200
; %bb.199:
	v_mul_hi_u32 v2, s16, v3
	s_delay_alu instid0(VALU_DEP_1) | instskip(NEXT) | instid1(VALU_DEP_1)
	v_add_nc_u32_e32 v2, v3, v2
	v_lshrrev_b32_e32 v2, s17, v2
	s_delay_alu instid0(VALU_DEP_1) | instskip(NEXT) | instid1(VALU_DEP_1)
	v_mul_lo_u32 v2, v2, s15
	v_sub_nc_u32_e32 v5, v3, v2
	s_delay_alu instid0(VALU_DEP_1) | instskip(NEXT) | instid1(VALU_DEP_1)
	v_mad_u64_u32 v[2:3], null, v5, s10, v[0:1]
	v_mad_u64_u32 v[3:4], null, v5, s11, v[1:2]
	s_delay_alu instid0(VALU_DEP_1)
	v_dual_mov_b32 v0, v2 :: v_dual_mov_b32 v1, v3
.LBB19_200:
	s_waitcnt lgkmcnt(0)
	global_load_b32 v1, v1, s[6:7]
	v_mov_b32_e32 v2, 0x7f800000
	s_mov_b32 s6, exec_lo
	s_waitcnt vmcnt(0)
	v_cmpx_neq_f32_e32 0, v1
	s_cbranch_execz .LBB19_212
; %bb.201:
	v_mov_b32_e32 v2, 0x7fc00000
	s_mov_b32 s7, exec_lo
	v_cmpx_ngt_f32_e32 0, v1
	s_cbranch_execz .LBB19_211
; %bb.202:
                                        ; implicit-def: $vgpr2
	s_mov_b32 s2, exec_lo
	v_cmpx_ge_f32_e32 2.0, v1
	s_xor_b32 s8, exec_lo, s2
	s_cbranch_execz .LBB19_208
; %bb.203:
	v_mul_f32_e32 v2, 0.5, v1
	s_mov_b32 s2, exec_lo
                                        ; implicit-def: $vgpr4
                                        ; implicit-def: $vgpr3
	v_cmpx_ge_f32_e32 0x41000000, v1
	s_xor_b32 s2, exec_lo, s2
	s_cbranch_execz .LBB19_205
; %bb.204:
	v_add_f32_e32 v3, -2.0, v2
	s_mov_b32 s3, 0x224cf950
	v_mul_f32_e32 v6, 0x3fb8aa3b, v1
	v_cmp_ngt_f32_e32 vcc_lo, 0xc2ce8ed0, v1
	s_delay_alu instid0(VALU_DEP_3) | instskip(NEXT) | instid1(VALU_DEP_3)
	v_fmaak_f32 v4, s3, v3, 0xa3c2be86
	v_rndne_f32_e32 v7, v6
	v_fma_f32 v8, 0x3fb8aa3b, v1, -v6
	s_delay_alu instid0(VALU_DEP_2) | instskip(NEXT) | instid1(VALU_DEP_2)
	v_dual_fmaak_f32 v5, v3, v4, 0xa24cf950 :: v_dual_sub_f32 v6, v6, v7
	v_fmamk_f32 v8, v1, 0x32a5705f, v8
	s_delay_alu instid0(VALU_DEP_1) | instskip(NEXT) | instid1(VALU_DEP_1)
	v_dual_add_f32 v5, 0x25331f1f, v5 :: v_dual_add_f32 v6, v6, v8
	v_fma_f32 v4, v3, v5, -v4
	s_delay_alu instid0(VALU_DEP_1) | instskip(NEXT) | instid1(VALU_DEP_1)
	v_add_f32_e32 v4, 0xa69f5554, v4
	v_fma_f32 v5, v3, v4, -v5
	s_delay_alu instid0(VALU_DEP_1) | instskip(NEXT) | instid1(VALU_DEP_1)
	v_add_f32_e32 v5, 0x2808ebf8, v5
	;; [unrolled: 3-line block ×25, first 2 shown]
	v_fma_f32 v3, v3, v4, -v5
	v_exp_f32_e32 v4, v6
	v_cvt_i32_f32_e32 v6, v7
	s_delay_alu instid0(VALU_DEP_2) | instskip(NEXT) | instid1(VALU_DEP_1)
	v_add_f32_e32 v3, 0x3e81531c, v3
	v_sub_f32_e32 v3, v3, v5
	s_waitcnt_depctr 0xfff
	v_ldexp_f32 v4, v4, v6
	s_delay_alu instid0(VALU_DEP_1) | instskip(SKIP_1) | instid1(VALU_DEP_2)
	v_dual_mul_f32 v3, 0.5, v3 :: v_dual_cndmask_b32 v4, 0, v4
	v_cmp_nlt_f32_e32 vcc_lo, 0x42b17218, v1
	v_mul_f32_e32 v5, v1, v3
	s_delay_alu instid0(VALU_DEP_3) | instskip(NEXT) | instid1(VALU_DEP_1)
	v_cndmask_b32_e32 v3, 0x7f800000, v4, vcc_lo
	v_mul_f32_e32 v4, v3, v5
.LBB19_205:
	s_and_not1_saveexec_b32 s3, s2
	s_cbranch_execz .LBB19_207
; %bb.206:
	v_div_scale_f32 v3, null, v1, v1, 0x42000000
	v_div_scale_f32 v6, vcc_lo, 0x42000000, v1, 0x42000000
	s_mov_b32 s2, 0x230aab6e
	s_delay_alu instid0(VALU_DEP_2) | instskip(SKIP_2) | instid1(VALU_DEP_1)
	v_rcp_f32_e32 v4, v3
	s_waitcnt_depctr 0xfff
	v_fma_f32 v5, -v3, v4, 1.0
	v_fmac_f32_e32 v4, v5, v4
	s_delay_alu instid0(VALU_DEP_1) | instskip(NEXT) | instid1(VALU_DEP_1)
	v_mul_f32_e32 v5, v6, v4
	v_fma_f32 v7, -v3, v5, v6
	s_delay_alu instid0(VALU_DEP_1) | instskip(SKIP_1) | instid1(VALU_DEP_2)
	v_fmac_f32_e32 v5, v7, v4
	v_mul_f32_e32 v7, 0x3fb8aa3b, v1
	v_fma_f32 v3, -v3, v5, v6
	v_mul_f32_e32 v6, 0x4f800000, v1
	s_delay_alu instid0(VALU_DEP_3) | instskip(SKIP_1) | instid1(VALU_DEP_4)
	v_rndne_f32_e32 v8, v7
	v_fma_f32 v9, 0x3fb8aa3b, v1, -v7
	v_div_fmas_f32 v3, v3, v4, v5
	v_cmp_gt_f32_e32 vcc_lo, 0xf800000, v1
	s_delay_alu instid0(VALU_DEP_4) | instskip(NEXT) | instid1(VALU_DEP_4)
	v_sub_f32_e32 v7, v7, v8
	v_fmamk_f32 v9, v1, 0x32a5705f, v9
	v_cvt_i32_f32_e32 v8, v8
	v_div_fixup_f32 v3, v3, v1, 0x42000000
	s_delay_alu instid0(VALU_DEP_3) | instskip(NEXT) | instid1(VALU_DEP_2)
	v_dual_cndmask_b32 v6, v1, v6 :: v_dual_add_f32 v7, v7, v9
	v_add_f32_e32 v3, -2.0, v3
	s_delay_alu instid0(VALU_DEP_2) | instskip(NEXT) | instid1(VALU_DEP_2)
	v_sqrt_f32_e32 v10, v6
	v_exp_f32_e32 v7, v7
	s_delay_alu instid0(VALU_DEP_1) | instskip(NEXT) | instid1(VALU_DEP_1)
	v_fmaak_f32 v4, s2, v3, 0x22a2dc57
	v_fmaak_f32 v5, v3, v4, 0xa30aab6e
	s_waitcnt_depctr 0xfff
	v_add_nc_u32_e32 v9, -1, v10
	v_add_nc_u32_e32 v11, 1, v10
	v_add_f32_e32 v5, 0xa456751e, v5
	s_delay_alu instid0(VALU_DEP_3) | instskip(NEXT) | instid1(VALU_DEP_3)
	v_fma_f32 v12, -v9, v10, v6
	v_fma_f32 v13, -v11, v10, v6
	s_delay_alu instid0(VALU_DEP_3) | instskip(NEXT) | instid1(VALU_DEP_3)
	v_fma_f32 v4, v3, v5, -v4
	v_cmp_ge_f32_e64 s2, 0, v12
	s_delay_alu instid0(VALU_DEP_2) | instskip(NEXT) | instid1(VALU_DEP_2)
	v_add_f32_e32 v4, 0xa4140365, v4
	v_cndmask_b32_e64 v9, v10, v9, s2
	v_cmp_lt_f32_e64 s2, 0, v13
	s_delay_alu instid0(VALU_DEP_3) | instskip(NEXT) | instid1(VALU_DEP_1)
	v_fma_f32 v5, v3, v4, -v5
	v_add_f32_e32 v5, 0x25aac8b0, v5
	s_delay_alu instid0(VALU_DEP_1) | instskip(NEXT) | instid1(VALU_DEP_1)
	v_fma_f32 v4, v3, v5, -v4
	v_add_f32_e32 v4, 0x25beb473, v4
	s_delay_alu instid0(VALU_DEP_1) | instskip(NEXT) | instid1(VALU_DEP_1)
	;; [unrolled: 3-line block ×19, first 2 shown]
	v_fma_f32 v4, v3, v5, -v4
	v_add_f32_e32 v4, 0xbc1fed03, v4
	s_delay_alu instid0(VALU_DEP_1) | instskip(SKIP_3) | instid1(VALU_DEP_4)
	v_fma_f32 v3, v3, v4, -v5
	v_ldexp_f32 v4, v7, v8
	v_cndmask_b32_e64 v7, v9, v11, s2
	v_cmp_ngt_f32_e64 s2, 0xc2ce8ed0, v1
	v_add_f32_e32 v3, 0x3f4750c6, v3
	s_delay_alu instid0(VALU_DEP_3) | instskip(NEXT) | instid1(VALU_DEP_3)
	v_mul_f32_e32 v8, 0x37800000, v7
	v_cndmask_b32_e64 v4, 0, v4, s2
	v_cmp_nlt_f32_e64 s2, 0x42b17218, v1
	s_delay_alu instid0(VALU_DEP_4) | instskip(NEXT) | instid1(VALU_DEP_2)
	v_sub_f32_e32 v5, v3, v5
	v_cndmask_b32_e64 v3, 0x7f800000, v4, s2
	s_delay_alu instid0(VALU_DEP_2) | instskip(SKIP_1) | instid1(VALU_DEP_2)
	v_dual_cndmask_b32 v4, v7, v8 :: v_dual_mul_f32 v5, 0.5, v5
	v_cmp_class_f32_e64 vcc_lo, v6, 0x260
	v_dual_mul_f32 v5, v3, v5 :: v_dual_cndmask_b32 v4, v4, v6
	s_delay_alu instid0(VALU_DEP_1) | instskip(NEXT) | instid1(VALU_DEP_1)
	v_div_scale_f32 v6, null, v4, v4, v5
	v_rcp_f32_e32 v7, v6
	s_waitcnt_depctr 0xfff
	v_fma_f32 v8, -v6, v7, 1.0
	s_delay_alu instid0(VALU_DEP_1) | instskip(SKIP_1) | instid1(VALU_DEP_1)
	v_fmac_f32_e32 v7, v8, v7
	v_div_scale_f32 v8, vcc_lo, v5, v4, v5
	v_mul_f32_e32 v9, v8, v7
	s_delay_alu instid0(VALU_DEP_1) | instskip(NEXT) | instid1(VALU_DEP_1)
	v_fma_f32 v10, -v6, v9, v8
	v_fmac_f32_e32 v9, v10, v7
	s_delay_alu instid0(VALU_DEP_1) | instskip(NEXT) | instid1(VALU_DEP_1)
	v_fma_f32 v6, -v6, v9, v8
	v_div_fmas_f32 v6, v6, v7, v9
	s_delay_alu instid0(VALU_DEP_1)
	v_div_fixup_f32 v4, v6, v4, v5
.LBB19_207:
	s_or_b32 exec_lo, exec_lo, s3
	v_fma_f32 v5, v1, v1, -2.0
	s_mov_b32 s2, 0xa3019142
	v_cmp_gt_f32_e32 vcc_lo, 0x800000, v2
	s_delay_alu instid0(VALU_DEP_2) | instskip(NEXT) | instid1(VALU_DEP_1)
	v_fmaak_f32 v6, s2, v5, 0xa72eea8c
	v_fmaak_f32 v7, v5, v6, 0x23019142
	s_delay_alu instid0(VALU_DEP_1) | instskip(NEXT) | instid1(VALU_DEP_1)
	v_add_f32_e32 v7, 0xab3ba817, v7
	v_fma_f32 v6, v5, v7, -v6
	s_delay_alu instid0(VALU_DEP_1) | instskip(NEXT) | instid1(VALU_DEP_1)
	v_add_f32_e32 v6, 0xaf1b31de, v6
	v_fma_f32 v7, v5, v6, -v7
	;; [unrolled: 3-line block ×8, first 2 shown]
	s_delay_alu instid0(VALU_DEP_1) | instskip(NEXT) | instid1(VALU_DEP_1)
	v_add_f32_e32 v5, 0x3fc33d0a, v5
	v_sub_f32_e32 v5, v5, v7
	v_cndmask_b32_e64 v7, 1.0, 0x4f800000, vcc_lo
	s_delay_alu instid0(VALU_DEP_1) | instskip(NEXT) | instid1(VALU_DEP_1)
	v_dual_mul_f32 v5, 0.5, v5 :: v_dual_mul_f32 v2, v2, v7
	v_div_scale_f32 v6, null, v1, v1, v5
	s_delay_alu instid0(VALU_DEP_2) | instskip(SKIP_1) | instid1(VALU_DEP_2)
	v_log_f32_e32 v2, v2
	v_div_scale_f32 v9, s2, v5, v1, v5
	v_rcp_f32_e32 v8, v6
	s_waitcnt_depctr 0xfff
	v_cmp_gt_f32_e64 s3, 0x7f800000, |v2|
	v_fma_f32 v7, -v6, v8, 1.0
	s_delay_alu instid0(VALU_DEP_1) | instskip(NEXT) | instid1(VALU_DEP_1)
	v_dual_fmac_f32 v8, v7, v8 :: v_dual_mul_f32 v7, 0x3f317217, v2
	v_mul_f32_e32 v10, v9, v8
	s_delay_alu instid0(VALU_DEP_2) | instskip(NEXT) | instid1(VALU_DEP_2)
	v_fma_f32 v11, 0x3f317217, v2, -v7
	v_fma_f32 v12, -v6, v10, v9
	s_delay_alu instid0(VALU_DEP_1) | instskip(NEXT) | instid1(VALU_DEP_1)
	v_dual_fmamk_f32 v11, v2, 0x3377d1cf, v11 :: v_dual_fmac_f32 v10, v12, v8
	v_add_f32_e32 v7, v7, v11
	s_delay_alu instid0(VALU_DEP_2) | instskip(NEXT) | instid1(VALU_DEP_2)
	v_fma_f32 v6, -v6, v10, v9
	v_cndmask_b32_e64 v2, v2, v7, s3
	v_cndmask_b32_e64 v7, 0, 0x41b17218, vcc_lo
	s_mov_b32 vcc_lo, s2
	s_delay_alu instid0(VALU_DEP_3) | instskip(NEXT) | instid1(VALU_DEP_2)
	v_div_fmas_f32 v6, v6, v8, v10
	v_sub_f32_e32 v2, v2, v7
	s_delay_alu instid0(VALU_DEP_2) | instskip(NEXT) | instid1(VALU_DEP_1)
	v_div_fixup_f32 v1, v6, v1, v5
	v_fmac_f32_e32 v1, v2, v4
	s_delay_alu instid0(VALU_DEP_1)
	v_mul_f32_e32 v2, v3, v1
                                        ; implicit-def: $vgpr1
.LBB19_208:
	s_and_not1_saveexec_b32 s3, s8
	s_cbranch_execz .LBB19_210
; %bb.209:
	v_div_scale_f32 v2, null, v1, v1, 0x41000000
	v_div_scale_f32 v5, vcc_lo, 0x41000000, v1, 0x41000000
	s_mov_b32 s2, 0xa2d462ea
	s_delay_alu instid0(VALU_DEP_2) | instskip(SKIP_2) | instid1(VALU_DEP_1)
	v_rcp_f32_e32 v3, v2
	s_waitcnt_depctr 0xfff
	v_fma_f32 v4, -v2, v3, 1.0
	v_fmac_f32_e32 v3, v4, v3
	s_delay_alu instid0(VALU_DEP_1) | instskip(NEXT) | instid1(VALU_DEP_1)
	v_mul_f32_e32 v4, v5, v3
	v_fma_f32 v6, -v2, v4, v5
	s_delay_alu instid0(VALU_DEP_1) | instskip(NEXT) | instid1(VALU_DEP_1)
	v_fmac_f32_e32 v4, v6, v3
	v_fma_f32 v2, -v2, v4, v5
	v_mul_f32_e32 v5, 0x4f800000, v1
	s_delay_alu instid0(VALU_DEP_2) | instskip(SKIP_1) | instid1(VALU_DEP_2)
	v_div_fmas_f32 v2, v2, v3, v4
	v_cmp_gt_f32_e32 vcc_lo, 0xf800000, v1
	v_div_fixup_f32 v2, v2, v1, 0x41000000
	s_delay_alu instid0(VALU_DEP_1) | instskip(NEXT) | instid1(VALU_DEP_1)
	v_dual_cndmask_b32 v1, v1, v5 :: v_dual_add_f32 v2, -2.0, v2
	v_sqrt_f32_e32 v5, v1
	s_delay_alu instid0(VALU_DEP_1) | instskip(SKIP_3) | instid1(VALU_DEP_2)
	v_fmaak_f32 v3, s2, v2, 0x23a578d4
	s_waitcnt_depctr 0xfff
	v_dual_fmaak_f32 v4, v2, v3, 0x22d462ea :: v_dual_add_nc_u32 v7, 1, v5
	v_add_nc_u32_e32 v6, -1, v5
	v_add_f32_e32 v4, 0xa48330a9, v4
	s_delay_alu instid0(VALU_DEP_3) | instskip(NEXT) | instid1(VALU_DEP_3)
	v_fma_f32 v9, -v7, v5, v1
	v_fma_f32 v8, -v6, v5, v1
	s_delay_alu instid0(VALU_DEP_3) | instskip(NEXT) | instid1(VALU_DEP_2)
	v_fma_f32 v3, v2, v4, -v3
	v_cmp_ge_f32_e64 s2, 0, v8
	s_delay_alu instid0(VALU_DEP_2) | instskip(NEXT) | instid1(VALU_DEP_2)
	v_add_f32_e32 v3, 0x2553eaf2, v3
	v_cndmask_b32_e64 v5, v5, v6, s2
	v_cmp_lt_f32_e64 s2, 0, v9
	s_delay_alu instid0(VALU_DEP_3) | instskip(NEXT) | instid1(VALU_DEP_2)
	v_fma_f32 v4, v2, v3, -v4
	v_cndmask_b32_e64 v5, v5, v7, s2
	s_delay_alu instid0(VALU_DEP_2) | instskip(NEXT) | instid1(VALU_DEP_1)
	v_add_f32_e32 v4, 0xa62e951f, v4
	v_fma_f32 v3, v2, v4, -v3
	s_delay_alu instid0(VALU_DEP_1) | instskip(NEXT) | instid1(VALU_DEP_1)
	v_add_f32_e32 v3, 0x2712e76f, v3
	v_fma_f32 v4, v2, v3, -v4
	s_delay_alu instid0(VALU_DEP_1) | instskip(NEXT) | instid1(VALU_DEP_1)
	;; [unrolled: 3-line block ×19, first 2 shown]
	v_add_f32_e32 v3, 0x3dd4d5f8, v3
	v_fma_f32 v2, v2, v3, -v4
	v_mul_f32_e32 v3, 0x37800000, v5
	s_delay_alu instid0(VALU_DEP_1) | instskip(SKIP_1) | instid1(VALU_DEP_2)
	v_dual_add_f32 v2, 0x402e1ebd, v2 :: v_dual_cndmask_b32 v3, v5, v3
	v_cmp_class_f32_e64 vcc_lo, v1, 0x260
	v_dual_sub_f32 v2, v2, v4 :: v_dual_cndmask_b32 v1, v3, v1
	s_delay_alu instid0(VALU_DEP_1) | instskip(NEXT) | instid1(VALU_DEP_1)
	v_mul_f32_e32 v2, 0.5, v2
	v_div_scale_f32 v3, null, v1, v1, v2
	s_delay_alu instid0(VALU_DEP_1) | instskip(SKIP_2) | instid1(VALU_DEP_1)
	v_rcp_f32_e32 v4, v3
	s_waitcnt_depctr 0xfff
	v_fma_f32 v5, -v3, v4, 1.0
	v_fmac_f32_e32 v4, v5, v4
	v_div_scale_f32 v5, vcc_lo, v2, v1, v2
	s_delay_alu instid0(VALU_DEP_1) | instskip(NEXT) | instid1(VALU_DEP_1)
	v_mul_f32_e32 v6, v5, v4
	v_fma_f32 v7, -v3, v6, v5
	s_delay_alu instid0(VALU_DEP_1) | instskip(NEXT) | instid1(VALU_DEP_1)
	v_fmac_f32_e32 v6, v7, v4
	v_fma_f32 v3, -v3, v6, v5
	s_delay_alu instid0(VALU_DEP_1) | instskip(NEXT) | instid1(VALU_DEP_1)
	v_div_fmas_f32 v3, v3, v4, v6
	v_div_fixup_f32 v2, v3, v1, v2
.LBB19_210:
	s_or_b32 exec_lo, exec_lo, s3
.LBB19_211:
	s_delay_alu instid0(SALU_CYCLE_1)
	s_or_b32 exec_lo, exec_lo, s7
.LBB19_212:
	s_delay_alu instid0(SALU_CYCLE_1)
	s_or_b32 exec_lo, exec_lo, s6
	global_store_b32 v0, v2, s[4:5]
	s_or_b32 exec_lo, exec_lo, s20
                                        ; implicit-def: $vgpr8
                                        ; implicit-def: $vgpr2
	s_and_not1_saveexec_b32 s2, s25
	s_cbranch_execz .LBB19_166
	s_branch .LBB19_8
	.section	.rodata,"a",@progbits
	.p2align	6, 0x0
	.amdhsa_kernel _ZN2at6native32elementwise_kernel_manual_unrollILi128ELi4EZNS0_22gpu_kernel_impl_nocastIZZZNS0_12_GLOBAL__N_137scaled_modified_bessel_k1_kernel_cudaERNS_18TensorIteratorBaseEENKUlvE_clEvENKUlvE0_clEvEUlfE_EEvS5_RKT_EUlibE_EEviT1_
		.amdhsa_group_segment_fixed_size 0
		.amdhsa_private_segment_fixed_size 0
		.amdhsa_kernarg_size 360
		.amdhsa_user_sgpr_count 15
		.amdhsa_user_sgpr_dispatch_ptr 0
		.amdhsa_user_sgpr_queue_ptr 0
		.amdhsa_user_sgpr_kernarg_segment_ptr 1
		.amdhsa_user_sgpr_dispatch_id 0
		.amdhsa_user_sgpr_private_segment_size 0
		.amdhsa_wavefront_size32 1
		.amdhsa_uses_dynamic_stack 0
		.amdhsa_enable_private_segment 0
		.amdhsa_system_sgpr_workgroup_id_x 1
		.amdhsa_system_sgpr_workgroup_id_y 0
		.amdhsa_system_sgpr_workgroup_id_z 0
		.amdhsa_system_sgpr_workgroup_info 0
		.amdhsa_system_vgpr_workitem_id 0
		.amdhsa_next_free_vgpr 21
		.amdhsa_next_free_sgpr 56
		.amdhsa_reserve_vcc 1
		.amdhsa_float_round_mode_32 0
		.amdhsa_float_round_mode_16_64 0
		.amdhsa_float_denorm_mode_32 3
		.amdhsa_float_denorm_mode_16_64 3
		.amdhsa_dx10_clamp 1
		.amdhsa_ieee_mode 1
		.amdhsa_fp16_overflow 0
		.amdhsa_workgroup_processor_mode 1
		.amdhsa_memory_ordered 1
		.amdhsa_forward_progress 0
		.amdhsa_shared_vgpr_count 0
		.amdhsa_exception_fp_ieee_invalid_op 0
		.amdhsa_exception_fp_denorm_src 0
		.amdhsa_exception_fp_ieee_div_zero 0
		.amdhsa_exception_fp_ieee_overflow 0
		.amdhsa_exception_fp_ieee_underflow 0
		.amdhsa_exception_fp_ieee_inexact 0
		.amdhsa_exception_int_div_zero 0
	.end_amdhsa_kernel
	.section	.text._ZN2at6native32elementwise_kernel_manual_unrollILi128ELi4EZNS0_22gpu_kernel_impl_nocastIZZZNS0_12_GLOBAL__N_137scaled_modified_bessel_k1_kernel_cudaERNS_18TensorIteratorBaseEENKUlvE_clEvENKUlvE0_clEvEUlfE_EEvS5_RKT_EUlibE_EEviT1_,"axG",@progbits,_ZN2at6native32elementwise_kernel_manual_unrollILi128ELi4EZNS0_22gpu_kernel_impl_nocastIZZZNS0_12_GLOBAL__N_137scaled_modified_bessel_k1_kernel_cudaERNS_18TensorIteratorBaseEENKUlvE_clEvENKUlvE0_clEvEUlfE_EEvS5_RKT_EUlibE_EEviT1_,comdat
.Lfunc_end19:
	.size	_ZN2at6native32elementwise_kernel_manual_unrollILi128ELi4EZNS0_22gpu_kernel_impl_nocastIZZZNS0_12_GLOBAL__N_137scaled_modified_bessel_k1_kernel_cudaERNS_18TensorIteratorBaseEENKUlvE_clEvENKUlvE0_clEvEUlfE_EEvS5_RKT_EUlibE_EEviT1_, .Lfunc_end19-_ZN2at6native32elementwise_kernel_manual_unrollILi128ELi4EZNS0_22gpu_kernel_impl_nocastIZZZNS0_12_GLOBAL__N_137scaled_modified_bessel_k1_kernel_cudaERNS_18TensorIteratorBaseEENKUlvE_clEvENKUlvE0_clEvEUlfE_EEvS5_RKT_EUlibE_EEviT1_
                                        ; -- End function
	.section	.AMDGPU.csdata,"",@progbits
; Kernel info:
; codeLenInByte = 30676
; NumSgprs: 58
; NumVgprs: 21
; ScratchSize: 0
; MemoryBound: 0
; FloatMode: 240
; IeeeMode: 1
; LDSByteSize: 0 bytes/workgroup (compile time only)
; SGPRBlocks: 7
; VGPRBlocks: 2
; NumSGPRsForWavesPerEU: 58
; NumVGPRsForWavesPerEU: 21
; Occupancy: 16
; WaveLimiterHint : 1
; COMPUTE_PGM_RSRC2:SCRATCH_EN: 0
; COMPUTE_PGM_RSRC2:USER_SGPR: 15
; COMPUTE_PGM_RSRC2:TRAP_HANDLER: 0
; COMPUTE_PGM_RSRC2:TGID_X_EN: 1
; COMPUTE_PGM_RSRC2:TGID_Y_EN: 0
; COMPUTE_PGM_RSRC2:TGID_Z_EN: 0
; COMPUTE_PGM_RSRC2:TIDIG_COMP_CNT: 0
	.section	.text._ZN2at6native32elementwise_kernel_manual_unrollILi128ELi4EZNS0_15gpu_kernel_implIZZZNS0_12_GLOBAL__N_137scaled_modified_bessel_k1_kernel_cudaERNS_18TensorIteratorBaseEENKUlvE_clEvENKUlvE0_clEvEUlfE_EEvS5_RKT_EUlibE_EEviT1_,"axG",@progbits,_ZN2at6native32elementwise_kernel_manual_unrollILi128ELi4EZNS0_15gpu_kernel_implIZZZNS0_12_GLOBAL__N_137scaled_modified_bessel_k1_kernel_cudaERNS_18TensorIteratorBaseEENKUlvE_clEvENKUlvE0_clEvEUlfE_EEvS5_RKT_EUlibE_EEviT1_,comdat
	.globl	_ZN2at6native32elementwise_kernel_manual_unrollILi128ELi4EZNS0_15gpu_kernel_implIZZZNS0_12_GLOBAL__N_137scaled_modified_bessel_k1_kernel_cudaERNS_18TensorIteratorBaseEENKUlvE_clEvENKUlvE0_clEvEUlfE_EEvS5_RKT_EUlibE_EEviT1_ ; -- Begin function _ZN2at6native32elementwise_kernel_manual_unrollILi128ELi4EZNS0_15gpu_kernel_implIZZZNS0_12_GLOBAL__N_137scaled_modified_bessel_k1_kernel_cudaERNS_18TensorIteratorBaseEENKUlvE_clEvENKUlvE0_clEvEUlfE_EEvS5_RKT_EUlibE_EEviT1_
	.p2align	8
	.type	_ZN2at6native32elementwise_kernel_manual_unrollILi128ELi4EZNS0_15gpu_kernel_implIZZZNS0_12_GLOBAL__N_137scaled_modified_bessel_k1_kernel_cudaERNS_18TensorIteratorBaseEENKUlvE_clEvENKUlvE0_clEvEUlfE_EEvS5_RKT_EUlibE_EEviT1_,@function
_ZN2at6native32elementwise_kernel_manual_unrollILi128ELi4EZNS0_15gpu_kernel_implIZZZNS0_12_GLOBAL__N_137scaled_modified_bessel_k1_kernel_cudaERNS_18TensorIteratorBaseEENKUlvE_clEvENKUlvE0_clEvEUlfE_EEvS5_RKT_EUlibE_EEviT1_: ; @_ZN2at6native32elementwise_kernel_manual_unrollILi128ELi4EZNS0_15gpu_kernel_implIZZZNS0_12_GLOBAL__N_137scaled_modified_bessel_k1_kernel_cudaERNS_18TensorIteratorBaseEENKUlvE_clEvENKUlvE0_clEvEUlfE_EEvS5_RKT_EUlibE_EEviT1_
; %bb.0:
	v_mov_b32_e32 v1, 0
	s_clause 0x2
	s_load_b32 s11, s[0:1], 0x0
	s_load_b64 s[2:3], s[0:1], 0x18
	s_load_b128 s[4:7], s[0:1], 0x8
	v_lshl_or_b32 v8, s15, 9, v0
	s_mov_b32 s8, 0
	s_mov_b32 s10, 0
	global_load_u16 v7, v1, s[0:1] offset:33
	s_mov_b32 s0, exec_lo
	v_or_b32_e32 v0, 0x180, v8
	s_waitcnt vmcnt(0)
	v_lshrrev_b16 v9, 8, v7
	s_waitcnt lgkmcnt(0)
	s_delay_alu instid0(VALU_DEP_2)
	v_cmpx_le_i32_e64 s11, v0
	s_xor_b32 s9, exec_lo, s0
	s_cbranch_execz .LBB20_1080
; %bb.1:
	s_mov_b32 s1, -1
	s_mov_b32 s14, 0
	s_mov_b32 s12, 0
	s_mov_b32 s13, exec_lo
	v_cmpx_gt_i32_e64 s11, v8
	s_cbranch_execz .LBB20_263
; %bb.2:
	v_mul_lo_u32 v0, v8, s3
	v_cmp_gt_i16_e32 vcc_lo, 11, v9
	s_delay_alu instid0(VALU_DEP_2) | instskip(SKIP_1) | instid1(VALU_DEP_1)
	v_ashrrev_i32_e32 v1, 31, v0
	v_add_co_u32 v0, s0, s6, v0
	v_add_co_ci_u32_e64 v1, s0, s7, v1, s0
	s_cbranch_vccnz .LBB20_9
; %bb.3:
	v_cmp_lt_i16_e32 vcc_lo, 25, v9
	s_cbranch_vccz .LBB20_30
; %bb.4:
	v_cmp_lt_i16_e32 vcc_lo, 28, v9
	s_cbranch_vccz .LBB20_33
	;; [unrolled: 3-line block ×4, first 2 shown]
; %bb.7:
	v_cmp_eq_u16_e32 vcc_lo, 46, v9
	s_mov_b32 s1, 0
	s_cbranch_vccz .LBB20_38
; %bb.8:
	global_load_b32 v2, v[0:1], off
	s_mov_b32 s0, -1
	s_waitcnt vmcnt(0)
	v_lshlrev_b32_e32 v2, 16, v2
	s_branch .LBB20_40
.LBB20_9:
	s_mov_b32 s0, 0
                                        ; implicit-def: $vgpr2
	s_and_b32 vcc_lo, exec_lo, s1
	s_cbranch_vccnz .LBB20_213
.LBB20_10:
	s_and_not1_b32 vcc_lo, exec_lo, s0
	s_cbranch_vccnz .LBB20_260
.LBB20_11:
	v_mov_b32_e32 v0, 0x7f800000
	s_mov_b32 s10, exec_lo
	s_waitcnt vmcnt(0)
	s_delay_alu instid0(VALU_DEP_2)
	v_cmpx_neq_f32_e32 0, v2
	s_cbranch_execz .LBB20_23
; %bb.12:
	v_mov_b32_e32 v0, 0x7fc00000
	s_mov_b32 s15, exec_lo
	v_cmpx_ngt_f32_e32 0, v2
	s_cbranch_execz .LBB20_22
; %bb.13:
                                        ; implicit-def: $vgpr0
	s_mov_b32 s0, exec_lo
	v_cmpx_ge_f32_e32 2.0, v2
	s_xor_b32 s16, exec_lo, s0
	s_cbranch_execz .LBB20_19
; %bb.14:
	v_mul_f32_e32 v0, 0.5, v2
	v_mul_f32_e32 v1, 0x3fb8aa3b, v2
	s_mov_b32 s0, exec_lo
                                        ; implicit-def: $vgpr4
                                        ; implicit-def: $vgpr3
	v_cmpx_ge_f32_e32 0x41000000, v2
	s_xor_b32 s0, exec_lo, s0
	s_cbranch_execz .LBB20_16
; %bb.15:
	v_fma_f32 v10, 0x3fb8aa3b, v2, -v1
	v_add_f32_e32 v3, -2.0, v0
	s_mov_b32 s1, 0x224cf950
	v_rndne_f32_e32 v6, v1
	v_cmp_ngt_f32_e32 vcc_lo, 0xc2ce8ed0, v2
	v_fmamk_f32 v10, v2, 0x32a5705f, v10
	s_delay_alu instid0(VALU_DEP_3) | instskip(NEXT) | instid1(VALU_DEP_1)
	v_dual_fmaak_f32 v4, s1, v3, 0xa3c2be86 :: v_dual_sub_f32 v1, v1, v6
	v_fmaak_f32 v5, v3, v4, 0xa24cf950
	s_delay_alu instid0(VALU_DEP_2) | instskip(NEXT) | instid1(VALU_DEP_2)
	v_add_f32_e32 v1, v1, v10
	v_add_f32_e32 v5, 0x25331f1f, v5
	s_delay_alu instid0(VALU_DEP_2) | instskip(NEXT) | instid1(VALU_DEP_1)
	v_exp_f32_e32 v1, v1
	v_fma_f32 v4, v3, v5, -v4
	s_delay_alu instid0(VALU_DEP_1) | instskip(NEXT) | instid1(VALU_DEP_1)
	v_add_f32_e32 v4, 0xa69f5554, v4
	v_fma_f32 v5, v3, v4, -v5
	s_delay_alu instid0(VALU_DEP_1) | instskip(NEXT) | instid1(VALU_DEP_1)
	v_add_f32_e32 v5, 0x2808ebf8, v5
	;; [unrolled: 3-line block ×25, first 2 shown]
	v_fma_f32 v3, v3, v4, -v5
	v_cvt_i32_f32_e32 v4, v6
	s_delay_alu instid0(VALU_DEP_2) | instskip(NEXT) | instid1(VALU_DEP_2)
	v_add_f32_e32 v3, 0x3e81531c, v3
	v_ldexp_f32 v1, v1, v4
	s_delay_alu instid0(VALU_DEP_2) | instskip(NEXT) | instid1(VALU_DEP_2)
	v_sub_f32_e32 v3, v3, v5
	v_cndmask_b32_e32 v1, 0, v1, vcc_lo
	v_cmp_nlt_f32_e32 vcc_lo, 0x42b17218, v2
	s_delay_alu instid0(VALU_DEP_3) | instskip(NEXT) | instid1(VALU_DEP_1)
	v_mul_f32_e32 v3, 0.5, v3
	v_dual_mul_f32 v4, v2, v3 :: v_dual_cndmask_b32 v3, 0x7f800000, v1
                                        ; implicit-def: $vgpr1
	s_delay_alu instid0(VALU_DEP_1)
	v_mul_f32_e32 v4, v3, v4
.LBB20_16:
	s_and_not1_saveexec_b32 s1, s0
	s_cbranch_execz .LBB20_18
; %bb.17:
	v_div_scale_f32 v3, null, v2, v2, 0x42000000
	v_div_scale_f32 v6, vcc_lo, 0x42000000, v2, 0x42000000
	s_mov_b32 s0, 0x230aab6e
	s_delay_alu instid0(VALU_DEP_2) | instskip(SKIP_1) | instid1(VALU_DEP_1)
	v_rcp_f32_e32 v4, v3
	v_fma_f32 v11, 0x3fb8aa3b, v2, -v1
	v_fmamk_f32 v11, v2, 0x32a5705f, v11
	s_waitcnt_depctr 0xfff
	v_fma_f32 v5, -v3, v4, 1.0
	s_delay_alu instid0(VALU_DEP_1) | instskip(NEXT) | instid1(VALU_DEP_1)
	v_fmac_f32_e32 v4, v5, v4
	v_mul_f32_e32 v5, v6, v4
	s_delay_alu instid0(VALU_DEP_1) | instskip(NEXT) | instid1(VALU_DEP_1)
	v_fma_f32 v10, -v3, v5, v6
	v_fmac_f32_e32 v5, v10, v4
	v_rndne_f32_e32 v10, v1
	s_delay_alu instid0(VALU_DEP_2) | instskip(SKIP_1) | instid1(VALU_DEP_3)
	v_fma_f32 v3, -v3, v5, v6
	v_mul_f32_e32 v6, 0x4f800000, v2
	v_sub_f32_e32 v1, v1, v10
	v_cvt_i32_f32_e32 v10, v10
	s_delay_alu instid0(VALU_DEP_4) | instskip(SKIP_1) | instid1(VALU_DEP_4)
	v_div_fmas_f32 v3, v3, v4, v5
	v_cmp_gt_f32_e32 vcc_lo, 0xf800000, v2
	v_add_f32_e32 v1, v1, v11
	s_delay_alu instid0(VALU_DEP_3) | instskip(SKIP_1) | instid1(VALU_DEP_3)
	v_div_fixup_f32 v3, v3, v2, 0x42000000
	v_cndmask_b32_e32 v6, v2, v6, vcc_lo
	v_exp_f32_e32 v1, v1
	s_delay_alu instid0(VALU_DEP_2) | instskip(NEXT) | instid1(VALU_DEP_2)
	v_add_f32_e32 v3, -2.0, v3
	v_sqrt_f32_e32 v12, v6
	s_delay_alu instid0(VALU_DEP_1)
	v_fmaak_f32 v4, s0, v3, 0x22a2dc57
	s_waitcnt_depctr 0xfff
	v_ldexp_f32 v1, v1, v10
	v_fmaak_f32 v5, v3, v4, 0xa30aab6e
	v_add_nc_u32_e32 v11, -1, v12
	v_add_nc_u32_e32 v13, 1, v12
	s_delay_alu instid0(VALU_DEP_3) | instskip(NEXT) | instid1(VALU_DEP_3)
	v_add_f32_e32 v5, 0xa456751e, v5
	v_fma_f32 v14, -v11, v12, v6
	s_delay_alu instid0(VALU_DEP_3) | instskip(NEXT) | instid1(VALU_DEP_3)
	v_fma_f32 v15, -v13, v12, v6
	v_fma_f32 v4, v3, v5, -v4
	s_delay_alu instid0(VALU_DEP_3) | instskip(NEXT) | instid1(VALU_DEP_2)
	v_cmp_ge_f32_e64 s0, 0, v14
	v_add_f32_e32 v4, 0xa4140365, v4
	s_delay_alu instid0(VALU_DEP_2) | instskip(SKIP_1) | instid1(VALU_DEP_3)
	v_cndmask_b32_e64 v11, v12, v11, s0
	v_cmp_lt_f32_e64 s0, 0, v15
	v_fma_f32 v5, v3, v4, -v5
	s_delay_alu instid0(VALU_DEP_1) | instskip(NEXT) | instid1(VALU_DEP_1)
	v_add_f32_e32 v5, 0x25aac8b0, v5
	v_fma_f32 v4, v3, v5, -v4
	s_delay_alu instid0(VALU_DEP_1) | instskip(NEXT) | instid1(VALU_DEP_1)
	v_add_f32_e32 v4, 0x25beb473, v4
	;; [unrolled: 3-line block ×20, first 2 shown]
	v_fma_f32 v3, v3, v4, -v5
	v_cndmask_b32_e64 v4, v11, v13, s0
	v_cmp_ngt_f32_e64 s0, 0xc2ce8ed0, v2
	s_delay_alu instid0(VALU_DEP_3) | instskip(NEXT) | instid1(VALU_DEP_3)
	v_add_f32_e32 v3, 0x3f4750c6, v3
	v_mul_f32_e32 v10, 0x37800000, v4
	s_delay_alu instid0(VALU_DEP_3) | instskip(SKIP_1) | instid1(VALU_DEP_4)
	v_cndmask_b32_e64 v1, 0, v1, s0
	v_cmp_nlt_f32_e64 s0, 0x42b17218, v2
	v_sub_f32_e32 v5, v3, v5
	s_delay_alu instid0(VALU_DEP_2) | instskip(NEXT) | instid1(VALU_DEP_2)
	v_cndmask_b32_e64 v3, 0x7f800000, v1, s0
	v_dual_cndmask_b32 v1, v4, v10 :: v_dual_mul_f32 v4, 0.5, v5
	v_cmp_class_f32_e64 vcc_lo, v6, 0x260
	s_delay_alu instid0(VALU_DEP_2) | instskip(NEXT) | instid1(VALU_DEP_1)
	v_dual_mul_f32 v4, v3, v4 :: v_dual_cndmask_b32 v1, v1, v6
	v_div_scale_f32 v5, null, v1, v1, v4
	s_delay_alu instid0(VALU_DEP_1) | instskip(SKIP_2) | instid1(VALU_DEP_1)
	v_rcp_f32_e32 v6, v5
	s_waitcnt_depctr 0xfff
	v_fma_f32 v10, -v5, v6, 1.0
	v_fmac_f32_e32 v6, v10, v6
	v_div_scale_f32 v10, vcc_lo, v4, v1, v4
	s_delay_alu instid0(VALU_DEP_1) | instskip(NEXT) | instid1(VALU_DEP_1)
	v_mul_f32_e32 v11, v10, v6
	v_fma_f32 v12, -v5, v11, v10
	s_delay_alu instid0(VALU_DEP_1) | instskip(NEXT) | instid1(VALU_DEP_1)
	v_fmac_f32_e32 v11, v12, v6
	v_fma_f32 v5, -v5, v11, v10
	s_delay_alu instid0(VALU_DEP_1) | instskip(NEXT) | instid1(VALU_DEP_1)
	v_div_fmas_f32 v5, v5, v6, v11
	v_div_fixup_f32 v4, v5, v1, v4
.LBB20_18:
	s_or_b32 exec_lo, exec_lo, s1
	v_fma_f32 v1, v2, v2, -2.0
	s_mov_b32 s0, 0xa3019142
	v_cmp_gt_f32_e32 vcc_lo, 0x800000, v0
	s_delay_alu instid0(VALU_DEP_2) | instskip(NEXT) | instid1(VALU_DEP_1)
	v_fmaak_f32 v5, s0, v1, 0xa72eea8c
	v_fmaak_f32 v6, v1, v5, 0x23019142
	s_delay_alu instid0(VALU_DEP_1) | instskip(NEXT) | instid1(VALU_DEP_1)
	v_add_f32_e32 v6, 0xab3ba817, v6
	v_fma_f32 v5, v1, v6, -v5
	s_delay_alu instid0(VALU_DEP_1) | instskip(NEXT) | instid1(VALU_DEP_1)
	v_add_f32_e32 v5, 0xaf1b31de, v5
	v_fma_f32 v6, v1, v5, -v6
	;; [unrolled: 3-line block ×8, first 2 shown]
	s_delay_alu instid0(VALU_DEP_1) | instskip(NEXT) | instid1(VALU_DEP_1)
	v_add_f32_e32 v1, 0x3fc33d0a, v1
	v_sub_f32_e32 v1, v1, v6
	v_cndmask_b32_e64 v6, 1.0, 0x4f800000, vcc_lo
	s_delay_alu instid0(VALU_DEP_1) | instskip(NEXT) | instid1(VALU_DEP_1)
	v_dual_mul_f32 v1, 0.5, v1 :: v_dual_mul_f32 v0, v0, v6
	v_div_scale_f32 v5, null, v2, v2, v1
	s_delay_alu instid0(VALU_DEP_2) | instskip(SKIP_1) | instid1(VALU_DEP_2)
	v_log_f32_e32 v0, v0
	v_div_scale_f32 v11, s0, v1, v2, v1
	v_rcp_f32_e32 v10, v5
	s_waitcnt_depctr 0xfff
	v_cmp_gt_f32_e64 s1, 0x7f800000, |v0|
	v_fma_f32 v6, -v5, v10, 1.0
	s_delay_alu instid0(VALU_DEP_1) | instskip(SKIP_1) | instid1(VALU_DEP_2)
	v_fmac_f32_e32 v10, v6, v10
	v_mul_f32_e32 v6, 0x3f317217, v0
	v_mul_f32_e32 v12, v11, v10
	s_delay_alu instid0(VALU_DEP_2) | instskip(NEXT) | instid1(VALU_DEP_2)
	v_fma_f32 v13, 0x3f317217, v0, -v6
	v_fma_f32 v14, -v5, v12, v11
	s_delay_alu instid0(VALU_DEP_1) | instskip(NEXT) | instid1(VALU_DEP_1)
	v_dual_fmamk_f32 v13, v0, 0x3377d1cf, v13 :: v_dual_fmac_f32 v12, v14, v10
	v_add_f32_e32 v6, v6, v13
	s_delay_alu instid0(VALU_DEP_2) | instskip(NEXT) | instid1(VALU_DEP_2)
	v_fma_f32 v5, -v5, v12, v11
	v_cndmask_b32_e64 v0, v0, v6, s1
	v_cndmask_b32_e64 v6, 0, 0x41b17218, vcc_lo
	s_mov_b32 vcc_lo, s0
	s_delay_alu instid0(VALU_DEP_3) | instskip(NEXT) | instid1(VALU_DEP_2)
	v_div_fmas_f32 v5, v5, v10, v12
	v_sub_f32_e32 v0, v0, v6
	s_delay_alu instid0(VALU_DEP_2) | instskip(NEXT) | instid1(VALU_DEP_1)
	v_div_fixup_f32 v1, v5, v2, v1
                                        ; implicit-def: $vgpr2
	v_fmac_f32_e32 v1, v0, v4
	s_delay_alu instid0(VALU_DEP_1)
	v_mul_f32_e32 v0, v3, v1
.LBB20_19:
	s_and_not1_saveexec_b32 s1, s16
	s_cbranch_execz .LBB20_21
; %bb.20:
	v_div_scale_f32 v0, null, v2, v2, 0x41000000
	v_div_scale_f32 v4, vcc_lo, 0x41000000, v2, 0x41000000
	s_mov_b32 s0, 0xa2d462ea
	s_delay_alu instid0(VALU_DEP_2) | instskip(SKIP_2) | instid1(VALU_DEP_1)
	v_rcp_f32_e32 v1, v0
	s_waitcnt_depctr 0xfff
	v_fma_f32 v3, -v0, v1, 1.0
	v_fmac_f32_e32 v1, v3, v1
	s_delay_alu instid0(VALU_DEP_1) | instskip(NEXT) | instid1(VALU_DEP_1)
	v_mul_f32_e32 v3, v4, v1
	v_fma_f32 v5, -v0, v3, v4
	s_delay_alu instid0(VALU_DEP_1) | instskip(NEXT) | instid1(VALU_DEP_1)
	v_fmac_f32_e32 v3, v5, v1
	v_fma_f32 v0, -v0, v3, v4
	v_mul_f32_e32 v4, 0x4f800000, v2
	s_delay_alu instid0(VALU_DEP_2) | instskip(SKIP_1) | instid1(VALU_DEP_2)
	v_div_fmas_f32 v0, v0, v1, v3
	v_cmp_gt_f32_e32 vcc_lo, 0xf800000, v2
	v_div_fixup_f32 v0, v0, v2, 0x41000000
	s_delay_alu instid0(VALU_DEP_4) | instskip(NEXT) | instid1(VALU_DEP_2)
	v_cndmask_b32_e32 v2, v2, v4, vcc_lo
	v_add_f32_e32 v0, -2.0, v0
	s_delay_alu instid0(VALU_DEP_2) | instskip(NEXT) | instid1(VALU_DEP_1)
	v_sqrt_f32_e32 v4, v2
	v_fmaak_f32 v1, s0, v0, 0x23a578d4
	s_waitcnt_depctr 0xfff
	v_dual_fmaak_f32 v3, v0, v1, 0x22d462ea :: v_dual_add_nc_u32 v6, 1, v4
	v_add_nc_u32_e32 v5, -1, v4
	s_delay_alu instid0(VALU_DEP_2) | instskip(NEXT) | instid1(VALU_DEP_3)
	v_add_f32_e32 v3, 0xa48330a9, v3
	v_fma_f32 v11, -v6, v4, v2
	s_delay_alu instid0(VALU_DEP_3) | instskip(NEXT) | instid1(VALU_DEP_3)
	v_fma_f32 v10, -v5, v4, v2
	v_fma_f32 v1, v0, v3, -v1
	s_delay_alu instid0(VALU_DEP_2) | instskip(NEXT) | instid1(VALU_DEP_2)
	v_cmp_ge_f32_e64 s0, 0, v10
	v_add_f32_e32 v1, 0x2553eaf2, v1
	s_delay_alu instid0(VALU_DEP_2) | instskip(SKIP_1) | instid1(VALU_DEP_3)
	v_cndmask_b32_e64 v4, v4, v5, s0
	v_cmp_lt_f32_e64 s0, 0, v11
	v_fma_f32 v3, v0, v1, -v3
	s_delay_alu instid0(VALU_DEP_2) | instskip(NEXT) | instid1(VALU_DEP_2)
	v_cndmask_b32_e64 v4, v4, v6, s0
	v_add_f32_e32 v3, 0xa62e951f, v3
	s_delay_alu instid0(VALU_DEP_1) | instskip(NEXT) | instid1(VALU_DEP_1)
	v_fma_f32 v1, v0, v3, -v1
	v_add_f32_e32 v1, 0x2712e76f, v1
	s_delay_alu instid0(VALU_DEP_1) | instskip(NEXT) | instid1(VALU_DEP_1)
	v_fma_f32 v3, v0, v1, -v3
	;; [unrolled: 3-line block ×19, first 2 shown]
	v_add_f32_e32 v1, 0x3dd4d5f8, v1
	s_delay_alu instid0(VALU_DEP_1) | instskip(SKIP_1) | instid1(VALU_DEP_1)
	v_fma_f32 v0, v0, v1, -v3
	v_mul_f32_e32 v1, 0x37800000, v4
	v_dual_add_f32 v0, 0x402e1ebd, v0 :: v_dual_cndmask_b32 v1, v4, v1
	v_cmp_class_f32_e64 vcc_lo, v2, 0x260
	s_delay_alu instid0(VALU_DEP_2) | instskip(NEXT) | instid1(VALU_DEP_1)
	v_dual_sub_f32 v0, v0, v3 :: v_dual_cndmask_b32 v1, v1, v2
	v_mul_f32_e32 v0, 0.5, v0
	s_delay_alu instid0(VALU_DEP_1) | instskip(NEXT) | instid1(VALU_DEP_1)
	v_div_scale_f32 v2, null, v1, v1, v0
	v_rcp_f32_e32 v3, v2
	s_waitcnt_depctr 0xfff
	v_fma_f32 v4, -v2, v3, 1.0
	s_delay_alu instid0(VALU_DEP_1) | instskip(SKIP_1) | instid1(VALU_DEP_1)
	v_fmac_f32_e32 v3, v4, v3
	v_div_scale_f32 v4, vcc_lo, v0, v1, v0
	v_mul_f32_e32 v5, v4, v3
	s_delay_alu instid0(VALU_DEP_1) | instskip(NEXT) | instid1(VALU_DEP_1)
	v_fma_f32 v6, -v2, v5, v4
	v_fmac_f32_e32 v5, v6, v3
	s_delay_alu instid0(VALU_DEP_1) | instskip(NEXT) | instid1(VALU_DEP_1)
	v_fma_f32 v2, -v2, v5, v4
	v_div_fmas_f32 v2, v2, v3, v5
	s_delay_alu instid0(VALU_DEP_1)
	v_div_fixup_f32 v0, v2, v1, v0
.LBB20_21:
	s_or_b32 exec_lo, exec_lo, s1
.LBB20_22:
	s_delay_alu instid0(SALU_CYCLE_1)
	s_or_b32 exec_lo, exec_lo, s15
.LBB20_23:
	s_delay_alu instid0(SALU_CYCLE_1) | instskip(SKIP_2) | instid1(VALU_DEP_1)
	s_or_b32 exec_lo, exec_lo, s10
	v_mul_lo_u32 v1, v8, s2
	v_and_b32_e32 v4, 0xff, v7
	v_cmp_gt_i16_e32 vcc_lo, 11, v4
	s_delay_alu instid0(VALU_DEP_3) | instskip(SKIP_1) | instid1(VALU_DEP_1)
	v_ashrrev_i32_e32 v3, 31, v1
	v_add_co_u32 v2, s0, s4, v1
	v_add_co_ci_u32_e64 v3, s0, s5, v3, s0
	s_cbranch_vccnz .LBB20_31
; %bb.24:
	v_cmp_lt_i16_e32 vcc_lo, 25, v4
	s_cbranch_vccz .LBB20_34
; %bb.25:
	v_cmp_lt_i16_e32 vcc_lo, 28, v4
	s_cbranch_vccz .LBB20_36
	;; [unrolled: 3-line block ×4, first 2 shown]
; %bb.28:
	v_cmp_eq_u16_e32 vcc_lo, 46, v4
	s_mov_b32 s10, 0
	s_mov_b32 s0, -1
	s_mov_b32 s1, 0
	s_cbranch_vccz .LBB20_44
; %bb.29:
	v_bfe_u32 v1, v0, 16, 1
	v_cmp_o_f32_e32 vcc_lo, v0, v0
	s_mov_b32 s1, -1
	s_mov_b32 s0, 0
	s_delay_alu instid0(VALU_DEP_2) | instskip(NEXT) | instid1(VALU_DEP_1)
	v_add3_u32 v1, v0, v1, 0x7fff
	v_lshrrev_b32_e32 v1, 16, v1
	s_delay_alu instid0(VALU_DEP_1)
	v_cndmask_b32_e32 v1, 0x7fc0, v1, vcc_lo
	global_store_b32 v[2:3], v1, off
	s_branch .LBB20_44
.LBB20_30:
	s_mov_b32 s0, 0
                                        ; implicit-def: $vgpr2
	s_and_b32 vcc_lo, exec_lo, s1
	s_cbranch_vccnz .LBB20_178
	s_branch .LBB20_212
.LBB20_31:
	s_mov_b32 s0, 0
	s_mov_b32 s1, 0
	s_cbranch_execnz .LBB20_113
.LBB20_32:
	s_and_not1_b32 vcc_lo, exec_lo, s1
	s_cbranch_vccnz .LBB20_261
	s_branch .LBB20_151
.LBB20_33:
	s_mov_b32 s0, 0
                                        ; implicit-def: $vgpr2
	s_branch .LBB20_159
.LBB20_34:
	s_mov_b32 s10, -1
	s_mov_b32 s0, 0
	s_mov_b32 s1, 0
	s_branch .LBB20_71
.LBB20_35:
	s_mov_b32 s0, 0
                                        ; implicit-def: $vgpr2
	s_branch .LBB20_154
.LBB20_36:
	s_mov_b32 s10, -1
	s_mov_b32 s0, 0
	s_mov_b32 s1, 0
	s_branch .LBB20_54
.LBB20_37:
	s_mov_b32 s10, -1
	s_mov_b32 s0, 0
	s_mov_b32 s1, 0
	s_branch .LBB20_50
.LBB20_38:
	s_mov_b32 s12, -1
.LBB20_39:
	s_mov_b32 s0, 0
                                        ; implicit-def: $vgpr2
.LBB20_40:
	s_and_b32 vcc_lo, exec_lo, s1
	s_cbranch_vccz .LBB20_153
; %bb.41:
	v_cmp_eq_u16_e32 vcc_lo, 44, v9
	s_cbranch_vccz .LBB20_152
; %bb.42:
	global_load_u8 v2, v[0:1], off
	s_mov_b32 s12, 0
	s_mov_b32 s0, -1
	s_waitcnt vmcnt(0)
	v_lshlrev_b32_e32 v3, 23, v2
	v_cmp_ne_u32_e32 vcc_lo, 0xff, v2
	s_delay_alu instid0(VALU_DEP_2) | instskip(SKIP_1) | instid1(VALU_DEP_2)
	v_cndmask_b32_e32 v3, 0x7f800001, v3, vcc_lo
	v_cmp_ne_u32_e32 vcc_lo, 0, v2
	v_cndmask_b32_e32 v2, 0x400000, v3, vcc_lo
	s_branch .LBB20_153
.LBB20_43:
	s_mov_b32 s10, -1
	s_mov_b32 s0, 0
	s_mov_b32 s1, 0
.LBB20_44:
	s_and_b32 vcc_lo, exec_lo, s10
	s_cbranch_vccz .LBB20_49
; %bb.45:
	v_cmp_eq_u16_e32 vcc_lo, 44, v4
	s_mov_b32 s0, -1
	s_cbranch_vccz .LBB20_49
; %bb.46:
	v_bfe_u32 v5, v0, 23, 8
	v_mov_b32_e32 v1, 0xff
	s_mov_b32 s1, exec_lo
	s_delay_alu instid0(VALU_DEP_2)
	v_cmpx_ne_u32_e32 0xff, v5
; %bb.47:
	v_and_b32_e32 v1, 0x400000, v0
	v_and_or_b32 v5, 0x3fffff, v0, v5
	s_delay_alu instid0(VALU_DEP_2) | instskip(NEXT) | instid1(VALU_DEP_2)
	v_cmp_ne_u32_e32 vcc_lo, 0, v1
	v_cmp_ne_u32_e64 s0, 0, v5
	v_lshrrev_b32_e32 v1, 23, v0
	s_delay_alu instid0(VALU_DEP_2) | instskip(NEXT) | instid1(SALU_CYCLE_1)
	s_and_b32 s0, vcc_lo, s0
	v_cndmask_b32_e64 v5, 0, 1, s0
	s_delay_alu instid0(VALU_DEP_1)
	v_add_nc_u32_e32 v1, v1, v5
; %bb.48:
	s_or_b32 exec_lo, exec_lo, s1
	s_mov_b32 s1, -1
	s_mov_b32 s0, 0
	global_store_b8 v[2:3], v1, off
.LBB20_49:
	s_mov_b32 s10, 0
.LBB20_50:
	s_delay_alu instid0(SALU_CYCLE_1)
	s_and_b32 vcc_lo, exec_lo, s10
	s_cbranch_vccz .LBB20_53
; %bb.51:
	v_cmp_eq_u16_e32 vcc_lo, 29, v4
	s_mov_b32 s0, -1
	s_cbranch_vccz .LBB20_53
; %bb.52:
	v_trunc_f32_e32 v1, v0
	s_mov_b32 s1, -1
	s_mov_b32 s0, 0
	s_mov_b32 s10, 0
	s_delay_alu instid0(VALU_DEP_1) | instskip(NEXT) | instid1(VALU_DEP_1)
	v_mul_f32_e32 v5, 0x2f800000, v1
	v_floor_f32_e32 v5, v5
	s_delay_alu instid0(VALU_DEP_1) | instskip(SKIP_1) | instid1(VALU_DEP_2)
	v_fmamk_f32 v1, v5, 0xcf800000, v1
	v_cvt_u32_f32_e32 v6, v5
	v_cvt_u32_f32_e32 v5, v1
	global_store_b64 v[2:3], v[5:6], off
	s_branch .LBB20_54
.LBB20_53:
	s_mov_b32 s10, 0
.LBB20_54:
	s_delay_alu instid0(SALU_CYCLE_1)
	s_and_b32 vcc_lo, exec_lo, s10
	s_cbranch_vccz .LBB20_70
; %bb.55:
	v_cmp_gt_i16_e32 vcc_lo, 27, v4
	s_mov_b32 s1, -1
	s_cbranch_vccnz .LBB20_61
; %bb.56:
	v_cmp_lt_i16_e32 vcc_lo, 27, v4
	s_cbranch_vccz .LBB20_58
; %bb.57:
	v_cvt_u32_f32_e32 v1, v0
	s_mov_b32 s1, 0
	global_store_b32 v[2:3], v1, off
.LBB20_58:
	s_and_not1_b32 vcc_lo, exec_lo, s1
	s_cbranch_vccnz .LBB20_60
; %bb.59:
	v_cvt_u32_f32_e32 v1, v0
	global_store_b16 v[2:3], v1, off
.LBB20_60:
	s_mov_b32 s1, 0
.LBB20_61:
	s_delay_alu instid0(SALU_CYCLE_1)
	s_and_not1_b32 vcc_lo, exec_lo, s1
	s_cbranch_vccnz .LBB20_69
; %bb.62:
	v_and_b32_e32 v1, 0x7fffffff, v0
	v_mov_b32_e32 v5, 0x80
	s_mov_b32 s1, exec_lo
	s_delay_alu instid0(VALU_DEP_2)
	v_cmpx_gt_u32_e32 0x43800000, v1
	s_cbranch_execz .LBB20_68
; %bb.63:
	v_cmp_lt_u32_e32 vcc_lo, 0x3bffffff, v1
	s_mov_b32 s10, 0
                                        ; implicit-def: $vgpr1
	s_and_saveexec_b32 s15, vcc_lo
	s_delay_alu instid0(SALU_CYCLE_1)
	s_xor_b32 s15, exec_lo, s15
	s_cbranch_execz .LBB20_299
; %bb.64:
	v_bfe_u32 v1, v0, 20, 1
	s_mov_b32 s10, exec_lo
	s_delay_alu instid0(VALU_DEP_1) | instskip(NEXT) | instid1(VALU_DEP_1)
	v_add3_u32 v1, v0, v1, 0x487ffff
	v_lshrrev_b32_e32 v1, 20, v1
	s_or_saveexec_b32 s15, s15
                                        ; implicit-def: $sgpr16
	s_delay_alu instid0(SALU_CYCLE_1)
	s_xor_b32 exec_lo, exec_lo, s15
	s_cbranch_execnz .LBB20_300
.LBB20_65:
	s_or_b32 exec_lo, exec_lo, s15
	v_mov_b32_e32 v5, s16
	s_and_saveexec_b32 s15, s10
.LBB20_66:
	v_lshrrev_b32_e32 v5, 24, v0
	s_delay_alu instid0(VALU_DEP_1)
	v_and_or_b32 v5, 0x80, v5, v1
.LBB20_67:
	s_or_b32 exec_lo, exec_lo, s15
.LBB20_68:
	s_delay_alu instid0(SALU_CYCLE_1)
	s_or_b32 exec_lo, exec_lo, s1
	global_store_b8 v[2:3], v5, off
.LBB20_69:
	s_mov_b32 s1, -1
.LBB20_70:
	s_mov_b32 s10, 0
.LBB20_71:
	s_delay_alu instid0(SALU_CYCLE_1)
	s_and_b32 vcc_lo, exec_lo, s10
	s_cbranch_vccz .LBB20_112
; %bb.72:
	v_cmp_lt_i16_e32 vcc_lo, 22, v4
	s_mov_b32 s10, -1
	s_cbranch_vccz .LBB20_104
; %bb.73:
	v_cmp_gt_i16_e32 vcc_lo, 24, v4
	s_mov_b32 s1, -1
	s_cbranch_vccnz .LBB20_93
; %bb.74:
	v_cmp_lt_i16_e32 vcc_lo, 24, v4
	s_cbranch_vccz .LBB20_82
; %bb.75:
	v_and_b32_e32 v1, 0x7fffffff, v0
	v_mov_b32_e32 v5, 0x80
	s_mov_b32 s1, exec_lo
	s_delay_alu instid0(VALU_DEP_2)
	v_cmpx_gt_u32_e32 0x47800000, v1
	s_cbranch_execz .LBB20_81
; %bb.76:
	v_cmp_lt_u32_e32 vcc_lo, 0x37ffffff, v1
	s_mov_b32 s10, 0
                                        ; implicit-def: $vgpr1
	s_and_saveexec_b32 s15, vcc_lo
	s_delay_alu instid0(SALU_CYCLE_1)
	s_xor_b32 s15, exec_lo, s15
	s_cbranch_execz .LBB20_303
; %bb.77:
	v_bfe_u32 v1, v0, 21, 1
	s_mov_b32 s10, exec_lo
	s_delay_alu instid0(VALU_DEP_1) | instskip(NEXT) | instid1(VALU_DEP_1)
	v_add3_u32 v1, v0, v1, 0x88fffff
	v_lshrrev_b32_e32 v1, 21, v1
	s_or_saveexec_b32 s15, s15
                                        ; implicit-def: $sgpr16
	s_delay_alu instid0(SALU_CYCLE_1)
	s_xor_b32 exec_lo, exec_lo, s15
	s_cbranch_execnz .LBB20_304
.LBB20_78:
	s_or_b32 exec_lo, exec_lo, s15
	v_mov_b32_e32 v5, s16
	s_and_saveexec_b32 s15, s10
.LBB20_79:
	v_lshrrev_b32_e32 v5, 24, v0
	s_delay_alu instid0(VALU_DEP_1)
	v_and_or_b32 v5, 0x80, v5, v1
.LBB20_80:
	s_or_b32 exec_lo, exec_lo, s15
.LBB20_81:
	s_delay_alu instid0(SALU_CYCLE_1)
	s_or_b32 exec_lo, exec_lo, s1
	s_mov_b32 s1, 0
	global_store_b8 v[2:3], v5, off
.LBB20_82:
	s_and_b32 vcc_lo, exec_lo, s1
	s_cbranch_vccz .LBB20_92
; %bb.83:
	v_and_b32_e32 v5, 0x7fffffff, v0
	s_mov_b32 s1, exec_lo
                                        ; implicit-def: $vgpr1
	s_delay_alu instid0(VALU_DEP_1)
	v_cmpx_gt_u32_e32 0x43f00000, v5
	s_xor_b32 s1, exec_lo, s1
	s_cbranch_execz .LBB20_89
; %bb.84:
	s_mov_b32 s10, exec_lo
                                        ; implicit-def: $vgpr1
	v_cmpx_lt_u32_e32 0x3c7fffff, v5
	s_xor_b32 s10, exec_lo, s10
; %bb.85:
	v_bfe_u32 v1, v0, 20, 1
	s_delay_alu instid0(VALU_DEP_1) | instskip(NEXT) | instid1(VALU_DEP_1)
	v_add3_u32 v1, v0, v1, 0x407ffff
	v_and_b32_e32 v5, 0xff00000, v1
	v_lshrrev_b32_e32 v1, 20, v1
	s_delay_alu instid0(VALU_DEP_2) | instskip(NEXT) | instid1(VALU_DEP_2)
	v_cmp_ne_u32_e32 vcc_lo, 0x7f00000, v5
	v_cndmask_b32_e32 v1, 0x7e, v1, vcc_lo
; %bb.86:
	s_and_not1_saveexec_b32 s10, s10
; %bb.87:
	v_add_f32_e64 v1, 0x46800000, |v0|
; %bb.88:
	s_or_b32 exec_lo, exec_lo, s10
                                        ; implicit-def: $vgpr5
.LBB20_89:
	s_and_not1_saveexec_b32 s1, s1
; %bb.90:
	v_mov_b32_e32 v1, 0x7f
	v_cmp_lt_u32_e32 vcc_lo, 0x7f800000, v5
	s_delay_alu instid0(VALU_DEP_2)
	v_cndmask_b32_e32 v1, 0x7e, v1, vcc_lo
; %bb.91:
	s_or_b32 exec_lo, exec_lo, s1
	v_lshrrev_b32_e32 v5, 24, v0
	s_delay_alu instid0(VALU_DEP_1)
	v_and_or_b32 v1, 0x80, v5, v1
	global_store_b8 v[2:3], v1, off
.LBB20_92:
	s_mov_b32 s1, 0
.LBB20_93:
	s_delay_alu instid0(SALU_CYCLE_1)
	s_and_not1_b32 vcc_lo, exec_lo, s1
	s_cbranch_vccnz .LBB20_103
; %bb.94:
	v_and_b32_e32 v5, 0x7fffffff, v0
	s_mov_b32 s1, exec_lo
                                        ; implicit-def: $vgpr1
	s_delay_alu instid0(VALU_DEP_1)
	v_cmpx_gt_u32_e32 0x47800000, v5
	s_xor_b32 s1, exec_lo, s1
	s_cbranch_execz .LBB20_100
; %bb.95:
	s_mov_b32 s10, exec_lo
                                        ; implicit-def: $vgpr1
	v_cmpx_lt_u32_e32 0x387fffff, v5
	s_xor_b32 s10, exec_lo, s10
; %bb.96:
	v_bfe_u32 v1, v0, 21, 1
	s_delay_alu instid0(VALU_DEP_1) | instskip(NEXT) | instid1(VALU_DEP_1)
	v_add3_u32 v1, v0, v1, 0x80fffff
	v_lshrrev_b32_e32 v1, 21, v1
; %bb.97:
	s_and_not1_saveexec_b32 s10, s10
; %bb.98:
	v_add_f32_e64 v1, 0x43000000, |v0|
; %bb.99:
	s_or_b32 exec_lo, exec_lo, s10
                                        ; implicit-def: $vgpr5
.LBB20_100:
	s_and_not1_saveexec_b32 s1, s1
; %bb.101:
	v_mov_b32_e32 v1, 0x7f
	v_cmp_lt_u32_e32 vcc_lo, 0x7f800000, v5
	s_delay_alu instid0(VALU_DEP_2)
	v_cndmask_b32_e32 v1, 0x7c, v1, vcc_lo
; %bb.102:
	s_or_b32 exec_lo, exec_lo, s1
	v_lshrrev_b32_e32 v5, 24, v0
	s_delay_alu instid0(VALU_DEP_1)
	v_and_or_b32 v1, 0x80, v5, v1
	global_store_b8 v[2:3], v1, off
.LBB20_103:
	s_mov_b32 s10, 0
	s_mov_b32 s1, -1
.LBB20_104:
	s_and_not1_b32 vcc_lo, exec_lo, s10
	s_cbranch_vccnz .LBB20_112
; %bb.105:
	v_cmp_lt_i16_e32 vcc_lo, 14, v4
	s_mov_b32 s10, -1
	s_cbranch_vccz .LBB20_109
; %bb.106:
	v_cmp_eq_u16_e32 vcc_lo, 15, v4
	s_mov_b32 s0, -1
	s_cbranch_vccz .LBB20_108
; %bb.107:
	v_bfe_u32 v1, v0, 16, 1
	v_cmp_o_f32_e32 vcc_lo, v0, v0
	s_mov_b32 s1, -1
	s_mov_b32 s0, 0
	s_delay_alu instid0(VALU_DEP_2) | instskip(NEXT) | instid1(VALU_DEP_1)
	v_add3_u32 v1, v0, v1, 0x7fff
	v_lshrrev_b32_e32 v1, 16, v1
	s_delay_alu instid0(VALU_DEP_1)
	v_cndmask_b32_e32 v1, 0x7fc0, v1, vcc_lo
	global_store_b16 v[2:3], v1, off
.LBB20_108:
	s_mov_b32 s10, 0
.LBB20_109:
	s_delay_alu instid0(SALU_CYCLE_1)
	s_and_b32 vcc_lo, exec_lo, s10
	s_cbranch_vccz .LBB20_112
; %bb.110:
	v_cmp_eq_u16_e32 vcc_lo, 11, v4
	s_mov_b32 s0, -1
	s_cbranch_vccz .LBB20_112
; %bb.111:
	v_cmp_neq_f32_e32 vcc_lo, 0, v0
	s_mov_b32 s0, 0
	s_mov_b32 s1, -1
	v_cndmask_b32_e64 v1, 0, 1, vcc_lo
	global_store_b8 v[2:3], v1, off
.LBB20_112:
	s_branch .LBB20_32
.LBB20_113:
	v_cmp_gt_i16_e32 vcc_lo, 5, v4
	s_mov_b32 s1, -1
	s_cbranch_vccnz .LBB20_134
; %bb.114:
	v_cmp_gt_i16_e32 vcc_lo, 8, v4
	s_cbranch_vccnz .LBB20_124
; %bb.115:
	v_cmp_gt_i16_e32 vcc_lo, 9, v4
	s_cbranch_vccnz .LBB20_121
; %bb.116:
	v_cmp_lt_i16_e32 vcc_lo, 9, v4
	s_cbranch_vccz .LBB20_118
; %bb.117:
	v_cvt_f64_f32_e32 v[10:11], v0
	v_mov_b32_e32 v12, 0
	s_mov_b32 s1, 0
	s_delay_alu instid0(VALU_DEP_1)
	v_mov_b32_e32 v13, v12
	global_store_b128 v[2:3], v[10:13], off
.LBB20_118:
	s_and_not1_b32 vcc_lo, exec_lo, s1
	s_cbranch_vccnz .LBB20_120
; %bb.119:
	v_mov_b32_e32 v1, 0
	global_store_b64 v[2:3], v[0:1], off
.LBB20_120:
	s_mov_b32 s1, 0
.LBB20_121:
	s_delay_alu instid0(SALU_CYCLE_1)
	s_and_not1_b32 vcc_lo, exec_lo, s1
	s_cbranch_vccnz .LBB20_123
; %bb.122:
	v_cvt_f16_f32_e32 v1, v0
	s_delay_alu instid0(VALU_DEP_1)
	v_and_b32_e32 v1, 0xffff, v1
	global_store_b32 v[2:3], v1, off
.LBB20_123:
	s_mov_b32 s1, 0
.LBB20_124:
	s_delay_alu instid0(SALU_CYCLE_1)
	s_and_not1_b32 vcc_lo, exec_lo, s1
	s_cbranch_vccnz .LBB20_133
; %bb.125:
	v_cmp_gt_i16_e32 vcc_lo, 6, v4
	s_mov_b32 s1, -1
	s_cbranch_vccnz .LBB20_131
; %bb.126:
	v_cmp_lt_i16_e32 vcc_lo, 6, v4
	s_cbranch_vccz .LBB20_128
; %bb.127:
	v_cvt_f64_f32_e32 v[5:6], v0
	s_mov_b32 s1, 0
	global_store_b64 v[2:3], v[5:6], off
.LBB20_128:
	s_and_not1_b32 vcc_lo, exec_lo, s1
	s_cbranch_vccnz .LBB20_130
; %bb.129:
	global_store_b32 v[2:3], v0, off
.LBB20_130:
	s_mov_b32 s1, 0
.LBB20_131:
	s_delay_alu instid0(SALU_CYCLE_1)
	s_and_not1_b32 vcc_lo, exec_lo, s1
	s_cbranch_vccnz .LBB20_133
; %bb.132:
	v_cvt_f16_f32_e32 v1, v0
	global_store_b16 v[2:3], v1, off
.LBB20_133:
	s_mov_b32 s1, 0
.LBB20_134:
	s_delay_alu instid0(SALU_CYCLE_1)
	s_and_not1_b32 vcc_lo, exec_lo, s1
	s_cbranch_vccnz .LBB20_150
; %bb.135:
	v_cmp_gt_i16_e32 vcc_lo, 2, v4
	s_mov_b32 s1, -1
	s_cbranch_vccnz .LBB20_145
; %bb.136:
	v_cmp_gt_i16_e32 vcc_lo, 3, v4
	s_cbranch_vccnz .LBB20_142
; %bb.137:
	v_cmp_lt_i16_e32 vcc_lo, 3, v4
	s_cbranch_vccz .LBB20_139
; %bb.138:
	v_trunc_f32_e32 v1, v0
	s_mov_b32 s1, 0
	s_delay_alu instid0(VALU_DEP_1) | instskip(NEXT) | instid1(VALU_DEP_1)
	v_mul_f32_e64 v5, 0x2f800000, |v1|
	v_floor_f32_e32 v5, v5
	s_delay_alu instid0(VALU_DEP_1) | instskip(SKIP_2) | instid1(VALU_DEP_3)
	v_fma_f32 v6, 0xcf800000, v5, |v1|
	v_ashrrev_i32_e32 v1, 31, v1
	v_cvt_u32_f32_e32 v5, v5
	v_cvt_u32_f32_e32 v6, v6
	s_delay_alu instid0(VALU_DEP_2) | instskip(NEXT) | instid1(VALU_DEP_2)
	v_xor_b32_e32 v10, v5, v1
	v_xor_b32_e32 v6, v6, v1
	s_delay_alu instid0(VALU_DEP_1) | instskip(NEXT) | instid1(VALU_DEP_3)
	v_sub_co_u32 v5, vcc_lo, v6, v1
	v_sub_co_ci_u32_e32 v6, vcc_lo, v10, v1, vcc_lo
	global_store_b64 v[2:3], v[5:6], off
.LBB20_139:
	s_and_not1_b32 vcc_lo, exec_lo, s1
	s_cbranch_vccnz .LBB20_141
; %bb.140:
	v_cvt_i32_f32_e32 v1, v0
	global_store_b32 v[2:3], v1, off
.LBB20_141:
	s_mov_b32 s1, 0
.LBB20_142:
	s_delay_alu instid0(SALU_CYCLE_1)
	s_and_not1_b32 vcc_lo, exec_lo, s1
	s_cbranch_vccnz .LBB20_144
; %bb.143:
	v_cvt_i32_f32_e32 v1, v0
	global_store_b16 v[2:3], v1, off
.LBB20_144:
	s_mov_b32 s1, 0
.LBB20_145:
	s_delay_alu instid0(SALU_CYCLE_1)
	s_and_not1_b32 vcc_lo, exec_lo, s1
	s_cbranch_vccnz .LBB20_150
; %bb.146:
	v_cmp_lt_i16_e32 vcc_lo, 0, v4
	s_mov_b32 s1, -1
	s_cbranch_vccz .LBB20_148
; %bb.147:
	v_cvt_i32_f32_e32 v1, v0
	s_mov_b32 s1, 0
	global_store_b8 v[2:3], v1, off
.LBB20_148:
	s_and_not1_b32 vcc_lo, exec_lo, s1
	s_cbranch_vccnz .LBB20_150
; %bb.149:
	v_trunc_f32_e32 v0, v0
	s_delay_alu instid0(VALU_DEP_1) | instskip(NEXT) | instid1(VALU_DEP_1)
	v_mul_f32_e64 v1, 0x2f800000, |v0|
	v_floor_f32_e32 v1, v1
	s_delay_alu instid0(VALU_DEP_1) | instskip(SKIP_1) | instid1(VALU_DEP_2)
	v_fma_f32 v1, 0xcf800000, v1, |v0|
	v_ashrrev_i32_e32 v0, 31, v0
	v_cvt_u32_f32_e32 v1, v1
	s_delay_alu instid0(VALU_DEP_1) | instskip(NEXT) | instid1(VALU_DEP_1)
	v_xor_b32_e32 v1, v1, v0
	v_sub_nc_u32_e32 v0, v1, v0
	global_store_b8 v[2:3], v0, off
.LBB20_150:
.LBB20_151:
	v_add_nc_u32_e32 v8, 0x80, v8
	s_mov_b32 s1, -1
	s_branch .LBB20_262
.LBB20_152:
	s_mov_b32 s12, -1
                                        ; implicit-def: $vgpr2
.LBB20_153:
	s_mov_b32 s1, 0
.LBB20_154:
	s_delay_alu instid0(SALU_CYCLE_1)
	s_and_b32 vcc_lo, exec_lo, s1
	s_cbranch_vccz .LBB20_158
; %bb.155:
	v_cmp_eq_u16_e32 vcc_lo, 29, v9
	s_cbranch_vccz .LBB20_157
; %bb.156:
	global_load_b64 v[2:3], v[0:1], off
	s_mov_b32 s0, -1
	s_mov_b32 s12, 0
	s_mov_b32 s1, 0
	s_waitcnt vmcnt(0)
	v_clz_i32_u32_e32 v4, v3
	s_delay_alu instid0(VALU_DEP_1) | instskip(NEXT) | instid1(VALU_DEP_1)
	v_min_u32_e32 v4, 32, v4
	v_lshlrev_b64 v[2:3], v4, v[2:3]
	s_delay_alu instid0(VALU_DEP_1) | instskip(NEXT) | instid1(VALU_DEP_1)
	v_min_u32_e32 v2, 1, v2
	v_or_b32_e32 v2, v3, v2
	v_sub_nc_u32_e32 v3, 32, v4
	s_delay_alu instid0(VALU_DEP_2) | instskip(NEXT) | instid1(VALU_DEP_1)
	v_cvt_f32_u32_e32 v2, v2
	v_ldexp_f32 v2, v2, v3
	s_branch .LBB20_159
.LBB20_157:
	s_mov_b32 s12, -1
                                        ; implicit-def: $vgpr2
.LBB20_158:
	s_mov_b32 s1, 0
.LBB20_159:
	s_delay_alu instid0(SALU_CYCLE_1)
	s_and_b32 vcc_lo, exec_lo, s1
	s_cbranch_vccz .LBB20_177
; %bb.160:
	v_cmp_gt_i16_e32 vcc_lo, 27, v9
	s_cbranch_vccnz .LBB20_163
; %bb.161:
	v_cmp_lt_i16_e32 vcc_lo, 27, v9
	s_cbranch_vccz .LBB20_164
; %bb.162:
	global_load_b32 v2, v[0:1], off
	s_mov_b32 s0, 0
	s_waitcnt vmcnt(0)
	v_cvt_f32_u32_e32 v2, v2
	s_branch .LBB20_165
.LBB20_163:
	s_mov_b32 s0, -1
                                        ; implicit-def: $vgpr2
	s_branch .LBB20_168
.LBB20_164:
	s_mov_b32 s0, -1
                                        ; implicit-def: $vgpr2
.LBB20_165:
	s_delay_alu instid0(SALU_CYCLE_1)
	s_and_not1_b32 vcc_lo, exec_lo, s0
	s_cbranch_vccnz .LBB20_167
; %bb.166:
	global_load_u16 v2, v[0:1], off
	s_waitcnt vmcnt(0)
	v_cvt_f32_u32_e32 v2, v2
.LBB20_167:
	s_mov_b32 s0, 0
.LBB20_168:
	s_delay_alu instid0(SALU_CYCLE_1)
	s_and_not1_b32 vcc_lo, exec_lo, s0
	s_cbranch_vccnz .LBB20_176
; %bb.169:
	global_load_u8 v3, v[0:1], off
	s_mov_b32 s0, 0
	s_mov_b32 s10, exec_lo
                                        ; implicit-def: $sgpr1
	s_waitcnt vmcnt(0)
	v_cmpx_lt_i16_e32 0x7f, v3
	s_xor_b32 s10, exec_lo, s10
	s_cbranch_execz .LBB20_189
; %bb.170:
	s_mov_b32 s0, -1
	s_mov_b32 s15, exec_lo
                                        ; implicit-def: $sgpr1
	v_cmpx_eq_u16_e32 0x80, v3
; %bb.171:
	s_mov_b32 s1, 0x7f800001
	s_xor_b32 s0, exec_lo, -1
; %bb.172:
	s_or_b32 exec_lo, exec_lo, s15
	s_delay_alu instid0(SALU_CYCLE_1)
	s_and_b32 s0, s0, exec_lo
	s_or_saveexec_b32 s10, s10
	v_mov_b32_e32 v2, s1
	s_xor_b32 exec_lo, exec_lo, s10
	s_cbranch_execnz .LBB20_190
.LBB20_173:
	s_or_b32 exec_lo, exec_lo, s10
	s_and_saveexec_b32 s1, s0
	s_cbranch_execz .LBB20_175
.LBB20_174:
	v_and_b32_e32 v2, 0xffff, v3
	s_delay_alu instid0(VALU_DEP_1) | instskip(NEXT) | instid1(VALU_DEP_1)
	v_and_b32_e32 v4, 7, v2
	v_clz_i32_u32_e32 v5, v4
	s_delay_alu instid0(VALU_DEP_1) | instskip(NEXT) | instid1(VALU_DEP_1)
	v_min_u32_e32 v5, 32, v5
	v_subrev_nc_u32_e32 v6, 28, v5
	v_sub_nc_u32_e32 v5, 29, v5
	s_delay_alu instid0(VALU_DEP_2) | instskip(SKIP_1) | instid1(VALU_DEP_2)
	v_lshlrev_b32_e32 v6, v6, v2
	v_bfe_u32 v2, v2, 3, 4
	v_and_b32_e32 v6, 7, v6
	s_delay_alu instid0(VALU_DEP_2) | instskip(SKIP_1) | instid1(VALU_DEP_1)
	v_cmp_eq_u32_e32 vcc_lo, 0, v2
	v_dual_cndmask_b32 v2, v2, v5 :: v_dual_lshlrev_b32 v3, 24, v3
	v_dual_cndmask_b32 v4, v4, v6 :: v_dual_and_b32 v3, 0x80000000, v3
	s_delay_alu instid0(VALU_DEP_2) | instskip(NEXT) | instid1(VALU_DEP_2)
	v_lshl_add_u32 v2, v2, 23, 0x3b800000
	v_lshlrev_b32_e32 v4, 20, v4
	s_delay_alu instid0(VALU_DEP_1)
	v_or3_b32 v2, v3, v2, v4
.LBB20_175:
	s_or_b32 exec_lo, exec_lo, s1
.LBB20_176:
	s_mov_b32 s0, -1
.LBB20_177:
	s_branch .LBB20_212
.LBB20_178:
	v_cmp_lt_i16_e32 vcc_lo, 22, v9
	s_cbranch_vccz .LBB20_188
; %bb.179:
	v_cmp_gt_i16_e32 vcc_lo, 24, v9
	s_cbranch_vccnz .LBB20_191
; %bb.180:
	v_cmp_lt_i16_e32 vcc_lo, 24, v9
	s_cbranch_vccz .LBB20_192
; %bb.181:
	global_load_u8 v3, v[0:1], off
	s_mov_b32 s0, 0
	s_mov_b32 s10, exec_lo
                                        ; implicit-def: $sgpr1
	s_waitcnt vmcnt(0)
	v_cmpx_lt_i16_e32 0x7f, v3
	s_xor_b32 s10, exec_lo, s10
	s_cbranch_execz .LBB20_204
; %bb.182:
	s_mov_b32 s0, -1
	s_mov_b32 s15, exec_lo
                                        ; implicit-def: $sgpr1
	v_cmpx_eq_u16_e32 0x80, v3
; %bb.183:
	s_mov_b32 s1, 0x7f800001
	s_xor_b32 s0, exec_lo, -1
; %bb.184:
	s_or_b32 exec_lo, exec_lo, s15
	s_delay_alu instid0(SALU_CYCLE_1)
	s_and_b32 s0, s0, exec_lo
	s_or_saveexec_b32 s10, s10
	v_mov_b32_e32 v2, s1
	s_xor_b32 exec_lo, exec_lo, s10
	s_cbranch_execnz .LBB20_205
.LBB20_185:
	s_or_b32 exec_lo, exec_lo, s10
	s_and_saveexec_b32 s1, s0
	s_cbranch_execz .LBB20_187
.LBB20_186:
	v_and_b32_e32 v2, 0xffff, v3
	s_delay_alu instid0(VALU_DEP_1) | instskip(NEXT) | instid1(VALU_DEP_1)
	v_and_b32_e32 v4, 3, v2
	v_clz_i32_u32_e32 v5, v4
	s_delay_alu instid0(VALU_DEP_1) | instskip(NEXT) | instid1(VALU_DEP_1)
	v_min_u32_e32 v5, 32, v5
	v_subrev_nc_u32_e32 v6, 29, v5
	v_sub_nc_u32_e32 v5, 30, v5
	s_delay_alu instid0(VALU_DEP_2) | instskip(SKIP_1) | instid1(VALU_DEP_2)
	v_lshlrev_b32_e32 v6, v6, v2
	v_bfe_u32 v2, v2, 2, 5
	v_and_b32_e32 v6, 3, v6
	s_delay_alu instid0(VALU_DEP_2) | instskip(SKIP_1) | instid1(VALU_DEP_1)
	v_cmp_eq_u32_e32 vcc_lo, 0, v2
	v_dual_cndmask_b32 v2, v2, v5 :: v_dual_lshlrev_b32 v3, 24, v3
	v_dual_cndmask_b32 v4, v4, v6 :: v_dual_and_b32 v3, 0x80000000, v3
	s_delay_alu instid0(VALU_DEP_2) | instskip(NEXT) | instid1(VALU_DEP_2)
	v_lshl_add_u32 v2, v2, 23, 0x37800000
	v_lshlrev_b32_e32 v4, 21, v4
	s_delay_alu instid0(VALU_DEP_1)
	v_or3_b32 v2, v3, v2, v4
.LBB20_187:
	s_or_b32 exec_lo, exec_lo, s1
	s_mov_b32 s0, 0
	s_branch .LBB20_193
.LBB20_188:
	s_mov_b32 s1, -1
                                        ; implicit-def: $vgpr2
	s_branch .LBB20_199
.LBB20_189:
	s_or_saveexec_b32 s10, s10
	v_mov_b32_e32 v2, s1
	s_xor_b32 exec_lo, exec_lo, s10
	s_cbranch_execz .LBB20_173
.LBB20_190:
	v_cmp_ne_u16_e32 vcc_lo, 0, v3
	v_mov_b32_e32 v2, 0
	s_and_not1_b32 s0, s0, exec_lo
	s_and_b32 s1, vcc_lo, exec_lo
	s_delay_alu instid0(SALU_CYCLE_1)
	s_or_b32 s0, s0, s1
	s_or_b32 exec_lo, exec_lo, s10
	s_and_saveexec_b32 s1, s0
	s_cbranch_execnz .LBB20_174
	s_branch .LBB20_175
.LBB20_191:
	s_mov_b32 s0, -1
                                        ; implicit-def: $vgpr2
	s_branch .LBB20_196
.LBB20_192:
	s_mov_b32 s0, -1
                                        ; implicit-def: $vgpr2
.LBB20_193:
	s_delay_alu instid0(SALU_CYCLE_1)
	s_and_b32 vcc_lo, exec_lo, s0
	s_cbranch_vccz .LBB20_195
; %bb.194:
	global_load_u8 v2, v[0:1], off
	s_waitcnt vmcnt(0)
	v_lshlrev_b32_e32 v2, 24, v2
	s_delay_alu instid0(VALU_DEP_1) | instskip(NEXT) | instid1(VALU_DEP_1)
	v_and_b32_e32 v3, 0x7f000000, v2
	v_clz_i32_u32_e32 v4, v3
	v_add_nc_u32_e32 v6, 0x1000000, v3
	v_cmp_ne_u32_e32 vcc_lo, 0, v3
	s_delay_alu instid0(VALU_DEP_3) | instskip(NEXT) | instid1(VALU_DEP_1)
	v_min_u32_e32 v4, 32, v4
	v_sub_nc_u32_e64 v4, v4, 4 clamp
	s_delay_alu instid0(VALU_DEP_1) | instskip(SKIP_1) | instid1(VALU_DEP_2)
	v_lshlrev_b32_e32 v5, v4, v3
	v_lshlrev_b32_e32 v4, 23, v4
	v_lshrrev_b32_e32 v5, 4, v5
	s_delay_alu instid0(VALU_DEP_1) | instskip(SKIP_1) | instid1(VALU_DEP_2)
	v_sub_nc_u32_e32 v4, v5, v4
	v_ashrrev_i32_e32 v5, 8, v6
	v_add_nc_u32_e32 v4, 0x3c000000, v4
	s_delay_alu instid0(VALU_DEP_1) | instskip(NEXT) | instid1(VALU_DEP_1)
	v_and_or_b32 v4, 0x7f800000, v5, v4
	v_cndmask_b32_e32 v3, 0, v4, vcc_lo
	s_delay_alu instid0(VALU_DEP_1)
	v_and_or_b32 v2, 0x80000000, v2, v3
.LBB20_195:
	s_mov_b32 s0, 0
.LBB20_196:
	s_delay_alu instid0(SALU_CYCLE_1)
	s_and_not1_b32 vcc_lo, exec_lo, s0
	s_cbranch_vccnz .LBB20_198
; %bb.197:
	global_load_u8 v2, v[0:1], off
	s_waitcnt vmcnt(0)
	v_lshlrev_b32_e32 v3, 25, v2
	v_lshlrev_b16 v2, 8, v2
	s_delay_alu instid0(VALU_DEP_2) | instskip(NEXT) | instid1(VALU_DEP_2)
	v_lshrrev_b32_e32 v4, 4, v3
	v_and_or_b32 v5, 0x7f00, v2, 0.5
	v_bfe_i32 v2, v2, 0, 16
	s_delay_alu instid0(VALU_DEP_3) | instskip(NEXT) | instid1(VALU_DEP_1)
	v_or_b32_e32 v4, 0x70000000, v4
	v_dual_add_f32 v5, -0.5, v5 :: v_dual_mul_f32 v4, 0x7800000, v4
	v_cmp_gt_u32_e32 vcc_lo, 0x8000000, v3
	s_delay_alu instid0(VALU_DEP_2) | instskip(NEXT) | instid1(VALU_DEP_1)
	v_cndmask_b32_e32 v3, v4, v5, vcc_lo
	v_and_or_b32 v2, 0x80000000, v2, v3
.LBB20_198:
	s_mov_b32 s1, 0
	s_mov_b32 s0, -1
.LBB20_199:
	s_and_not1_b32 vcc_lo, exec_lo, s1
	s_cbranch_vccnz .LBB20_212
; %bb.200:
	v_cmp_lt_i16_e32 vcc_lo, 14, v9
	s_cbranch_vccz .LBB20_203
; %bb.201:
	v_cmp_eq_u16_e32 vcc_lo, 15, v9
	s_cbranch_vccz .LBB20_206
; %bb.202:
	global_load_u16 v2, v[0:1], off
	s_mov_b32 s0, -1
	s_mov_b32 s12, 0
	s_waitcnt vmcnt(0)
	v_lshlrev_b32_e32 v2, 16, v2
	s_branch .LBB20_207
.LBB20_203:
	s_mov_b32 s1, -1
                                        ; implicit-def: $vgpr2
	s_branch .LBB20_208
.LBB20_204:
	s_or_saveexec_b32 s10, s10
	v_mov_b32_e32 v2, s1
	s_xor_b32 exec_lo, exec_lo, s10
	s_cbranch_execz .LBB20_185
.LBB20_205:
	v_cmp_ne_u16_e32 vcc_lo, 0, v3
	v_mov_b32_e32 v2, 0
	s_and_not1_b32 s0, s0, exec_lo
	s_and_b32 s1, vcc_lo, exec_lo
	s_delay_alu instid0(SALU_CYCLE_1)
	s_or_b32 s0, s0, s1
	s_or_b32 exec_lo, exec_lo, s10
	s_and_saveexec_b32 s1, s0
	s_cbranch_execnz .LBB20_186
	s_branch .LBB20_187
.LBB20_206:
	s_mov_b32 s12, -1
                                        ; implicit-def: $vgpr2
.LBB20_207:
	s_mov_b32 s1, 0
.LBB20_208:
	s_delay_alu instid0(SALU_CYCLE_1)
	s_and_b32 vcc_lo, exec_lo, s1
	s_cbranch_vccz .LBB20_212
; %bb.209:
	v_cmp_eq_u16_e32 vcc_lo, 11, v9
	s_cbranch_vccz .LBB20_211
; %bb.210:
	global_load_u8 v2, v[0:1], off
	s_mov_b32 s12, 0
	s_mov_b32 s0, -1
	s_waitcnt vmcnt(0)
	v_cmp_ne_u16_e32 vcc_lo, 0, v2
	v_cndmask_b32_e64 v2, 0, 1.0, vcc_lo
	s_branch .LBB20_212
.LBB20_211:
	s_mov_b32 s12, -1
                                        ; implicit-def: $vgpr2
.LBB20_212:
	s_branch .LBB20_10
.LBB20_213:
	v_cmp_gt_i16_e32 vcc_lo, 5, v9
	s_cbranch_vccnz .LBB20_218
; %bb.214:
	v_cmp_gt_i16_e32 vcc_lo, 8, v9
	s_cbranch_vccnz .LBB20_219
; %bb.215:
	;; [unrolled: 3-line block ×3, first 2 shown]
	v_cmp_lt_i16_e32 vcc_lo, 9, v9
	s_cbranch_vccz .LBB20_221
; %bb.217:
	global_load_b64 v[2:3], v[0:1], off
	s_mov_b32 s0, 0
	s_waitcnt vmcnt(0)
	v_cvt_f32_f64_e32 v2, v[2:3]
	s_branch .LBB20_222
.LBB20_218:
                                        ; implicit-def: $vgpr2
	s_branch .LBB20_240
.LBB20_219:
	s_mov_b32 s0, -1
                                        ; implicit-def: $vgpr2
	s_branch .LBB20_228
.LBB20_220:
	s_mov_b32 s0, -1
                                        ; implicit-def: $vgpr2
	s_branch .LBB20_225
.LBB20_221:
	s_mov_b32 s0, -1
                                        ; implicit-def: $vgpr2
.LBB20_222:
	s_delay_alu instid0(SALU_CYCLE_1)
	s_and_not1_b32 vcc_lo, exec_lo, s0
	s_cbranch_vccnz .LBB20_224
; %bb.223:
	global_load_b32 v2, v[0:1], off
.LBB20_224:
	s_mov_b32 s0, 0
.LBB20_225:
	s_delay_alu instid0(SALU_CYCLE_1)
	s_and_not1_b32 vcc_lo, exec_lo, s0
	s_cbranch_vccnz .LBB20_227
; %bb.226:
	global_load_b32 v2, v[0:1], off
	s_waitcnt vmcnt(0)
	v_cvt_f32_f16_e32 v2, v2
.LBB20_227:
	s_mov_b32 s0, 0
.LBB20_228:
	s_delay_alu instid0(SALU_CYCLE_1)
	s_and_not1_b32 vcc_lo, exec_lo, s0
	s_cbranch_vccnz .LBB20_239
; %bb.229:
	v_cmp_gt_i16_e32 vcc_lo, 6, v9
	s_cbranch_vccnz .LBB20_232
; %bb.230:
	v_cmp_lt_i16_e32 vcc_lo, 6, v9
	s_cbranch_vccz .LBB20_233
; %bb.231:
	global_load_b64 v[2:3], v[0:1], off
	s_mov_b32 s0, 0
	s_waitcnt vmcnt(0)
	v_cvt_f32_f64_e32 v2, v[2:3]
	s_branch .LBB20_234
.LBB20_232:
	s_mov_b32 s0, -1
                                        ; implicit-def: $vgpr2
	s_branch .LBB20_237
.LBB20_233:
	s_mov_b32 s0, -1
                                        ; implicit-def: $vgpr2
.LBB20_234:
	s_delay_alu instid0(SALU_CYCLE_1)
	s_and_not1_b32 vcc_lo, exec_lo, s0
	s_cbranch_vccnz .LBB20_236
; %bb.235:
	global_load_b32 v2, v[0:1], off
.LBB20_236:
	s_mov_b32 s0, 0
.LBB20_237:
	s_delay_alu instid0(SALU_CYCLE_1)
	s_and_not1_b32 vcc_lo, exec_lo, s0
	s_cbranch_vccnz .LBB20_239
; %bb.238:
	global_load_u16 v2, v[0:1], off
	s_waitcnt vmcnt(0)
	v_cvt_f32_f16_e32 v2, v2
.LBB20_239:
	s_cbranch_execnz .LBB20_259
.LBB20_240:
	v_cmp_gt_i16_e32 vcc_lo, 2, v9
	s_cbranch_vccnz .LBB20_244
; %bb.241:
	v_cmp_gt_i16_e32 vcc_lo, 3, v9
	s_cbranch_vccnz .LBB20_245
; %bb.242:
	v_cmp_lt_i16_e32 vcc_lo, 3, v9
	s_cbranch_vccz .LBB20_246
; %bb.243:
	global_load_b64 v[2:3], v[0:1], off
	s_mov_b32 s0, 0
	s_waitcnt vmcnt(0)
	v_xor_b32_e32 v4, v2, v3
	v_cls_i32_e32 v5, v3
	s_delay_alu instid0(VALU_DEP_2) | instskip(NEXT) | instid1(VALU_DEP_2)
	v_ashrrev_i32_e32 v4, 31, v4
	v_add_nc_u32_e32 v5, -1, v5
	s_delay_alu instid0(VALU_DEP_2) | instskip(NEXT) | instid1(VALU_DEP_1)
	v_add_nc_u32_e32 v4, 32, v4
	v_min_u32_e32 v4, v5, v4
	s_delay_alu instid0(VALU_DEP_1) | instskip(NEXT) | instid1(VALU_DEP_1)
	v_lshlrev_b64 v[2:3], v4, v[2:3]
	v_min_u32_e32 v2, 1, v2
	s_delay_alu instid0(VALU_DEP_1) | instskip(SKIP_1) | instid1(VALU_DEP_2)
	v_or_b32_e32 v2, v3, v2
	v_sub_nc_u32_e32 v3, 32, v4
	v_cvt_f32_i32_e32 v2, v2
	s_delay_alu instid0(VALU_DEP_1)
	v_ldexp_f32 v2, v2, v3
	s_branch .LBB20_247
.LBB20_244:
	s_mov_b32 s0, -1
                                        ; implicit-def: $vgpr2
	s_branch .LBB20_253
.LBB20_245:
	s_mov_b32 s0, -1
                                        ; implicit-def: $vgpr2
	s_branch .LBB20_250
.LBB20_246:
	s_mov_b32 s0, -1
                                        ; implicit-def: $vgpr2
.LBB20_247:
	s_delay_alu instid0(SALU_CYCLE_1)
	s_and_not1_b32 vcc_lo, exec_lo, s0
	s_cbranch_vccnz .LBB20_249
; %bb.248:
	global_load_b32 v2, v[0:1], off
	s_waitcnt vmcnt(0)
	v_cvt_f32_i32_e32 v2, v2
.LBB20_249:
	s_mov_b32 s0, 0
.LBB20_250:
	s_delay_alu instid0(SALU_CYCLE_1)
	s_and_not1_b32 vcc_lo, exec_lo, s0
	s_cbranch_vccnz .LBB20_252
; %bb.251:
	global_load_i16 v2, v[0:1], off
	s_waitcnt vmcnt(0)
	v_cvt_f32_i32_e32 v2, v2
.LBB20_252:
	s_mov_b32 s0, 0
.LBB20_253:
	s_delay_alu instid0(SALU_CYCLE_1)
	s_and_not1_b32 vcc_lo, exec_lo, s0
	s_cbranch_vccnz .LBB20_259
; %bb.254:
	v_cmp_lt_i16_e32 vcc_lo, 0, v9
	s_mov_b32 s0, 0
	s_cbranch_vccz .LBB20_256
; %bb.255:
	global_load_i8 v2, v[0:1], off
	s_waitcnt vmcnt(0)
	v_cvt_f32_i32_e32 v2, v2
	s_branch .LBB20_257
.LBB20_256:
	s_mov_b32 s0, -1
                                        ; implicit-def: $vgpr2
.LBB20_257:
	s_delay_alu instid0(SALU_CYCLE_1)
	s_and_not1_b32 vcc_lo, exec_lo, s0
	s_cbranch_vccnz .LBB20_259
; %bb.258:
	global_load_u8 v0, v[0:1], off
	s_waitcnt vmcnt(0)
	v_cvt_f32_ubyte0_e32 v2, v0
.LBB20_259:
	s_branch .LBB20_11
.LBB20_260:
	s_mov_b32 s0, 0
.LBB20_261:
	s_mov_b32 s1, 0
                                        ; implicit-def: $vgpr8
.LBB20_262:
	s_and_b32 s10, s0, exec_lo
	s_and_b32 s12, s12, exec_lo
	s_or_not1_b32 s1, s1, exec_lo
.LBB20_263:
	s_or_b32 exec_lo, exec_lo, s13
	s_mov_b32 s15, 0
	s_mov_b32 s0, 0
                                        ; implicit-def: $vgpr0_vgpr1
                                        ; implicit-def: $vgpr4
	s_and_saveexec_b32 s13, s1
	s_cbranch_execz .LBB20_895
; %bb.264:
	s_mov_b32 s18, -1
	s_mov_b32 s14, s12
	s_mov_b32 s15, s10
	s_mov_b32 s16, exec_lo
	v_cmpx_gt_i32_e64 s11, v8
	s_cbranch_execz .LBB20_535
; %bb.265:
	v_mul_lo_u32 v0, v8, s3
	v_cmp_gt_i16_e32 vcc_lo, 11, v9
	s_delay_alu instid0(VALU_DEP_2) | instskip(SKIP_1) | instid1(VALU_DEP_1)
	v_ashrrev_i32_e32 v1, 31, v0
	v_add_co_u32 v0, s0, s6, v0
	v_add_co_ci_u32_e64 v1, s0, s7, v1, s0
	s_cbranch_vccnz .LBB20_272
; %bb.266:
	v_cmp_lt_i16_e32 vcc_lo, 25, v9
	s_cbranch_vccz .LBB20_293
; %bb.267:
	v_cmp_lt_i16_e32 vcc_lo, 28, v9
	s_cbranch_vccz .LBB20_295
	;; [unrolled: 3-line block ×4, first 2 shown]
; %bb.270:
	v_cmp_eq_u16_e32 vcc_lo, 46, v9
	s_mov_b32 s1, 0
	s_cbranch_vccz .LBB20_305
; %bb.271:
	global_load_b32 v2, v[0:1], off
	s_mov_b32 s0, -1
	s_mov_b32 s14, 0
	s_waitcnt vmcnt(0)
	v_lshlrev_b32_e32 v2, 16, v2
	s_branch .LBB20_307
.LBB20_272:
	s_mov_b32 s0, 0
	s_mov_b32 s14, s12
                                        ; implicit-def: $vgpr2
	s_cbranch_execnz .LBB20_484
.LBB20_273:
	s_and_not1_b32 vcc_lo, exec_lo, s0
	s_cbranch_vccnz .LBB20_532
.LBB20_274:
	v_mov_b32_e32 v0, 0x7f800000
	s_mov_b32 s15, exec_lo
	s_waitcnt vmcnt(0)
	s_delay_alu instid0(VALU_DEP_2)
	v_cmpx_neq_f32_e32 0, v2
	s_cbranch_execz .LBB20_286
; %bb.275:
	v_mov_b32_e32 v0, 0x7fc00000
	s_mov_b32 s17, exec_lo
	v_cmpx_ngt_f32_e32 0, v2
	s_cbranch_execz .LBB20_285
; %bb.276:
                                        ; implicit-def: $vgpr0
	s_mov_b32 s0, exec_lo
	v_cmpx_ge_f32_e32 2.0, v2
	s_xor_b32 s18, exec_lo, s0
	s_cbranch_execz .LBB20_282
; %bb.277:
	v_mul_f32_e32 v0, 0.5, v2
	s_mov_b32 s0, exec_lo
                                        ; implicit-def: $vgpr3
                                        ; implicit-def: $vgpr1
	v_cmpx_ge_f32_e32 0x41000000, v2
	s_xor_b32 s0, exec_lo, s0
	s_cbranch_execz .LBB20_279
; %bb.278:
	v_mul_f32_e32 v5, 0x3fb8aa3b, v2
	s_mov_b32 s1, 0x224cf950
	v_cmp_ngt_f32_e32 vcc_lo, 0xc2ce8ed0, v2
	s_delay_alu instid0(VALU_DEP_2) | instskip(SKIP_2) | instid1(VALU_DEP_3)
	v_fma_f32 v10, 0x3fb8aa3b, v2, -v5
	v_add_f32_e32 v1, -2.0, v0
	v_rndne_f32_e32 v6, v5
	v_fmamk_f32 v10, v2, 0x32a5705f, v10
	s_delay_alu instid0(VALU_DEP_3) | instskip(NEXT) | instid1(VALU_DEP_3)
	v_fmaak_f32 v3, s1, v1, 0xa3c2be86
	v_sub_f32_e32 v5, v5, v6
	s_delay_alu instid0(VALU_DEP_2) | instskip(NEXT) | instid1(VALU_DEP_1)
	v_fmaak_f32 v4, v1, v3, 0xa24cf950
	v_dual_add_f32 v5, v5, v10 :: v_dual_add_f32 v4, 0x25331f1f, v4
	s_delay_alu instid0(VALU_DEP_1) | instskip(NEXT) | instid1(VALU_DEP_1)
	v_fma_f32 v3, v1, v4, -v3
	v_add_f32_e32 v3, 0xa69f5554, v3
	s_delay_alu instid0(VALU_DEP_1) | instskip(NEXT) | instid1(VALU_DEP_1)
	v_fma_f32 v4, v1, v3, -v4
	v_add_f32_e32 v4, 0x2808ebf8, v4
	;; [unrolled: 3-line block ×25, first 2 shown]
	s_delay_alu instid0(VALU_DEP_1) | instskip(SKIP_2) | instid1(VALU_DEP_2)
	v_fma_f32 v1, v1, v3, -v4
	v_exp_f32_e32 v3, v5
	v_cvt_i32_f32_e32 v5, v6
	v_add_f32_e32 v1, 0x3e81531c, v1
	s_delay_alu instid0(VALU_DEP_1) | instskip(SKIP_3) | instid1(VALU_DEP_2)
	v_sub_f32_e32 v1, v1, v4
	s_waitcnt_depctr 0xfff
	v_ldexp_f32 v3, v3, v5
	v_mul_f32_e32 v1, 0.5, v1
	v_cndmask_b32_e32 v3, 0, v3, vcc_lo
	v_cmp_nlt_f32_e32 vcc_lo, 0x42b17218, v2
	s_delay_alu instid0(VALU_DEP_2) | instskip(NEXT) | instid1(VALU_DEP_1)
	v_dual_mul_f32 v4, v2, v1 :: v_dual_cndmask_b32 v1, 0x7f800000, v3
	v_mul_f32_e32 v3, v1, v4
.LBB20_279:
	s_and_not1_saveexec_b32 s1, s0
	s_cbranch_execz .LBB20_281
; %bb.280:
	v_div_scale_f32 v1, null, v2, v2, 0x42000000
	v_div_scale_f32 v5, vcc_lo, 0x42000000, v2, 0x42000000
	s_mov_b32 s0, 0x230aab6e
	s_delay_alu instid0(VALU_DEP_2) | instskip(SKIP_2) | instid1(VALU_DEP_1)
	v_rcp_f32_e32 v3, v1
	s_waitcnt_depctr 0xfff
	v_fma_f32 v4, -v1, v3, 1.0
	v_fmac_f32_e32 v3, v4, v3
	s_delay_alu instid0(VALU_DEP_1) | instskip(NEXT) | instid1(VALU_DEP_1)
	v_mul_f32_e32 v4, v5, v3
	v_fma_f32 v6, -v1, v4, v5
	s_delay_alu instid0(VALU_DEP_1) | instskip(SKIP_1) | instid1(VALU_DEP_2)
	v_fmac_f32_e32 v4, v6, v3
	v_mul_f32_e32 v6, 0x3fb8aa3b, v2
	v_fma_f32 v1, -v1, v4, v5
	s_delay_alu instid0(VALU_DEP_2) | instskip(SKIP_1) | instid1(VALU_DEP_3)
	v_fma_f32 v11, 0x3fb8aa3b, v2, -v6
	v_rndne_f32_e32 v10, v6
	v_div_fmas_f32 v1, v1, v3, v4
	v_cmp_gt_f32_e32 vcc_lo, 0xf800000, v2
	s_delay_alu instid0(VALU_DEP_4) | instskip(SKIP_4) | instid1(VALU_DEP_4)
	v_fmamk_f32 v11, v2, 0x32a5705f, v11
	v_mul_f32_e32 v5, 0x4f800000, v2
	v_sub_f32_e32 v6, v6, v10
	v_div_fixup_f32 v1, v1, v2, 0x42000000
	v_cvt_i32_f32_e32 v10, v10
	v_cndmask_b32_e32 v5, v2, v5, vcc_lo
	s_delay_alu instid0(VALU_DEP_3) | instskip(NEXT) | instid1(VALU_DEP_2)
	v_dual_add_f32 v6, v6, v11 :: v_dual_add_f32 v1, -2.0, v1
	v_sqrt_f32_e32 v12, v5
	s_delay_alu instid0(VALU_DEP_1) | instskip(NEXT) | instid1(VALU_DEP_1)
	v_exp_f32_e32 v6, v6
	v_fmaak_f32 v3, s0, v1, 0x22a2dc57
	s_waitcnt_depctr 0xfff
	v_dual_fmaak_f32 v4, v1, v3, 0xa30aab6e :: v_dual_add_nc_u32 v11, -1, v12
	v_add_nc_u32_e32 v13, 1, v12
	s_delay_alu instid0(VALU_DEP_2) | instskip(NEXT) | instid1(VALU_DEP_3)
	v_add_f32_e32 v4, 0xa456751e, v4
	v_fma_f32 v14, -v11, v12, v5
	s_delay_alu instid0(VALU_DEP_3) | instskip(NEXT) | instid1(VALU_DEP_3)
	v_fma_f32 v15, -v13, v12, v5
	v_fma_f32 v3, v1, v4, -v3
	s_delay_alu instid0(VALU_DEP_3) | instskip(NEXT) | instid1(VALU_DEP_2)
	v_cmp_ge_f32_e64 s0, 0, v14
	v_add_f32_e32 v3, 0xa4140365, v3
	s_delay_alu instid0(VALU_DEP_2) | instskip(SKIP_1) | instid1(VALU_DEP_3)
	v_cndmask_b32_e64 v11, v12, v11, s0
	v_cmp_lt_f32_e64 s0, 0, v15
	v_fma_f32 v4, v1, v3, -v4
	s_delay_alu instid0(VALU_DEP_1) | instskip(NEXT) | instid1(VALU_DEP_1)
	v_add_f32_e32 v4, 0x25aac8b0, v4
	v_fma_f32 v3, v1, v4, -v3
	s_delay_alu instid0(VALU_DEP_1) | instskip(NEXT) | instid1(VALU_DEP_1)
	v_add_f32_e32 v3, 0x25beb473, v3
	v_fma_f32 v4, v1, v3, -v4
	s_delay_alu instid0(VALU_DEP_1) | instskip(NEXT) | instid1(VALU_DEP_1)
	v_add_f32_e32 v4, 0xa7077e6c, v4
	v_fma_f32 v3, v1, v4, -v3
	s_delay_alu instid0(VALU_DEP_1) | instskip(NEXT) | instid1(VALU_DEP_1)
	v_add_f32_e32 v3, 0xa7896da9, v3
	v_fma_f32 v4, v1, v3, -v4
	s_delay_alu instid0(VALU_DEP_1) | instskip(NEXT) | instid1(VALU_DEP_1)
	v_add_f32_e32 v4, 0x283bb70c, v4
	v_fma_f32 v3, v1, v4, -v3
	s_delay_alu instid0(VALU_DEP_1) | instskip(NEXT) | instid1(VALU_DEP_1)
	v_add_f32_e32 v3, 0x294069e1, v3
	v_fma_f32 v4, v1, v3, -v4
	s_delay_alu instid0(VALU_DEP_1) | instskip(NEXT) | instid1(VALU_DEP_1)
	v_add_f32_e32 v4, 0xa8bd4a41, v4
	v_fma_f32 v3, v1, v4, -v3
	s_delay_alu instid0(VALU_DEP_1) | instskip(NEXT) | instid1(VALU_DEP_1)
	v_add_f32_e32 v3, 0xaae5e22c, v3
	v_fma_f32 v4, v1, v3, -v4
	s_delay_alu instid0(VALU_DEP_1) | instskip(NEXT) | instid1(VALU_DEP_1)
	v_add_f32_e32 v4, 0xab4a9f08, v4
	v_fma_f32 v3, v1, v4, -v3
	s_delay_alu instid0(VALU_DEP_1) | instskip(NEXT) | instid1(VALU_DEP_1)
	v_add_f32_e32 v3, 0x2c0f3ea0, v3
	v_fma_f32 v4, v1, v3, -v4
	s_delay_alu instid0(VALU_DEP_1) | instskip(NEXT) | instid1(VALU_DEP_1)
	v_add_f32_e32 v4, 0x2d7880fb, v4
	v_fma_f32 v3, v1, v4, -v3
	s_delay_alu instid0(VALU_DEP_1) | instskip(NEXT) | instid1(VALU_DEP_1)
	v_add_f32_e32 v3, 0x2e0f0d10, v3
	v_fma_f32 v4, v1, v3, -v4
	s_delay_alu instid0(VALU_DEP_1) | instskip(NEXT) | instid1(VALU_DEP_1)
	v_add_f32_e32 v4, 0xada6e7cf, v4
	v_fma_f32 v3, v1, v4, -v3
	s_delay_alu instid0(VALU_DEP_1) | instskip(NEXT) | instid1(VALU_DEP_1)
	v_add_f32_e32 v3, 0xb019a653, v3
	v_fma_f32 v4, v1, v3, -v4
	s_delay_alu instid0(VALU_DEP_1) | instskip(NEXT) | instid1(VALU_DEP_1)
	v_add_f32_e32 v4, 0xb183c85d, v4
	v_fma_f32 v3, v1, v4, -v3
	s_delay_alu instid0(VALU_DEP_1) | instskip(NEXT) | instid1(VALU_DEP_1)
	v_add_f32_e32 v3, 0xb2e20a9d, v3
	v_fma_f32 v4, v1, v3, -v4
	s_delay_alu instid0(VALU_DEP_1) | instskip(NEXT) | instid1(VALU_DEP_1)
	v_add_f32_e32 v4, 0xb486dfe9, v4
	v_fma_f32 v3, v1, v4, -v3
	s_delay_alu instid0(VALU_DEP_1) | instskip(NEXT) | instid1(VALU_DEP_1)
	v_add_f32_e32 v3, 0xb68246fa, v3
	v_fma_f32 v4, v1, v3, -v4
	s_delay_alu instid0(VALU_DEP_1) | instskip(NEXT) | instid1(VALU_DEP_1)
	v_add_f32_e32 v4, 0xb8e7ebfc, v4
	v_fma_f32 v3, v1, v4, -v3
	s_delay_alu instid0(VALU_DEP_1) | instskip(NEXT) | instid1(VALU_DEP_1)
	v_add_f32_e32 v3, 0xbc1fed03, v3
	v_fma_f32 v1, v1, v3, -v4
	v_ldexp_f32 v3, v6, v10
	v_cndmask_b32_e64 v6, v11, v13, s0
	v_cmp_ngt_f32_e64 s0, 0xc2ce8ed0, v2
	s_delay_alu instid0(VALU_DEP_4) | instskip(NEXT) | instid1(VALU_DEP_3)
	v_add_f32_e32 v1, 0x3f4750c6, v1
	v_mul_f32_e32 v10, 0x37800000, v6
	s_delay_alu instid0(VALU_DEP_3) | instskip(SKIP_1) | instid1(VALU_DEP_4)
	v_cndmask_b32_e64 v3, 0, v3, s0
	v_cmp_nlt_f32_e64 s0, 0x42b17218, v2
	v_sub_f32_e32 v4, v1, v4
	s_delay_alu instid0(VALU_DEP_2) | instskip(NEXT) | instid1(VALU_DEP_2)
	v_cndmask_b32_e64 v1, 0x7f800000, v3, s0
	v_dual_cndmask_b32 v3, v6, v10 :: v_dual_mul_f32 v4, 0.5, v4
	v_cmp_class_f32_e64 vcc_lo, v5, 0x260
	s_delay_alu instid0(VALU_DEP_2) | instskip(NEXT) | instid1(VALU_DEP_1)
	v_dual_mul_f32 v4, v1, v4 :: v_dual_cndmask_b32 v3, v3, v5
	v_div_scale_f32 v5, null, v3, v3, v4
	s_delay_alu instid0(VALU_DEP_1) | instskip(SKIP_2) | instid1(VALU_DEP_1)
	v_rcp_f32_e32 v6, v5
	s_waitcnt_depctr 0xfff
	v_fma_f32 v10, -v5, v6, 1.0
	v_fmac_f32_e32 v6, v10, v6
	v_div_scale_f32 v10, vcc_lo, v4, v3, v4
	s_delay_alu instid0(VALU_DEP_1) | instskip(NEXT) | instid1(VALU_DEP_1)
	v_mul_f32_e32 v11, v10, v6
	v_fma_f32 v12, -v5, v11, v10
	s_delay_alu instid0(VALU_DEP_1) | instskip(NEXT) | instid1(VALU_DEP_1)
	v_fmac_f32_e32 v11, v12, v6
	v_fma_f32 v5, -v5, v11, v10
	s_delay_alu instid0(VALU_DEP_1) | instskip(NEXT) | instid1(VALU_DEP_1)
	v_div_fmas_f32 v5, v5, v6, v11
	v_div_fixup_f32 v3, v5, v3, v4
.LBB20_281:
	s_or_b32 exec_lo, exec_lo, s1
	v_fma_f32 v4, v2, v2, -2.0
	s_mov_b32 s0, 0xa3019142
	v_cmp_gt_f32_e32 vcc_lo, 0x800000, v0
	s_delay_alu instid0(VALU_DEP_2) | instskip(NEXT) | instid1(VALU_DEP_1)
	v_fmaak_f32 v5, s0, v4, 0xa72eea8c
	v_fmaak_f32 v6, v4, v5, 0x23019142
	s_delay_alu instid0(VALU_DEP_1) | instskip(NEXT) | instid1(VALU_DEP_1)
	v_add_f32_e32 v6, 0xab3ba817, v6
	v_fma_f32 v5, v4, v6, -v5
	s_delay_alu instid0(VALU_DEP_1) | instskip(NEXT) | instid1(VALU_DEP_1)
	v_add_f32_e32 v5, 0xaf1b31de, v5
	v_fma_f32 v6, v4, v5, -v6
	;; [unrolled: 3-line block ×8, first 2 shown]
	s_delay_alu instid0(VALU_DEP_1) | instskip(NEXT) | instid1(VALU_DEP_1)
	v_add_f32_e32 v4, 0x3fc33d0a, v4
	v_sub_f32_e32 v4, v4, v6
	v_cndmask_b32_e64 v6, 1.0, 0x4f800000, vcc_lo
	s_delay_alu instid0(VALU_DEP_2) | instskip(NEXT) | instid1(VALU_DEP_2)
	v_mul_f32_e32 v4, 0.5, v4
	v_mul_f32_e32 v0, v0, v6
	s_delay_alu instid0(VALU_DEP_2) | instskip(NEXT) | instid1(VALU_DEP_2)
	v_div_scale_f32 v5, null, v2, v2, v4
	v_log_f32_e32 v0, v0
	v_div_scale_f32 v11, s0, v4, v2, v4
	s_delay_alu instid0(VALU_DEP_2) | instskip(SKIP_3) | instid1(VALU_DEP_1)
	v_rcp_f32_e32 v10, v5
	s_waitcnt_depctr 0xfff
	v_cmp_gt_f32_e64 s1, 0x7f800000, |v0|
	v_fma_f32 v6, -v5, v10, 1.0
	v_fmac_f32_e32 v10, v6, v10
	v_mul_f32_e32 v6, 0x3f317217, v0
	s_delay_alu instid0(VALU_DEP_2) | instskip(NEXT) | instid1(VALU_DEP_2)
	v_mul_f32_e32 v12, v11, v10
	v_fma_f32 v13, 0x3f317217, v0, -v6
	s_delay_alu instid0(VALU_DEP_2) | instskip(NEXT) | instid1(VALU_DEP_1)
	v_fma_f32 v14, -v5, v12, v11
	v_dual_fmamk_f32 v13, v0, 0x3377d1cf, v13 :: v_dual_fmac_f32 v12, v14, v10
	s_delay_alu instid0(VALU_DEP_1) | instskip(NEXT) | instid1(VALU_DEP_2)
	v_add_f32_e32 v6, v6, v13
	v_fma_f32 v5, -v5, v12, v11
	s_delay_alu instid0(VALU_DEP_2) | instskip(SKIP_2) | instid1(VALU_DEP_3)
	v_cndmask_b32_e64 v0, v0, v6, s1
	v_cndmask_b32_e64 v6, 0, 0x41b17218, vcc_lo
	s_mov_b32 vcc_lo, s0
	v_div_fmas_f32 v5, v5, v10, v12
	s_delay_alu instid0(VALU_DEP_2) | instskip(NEXT) | instid1(VALU_DEP_2)
	v_sub_f32_e32 v0, v0, v6
	v_div_fixup_f32 v2, v5, v2, v4
	s_delay_alu instid0(VALU_DEP_1) | instskip(NEXT) | instid1(VALU_DEP_1)
	v_fmac_f32_e32 v2, v0, v3
	v_mul_f32_e32 v0, v1, v2
                                        ; implicit-def: $vgpr2
.LBB20_282:
	s_and_not1_saveexec_b32 s1, s18
	s_cbranch_execz .LBB20_284
; %bb.283:
	v_div_scale_f32 v0, null, v2, v2, 0x41000000
	v_div_scale_f32 v4, vcc_lo, 0x41000000, v2, 0x41000000
	s_mov_b32 s0, 0xa2d462ea
	s_delay_alu instid0(VALU_DEP_2) | instskip(SKIP_2) | instid1(VALU_DEP_1)
	v_rcp_f32_e32 v1, v0
	s_waitcnt_depctr 0xfff
	v_fma_f32 v3, -v0, v1, 1.0
	v_fmac_f32_e32 v1, v3, v1
	s_delay_alu instid0(VALU_DEP_1) | instskip(NEXT) | instid1(VALU_DEP_1)
	v_mul_f32_e32 v3, v4, v1
	v_fma_f32 v5, -v0, v3, v4
	s_delay_alu instid0(VALU_DEP_1) | instskip(NEXT) | instid1(VALU_DEP_1)
	v_fmac_f32_e32 v3, v5, v1
	v_fma_f32 v0, -v0, v3, v4
	v_mul_f32_e32 v4, 0x4f800000, v2
	s_delay_alu instid0(VALU_DEP_2) | instskip(SKIP_1) | instid1(VALU_DEP_2)
	v_div_fmas_f32 v0, v0, v1, v3
	v_cmp_gt_f32_e32 vcc_lo, 0xf800000, v2
	v_div_fixup_f32 v0, v0, v2, 0x41000000
	s_delay_alu instid0(VALU_DEP_4) | instskip(NEXT) | instid1(VALU_DEP_2)
	v_cndmask_b32_e32 v2, v2, v4, vcc_lo
	v_add_f32_e32 v0, -2.0, v0
	s_delay_alu instid0(VALU_DEP_2) | instskip(NEXT) | instid1(VALU_DEP_1)
	v_sqrt_f32_e32 v4, v2
	v_fmaak_f32 v1, s0, v0, 0x23a578d4
	s_waitcnt_depctr 0xfff
	v_dual_fmaak_f32 v3, v0, v1, 0x22d462ea :: v_dual_add_nc_u32 v6, 1, v4
	v_add_nc_u32_e32 v5, -1, v4
	s_delay_alu instid0(VALU_DEP_2) | instskip(NEXT) | instid1(VALU_DEP_3)
	v_add_f32_e32 v3, 0xa48330a9, v3
	v_fma_f32 v11, -v6, v4, v2
	s_delay_alu instid0(VALU_DEP_3) | instskip(NEXT) | instid1(VALU_DEP_3)
	v_fma_f32 v10, -v5, v4, v2
	v_fma_f32 v1, v0, v3, -v1
	s_delay_alu instid0(VALU_DEP_2) | instskip(NEXT) | instid1(VALU_DEP_2)
	v_cmp_ge_f32_e64 s0, 0, v10
	v_add_f32_e32 v1, 0x2553eaf2, v1
	s_delay_alu instid0(VALU_DEP_2) | instskip(SKIP_1) | instid1(VALU_DEP_3)
	v_cndmask_b32_e64 v4, v4, v5, s0
	v_cmp_lt_f32_e64 s0, 0, v11
	v_fma_f32 v3, v0, v1, -v3
	s_delay_alu instid0(VALU_DEP_2) | instskip(NEXT) | instid1(VALU_DEP_2)
	v_cndmask_b32_e64 v4, v4, v6, s0
	v_add_f32_e32 v3, 0xa62e951f, v3
	s_delay_alu instid0(VALU_DEP_1) | instskip(NEXT) | instid1(VALU_DEP_1)
	v_fma_f32 v1, v0, v3, -v1
	v_add_f32_e32 v1, 0x2712e76f, v1
	s_delay_alu instid0(VALU_DEP_1) | instskip(NEXT) | instid1(VALU_DEP_1)
	v_fma_f32 v3, v0, v1, -v3
	;; [unrolled: 3-line block ×19, first 2 shown]
	v_add_f32_e32 v1, 0x3dd4d5f8, v1
	s_delay_alu instid0(VALU_DEP_1) | instskip(SKIP_1) | instid1(VALU_DEP_1)
	v_fma_f32 v0, v0, v1, -v3
	v_mul_f32_e32 v1, 0x37800000, v4
	v_dual_add_f32 v0, 0x402e1ebd, v0 :: v_dual_cndmask_b32 v1, v4, v1
	v_cmp_class_f32_e64 vcc_lo, v2, 0x260
	s_delay_alu instid0(VALU_DEP_2) | instskip(NEXT) | instid1(VALU_DEP_1)
	v_dual_sub_f32 v0, v0, v3 :: v_dual_cndmask_b32 v1, v1, v2
	v_mul_f32_e32 v0, 0.5, v0
	s_delay_alu instid0(VALU_DEP_1) | instskip(NEXT) | instid1(VALU_DEP_1)
	v_div_scale_f32 v2, null, v1, v1, v0
	v_rcp_f32_e32 v3, v2
	s_waitcnt_depctr 0xfff
	v_fma_f32 v4, -v2, v3, 1.0
	s_delay_alu instid0(VALU_DEP_1) | instskip(SKIP_1) | instid1(VALU_DEP_1)
	v_fmac_f32_e32 v3, v4, v3
	v_div_scale_f32 v4, vcc_lo, v0, v1, v0
	v_mul_f32_e32 v5, v4, v3
	s_delay_alu instid0(VALU_DEP_1) | instskip(NEXT) | instid1(VALU_DEP_1)
	v_fma_f32 v6, -v2, v5, v4
	v_fmac_f32_e32 v5, v6, v3
	s_delay_alu instid0(VALU_DEP_1) | instskip(NEXT) | instid1(VALU_DEP_1)
	v_fma_f32 v2, -v2, v5, v4
	v_div_fmas_f32 v2, v2, v3, v5
	s_delay_alu instid0(VALU_DEP_1)
	v_div_fixup_f32 v0, v2, v1, v0
.LBB20_284:
	s_or_b32 exec_lo, exec_lo, s1
.LBB20_285:
	s_delay_alu instid0(SALU_CYCLE_1)
	s_or_b32 exec_lo, exec_lo, s17
.LBB20_286:
	s_delay_alu instid0(SALU_CYCLE_1) | instskip(SKIP_2) | instid1(VALU_DEP_1)
	s_or_b32 exec_lo, exec_lo, s15
	v_mul_lo_u32 v1, v8, s2
	v_and_b32_e32 v4, 0xff, v7
	v_cmp_gt_i16_e32 vcc_lo, 11, v4
	s_delay_alu instid0(VALU_DEP_3) | instskip(SKIP_1) | instid1(VALU_DEP_1)
	v_ashrrev_i32_e32 v3, 31, v1
	v_add_co_u32 v2, s0, s4, v1
	v_add_co_ci_u32_e64 v3, s0, s5, v3, s0
	s_cbranch_vccnz .LBB20_294
; %bb.287:
	v_cmp_lt_i16_e32 vcc_lo, 25, v4
	s_cbranch_vccz .LBB20_296
; %bb.288:
	v_cmp_lt_i16_e32 vcc_lo, 28, v4
	s_cbranch_vccz .LBB20_298
	;; [unrolled: 3-line block ×4, first 2 shown]
; %bb.291:
	v_cmp_eq_u16_e32 vcc_lo, 46, v4
	s_mov_b32 s15, 0
	s_mov_b32 s0, -1
	s_mov_b32 s1, 0
	s_cbranch_vccz .LBB20_311
; %bb.292:
	v_bfe_u32 v1, v0, 16, 1
	v_cmp_o_f32_e32 vcc_lo, v0, v0
	s_mov_b32 s1, -1
	s_mov_b32 s0, 0
	s_delay_alu instid0(VALU_DEP_2) | instskip(NEXT) | instid1(VALU_DEP_1)
	v_add3_u32 v1, v0, v1, 0x7fff
	v_lshrrev_b32_e32 v1, 16, v1
	s_delay_alu instid0(VALU_DEP_1)
	v_cndmask_b32_e32 v1, 0x7fc0, v1, vcc_lo
	global_store_b32 v[2:3], v1, off
	s_branch .LBB20_311
.LBB20_293:
	s_mov_b32 s1, -1
	s_mov_b32 s0, 0
	s_mov_b32 s14, s12
                                        ; implicit-def: $vgpr2
	s_branch .LBB20_448
.LBB20_294:
	s_mov_b32 s15, -1
	s_mov_b32 s1, 0
	s_mov_b32 s0, s10
	s_branch .LBB20_380
.LBB20_295:
	s_mov_b32 s1, -1
	s_mov_b32 s0, 0
	s_mov_b32 s14, s12
                                        ; implicit-def: $vgpr2
	s_branch .LBB20_429
.LBB20_296:
	s_mov_b32 s15, -1
	s_mov_b32 s1, 0
	s_mov_b32 s0, s10
	s_branch .LBB20_338
.LBB20_297:
	s_mov_b32 s1, -1
	s_mov_b32 s0, 0
	s_mov_b32 s14, s12
                                        ; implicit-def: $vgpr2
	s_branch .LBB20_424
.LBB20_298:
	s_mov_b32 s15, -1
	s_mov_b32 s1, 0
	s_mov_b32 s0, s10
	s_branch .LBB20_321
.LBB20_299:
	s_or_saveexec_b32 s15, s15
                                        ; implicit-def: $sgpr16
	s_delay_alu instid0(SALU_CYCLE_1)
	s_xor_b32 exec_lo, exec_lo, s15
	s_cbranch_execz .LBB20_65
.LBB20_300:
	v_add_f32_e64 v1, 0x46000000, |v0|
	s_and_not1_b32 s10, s10, exec_lo
	s_mov_b32 s16, 0
	s_delay_alu instid0(VALU_DEP_1) | instskip(NEXT) | instid1(VALU_DEP_1)
	v_and_b32_e32 v1, 0xff, v1
	v_cmp_ne_u32_e32 vcc_lo, 0, v1
	s_and_b32 s17, vcc_lo, exec_lo
	s_delay_alu instid0(SALU_CYCLE_1)
	s_or_b32 s10, s10, s17
	s_or_b32 exec_lo, exec_lo, s15
	v_mov_b32_e32 v5, s16
	s_and_saveexec_b32 s15, s10
	s_cbranch_execnz .LBB20_66
	s_branch .LBB20_67
.LBB20_301:
	s_mov_b32 s1, -1
	s_mov_b32 s0, 0
	s_mov_b32 s14, s12
	s_branch .LBB20_306
.LBB20_302:
	s_mov_b32 s15, -1
	s_mov_b32 s1, 0
	s_mov_b32 s0, s10
	s_branch .LBB20_317
.LBB20_303:
	s_or_saveexec_b32 s15, s15
                                        ; implicit-def: $sgpr16
	s_delay_alu instid0(SALU_CYCLE_1)
	s_xor_b32 exec_lo, exec_lo, s15
	s_cbranch_execz .LBB20_78
.LBB20_304:
	v_add_f32_e64 v1, 0x42800000, |v0|
	s_and_not1_b32 s10, s10, exec_lo
	s_mov_b32 s16, 0
	s_delay_alu instid0(VALU_DEP_1) | instskip(NEXT) | instid1(VALU_DEP_1)
	v_and_b32_e32 v1, 0xff, v1
	v_cmp_ne_u32_e32 vcc_lo, 0, v1
	s_and_b32 s17, vcc_lo, exec_lo
	s_delay_alu instid0(SALU_CYCLE_1)
	s_or_b32 s10, s10, s17
	s_or_b32 exec_lo, exec_lo, s15
	v_mov_b32_e32 v5, s16
	s_and_saveexec_b32 s15, s10
	s_cbranch_execnz .LBB20_79
	s_branch .LBB20_80
.LBB20_305:
	s_mov_b32 s14, -1
	s_mov_b32 s0, 0
.LBB20_306:
                                        ; implicit-def: $vgpr2
.LBB20_307:
	s_and_b32 vcc_lo, exec_lo, s1
	s_cbranch_vccz .LBB20_423
; %bb.308:
	v_cmp_eq_u16_e32 vcc_lo, 44, v9
	s_cbranch_vccz .LBB20_422
; %bb.309:
	global_load_u8 v2, v[0:1], off
	s_mov_b32 s14, 0
	s_mov_b32 s0, -1
	s_waitcnt vmcnt(0)
	v_lshlrev_b32_e32 v3, 23, v2
	v_cmp_ne_u32_e32 vcc_lo, 0xff, v2
	s_delay_alu instid0(VALU_DEP_2) | instskip(SKIP_1) | instid1(VALU_DEP_2)
	v_cndmask_b32_e32 v3, 0x7f800001, v3, vcc_lo
	v_cmp_ne_u32_e32 vcc_lo, 0, v2
	v_cndmask_b32_e32 v2, 0x400000, v3, vcc_lo
	s_branch .LBB20_423
.LBB20_310:
	s_mov_b32 s15, -1
	s_mov_b32 s1, 0
	s_mov_b32 s0, s10
.LBB20_311:
	s_and_b32 vcc_lo, exec_lo, s15
	s_cbranch_vccz .LBB20_316
; %bb.312:
	v_cmp_eq_u16_e32 vcc_lo, 44, v4
	s_mov_b32 s0, -1
	s_cbranch_vccz .LBB20_316
; %bb.313:
	v_bfe_u32 v5, v0, 23, 8
	v_mov_b32_e32 v1, 0xff
	s_mov_b32 s1, exec_lo
	s_delay_alu instid0(VALU_DEP_2)
	v_cmpx_ne_u32_e32 0xff, v5
; %bb.314:
	v_and_b32_e32 v1, 0x400000, v0
	v_and_or_b32 v5, 0x3fffff, v0, v5
	s_delay_alu instid0(VALU_DEP_2) | instskip(NEXT) | instid1(VALU_DEP_2)
	v_cmp_ne_u32_e32 vcc_lo, 0, v1
	v_cmp_ne_u32_e64 s0, 0, v5
	v_lshrrev_b32_e32 v1, 23, v0
	s_delay_alu instid0(VALU_DEP_2) | instskip(NEXT) | instid1(SALU_CYCLE_1)
	s_and_b32 s0, vcc_lo, s0
	v_cndmask_b32_e64 v5, 0, 1, s0
	s_delay_alu instid0(VALU_DEP_1)
	v_add_nc_u32_e32 v1, v1, v5
; %bb.315:
	s_or_b32 exec_lo, exec_lo, s1
	s_mov_b32 s1, -1
	s_mov_b32 s0, 0
	global_store_b8 v[2:3], v1, off
.LBB20_316:
	s_mov_b32 s15, 0
.LBB20_317:
	s_delay_alu instid0(SALU_CYCLE_1)
	s_and_b32 vcc_lo, exec_lo, s15
	s_cbranch_vccz .LBB20_320
; %bb.318:
	v_cmp_eq_u16_e32 vcc_lo, 29, v4
	s_mov_b32 s0, -1
	s_cbranch_vccz .LBB20_320
; %bb.319:
	v_trunc_f32_e32 v1, v0
	s_mov_b32 s1, -1
	s_mov_b32 s0, 0
	s_mov_b32 s15, 0
	s_delay_alu instid0(VALU_DEP_1) | instskip(NEXT) | instid1(VALU_DEP_1)
	v_mul_f32_e32 v5, 0x2f800000, v1
	v_floor_f32_e32 v5, v5
	s_delay_alu instid0(VALU_DEP_1) | instskip(SKIP_1) | instid1(VALU_DEP_2)
	v_fmamk_f32 v1, v5, 0xcf800000, v1
	v_cvt_u32_f32_e32 v6, v5
	v_cvt_u32_f32_e32 v5, v1
	global_store_b64 v[2:3], v[5:6], off
	s_branch .LBB20_321
.LBB20_320:
	s_mov_b32 s15, 0
.LBB20_321:
	s_delay_alu instid0(SALU_CYCLE_1)
	s_and_b32 vcc_lo, exec_lo, s15
	s_cbranch_vccz .LBB20_337
; %bb.322:
	v_cmp_gt_i16_e32 vcc_lo, 27, v4
	s_mov_b32 s1, -1
	s_cbranch_vccnz .LBB20_328
; %bb.323:
	v_cmp_lt_i16_e32 vcc_lo, 27, v4
	s_cbranch_vccz .LBB20_325
; %bb.324:
	v_cvt_u32_f32_e32 v1, v0
	s_mov_b32 s1, 0
	global_store_b32 v[2:3], v1, off
.LBB20_325:
	s_and_not1_b32 vcc_lo, exec_lo, s1
	s_cbranch_vccnz .LBB20_327
; %bb.326:
	v_cvt_u32_f32_e32 v1, v0
	global_store_b16 v[2:3], v1, off
.LBB20_327:
	s_mov_b32 s1, 0
.LBB20_328:
	s_delay_alu instid0(SALU_CYCLE_1)
	s_and_not1_b32 vcc_lo, exec_lo, s1
	s_cbranch_vccnz .LBB20_336
; %bb.329:
	v_and_b32_e32 v1, 0x7fffffff, v0
	v_mov_b32_e32 v5, 0x80
	s_mov_b32 s1, exec_lo
	s_delay_alu instid0(VALU_DEP_2)
	v_cmpx_gt_u32_e32 0x43800000, v1
	s_cbranch_execz .LBB20_335
; %bb.330:
	v_cmp_lt_u32_e32 vcc_lo, 0x3bffffff, v1
	s_mov_b32 s15, 0
                                        ; implicit-def: $vgpr1
	s_and_saveexec_b32 s17, vcc_lo
	s_delay_alu instid0(SALU_CYCLE_1)
	s_xor_b32 s17, exec_lo, s17
	s_cbranch_execz .LBB20_548
; %bb.331:
	v_bfe_u32 v1, v0, 20, 1
	s_mov_b32 s15, exec_lo
	s_delay_alu instid0(VALU_DEP_1) | instskip(NEXT) | instid1(VALU_DEP_1)
	v_add3_u32 v1, v0, v1, 0x487ffff
	v_lshrrev_b32_e32 v1, 20, v1
	s_or_saveexec_b32 s17, s17
                                        ; implicit-def: $sgpr18
	s_delay_alu instid0(SALU_CYCLE_1)
	s_xor_b32 exec_lo, exec_lo, s17
	s_cbranch_execnz .LBB20_549
.LBB20_332:
	s_or_b32 exec_lo, exec_lo, s17
	v_mov_b32_e32 v5, s18
	s_and_saveexec_b32 s17, s15
.LBB20_333:
	v_lshrrev_b32_e32 v5, 24, v0
	s_delay_alu instid0(VALU_DEP_1)
	v_and_or_b32 v5, 0x80, v5, v1
.LBB20_334:
	s_or_b32 exec_lo, exec_lo, s17
.LBB20_335:
	s_delay_alu instid0(SALU_CYCLE_1)
	s_or_b32 exec_lo, exec_lo, s1
	global_store_b8 v[2:3], v5, off
.LBB20_336:
	s_mov_b32 s1, -1
.LBB20_337:
	s_mov_b32 s15, 0
.LBB20_338:
	s_delay_alu instid0(SALU_CYCLE_1)
	s_and_b32 vcc_lo, exec_lo, s15
	s_cbranch_vccz .LBB20_379
; %bb.339:
	v_cmp_lt_i16_e32 vcc_lo, 22, v4
	s_mov_b32 s15, -1
	s_cbranch_vccz .LBB20_371
; %bb.340:
	v_cmp_gt_i16_e32 vcc_lo, 24, v4
	s_mov_b32 s1, -1
	s_cbranch_vccnz .LBB20_360
; %bb.341:
	v_cmp_lt_i16_e32 vcc_lo, 24, v4
	s_cbranch_vccz .LBB20_349
; %bb.342:
	v_and_b32_e32 v1, 0x7fffffff, v0
	v_mov_b32_e32 v5, 0x80
	s_mov_b32 s1, exec_lo
	s_delay_alu instid0(VALU_DEP_2)
	v_cmpx_gt_u32_e32 0x47800000, v1
	s_cbranch_execz .LBB20_348
; %bb.343:
	v_cmp_lt_u32_e32 vcc_lo, 0x37ffffff, v1
	s_mov_b32 s15, 0
                                        ; implicit-def: $vgpr1
	s_and_saveexec_b32 s17, vcc_lo
	s_delay_alu instid0(SALU_CYCLE_1)
	s_xor_b32 s17, exec_lo, s17
	s_cbranch_execz .LBB20_551
; %bb.344:
	v_bfe_u32 v1, v0, 21, 1
	s_mov_b32 s15, exec_lo
	s_delay_alu instid0(VALU_DEP_1) | instskip(NEXT) | instid1(VALU_DEP_1)
	v_add3_u32 v1, v0, v1, 0x88fffff
	v_lshrrev_b32_e32 v1, 21, v1
	s_or_saveexec_b32 s17, s17
                                        ; implicit-def: $sgpr18
	s_delay_alu instid0(SALU_CYCLE_1)
	s_xor_b32 exec_lo, exec_lo, s17
	s_cbranch_execnz .LBB20_552
.LBB20_345:
	s_or_b32 exec_lo, exec_lo, s17
	v_mov_b32_e32 v5, s18
	s_and_saveexec_b32 s17, s15
.LBB20_346:
	v_lshrrev_b32_e32 v5, 24, v0
	s_delay_alu instid0(VALU_DEP_1)
	v_and_or_b32 v5, 0x80, v5, v1
.LBB20_347:
	s_or_b32 exec_lo, exec_lo, s17
.LBB20_348:
	s_delay_alu instid0(SALU_CYCLE_1)
	s_or_b32 exec_lo, exec_lo, s1
	s_mov_b32 s1, 0
	global_store_b8 v[2:3], v5, off
.LBB20_349:
	s_and_b32 vcc_lo, exec_lo, s1
	s_cbranch_vccz .LBB20_359
; %bb.350:
	v_and_b32_e32 v5, 0x7fffffff, v0
	s_mov_b32 s1, exec_lo
                                        ; implicit-def: $vgpr1
	s_delay_alu instid0(VALU_DEP_1)
	v_cmpx_gt_u32_e32 0x43f00000, v5
	s_xor_b32 s1, exec_lo, s1
	s_cbranch_execz .LBB20_356
; %bb.351:
	s_mov_b32 s15, exec_lo
                                        ; implicit-def: $vgpr1
	v_cmpx_lt_u32_e32 0x3c7fffff, v5
	s_xor_b32 s15, exec_lo, s15
; %bb.352:
	v_bfe_u32 v1, v0, 20, 1
	s_delay_alu instid0(VALU_DEP_1) | instskip(NEXT) | instid1(VALU_DEP_1)
	v_add3_u32 v1, v0, v1, 0x407ffff
	v_and_b32_e32 v5, 0xff00000, v1
	v_lshrrev_b32_e32 v1, 20, v1
	s_delay_alu instid0(VALU_DEP_2) | instskip(NEXT) | instid1(VALU_DEP_2)
	v_cmp_ne_u32_e32 vcc_lo, 0x7f00000, v5
	v_cndmask_b32_e32 v1, 0x7e, v1, vcc_lo
; %bb.353:
	s_and_not1_saveexec_b32 s15, s15
; %bb.354:
	v_add_f32_e64 v1, 0x46800000, |v0|
; %bb.355:
	s_or_b32 exec_lo, exec_lo, s15
                                        ; implicit-def: $vgpr5
.LBB20_356:
	s_and_not1_saveexec_b32 s1, s1
; %bb.357:
	v_mov_b32_e32 v1, 0x7f
	v_cmp_lt_u32_e32 vcc_lo, 0x7f800000, v5
	s_delay_alu instid0(VALU_DEP_2)
	v_cndmask_b32_e32 v1, 0x7e, v1, vcc_lo
; %bb.358:
	s_or_b32 exec_lo, exec_lo, s1
	v_lshrrev_b32_e32 v5, 24, v0
	s_delay_alu instid0(VALU_DEP_1)
	v_and_or_b32 v1, 0x80, v5, v1
	global_store_b8 v[2:3], v1, off
.LBB20_359:
	s_mov_b32 s1, 0
.LBB20_360:
	s_delay_alu instid0(SALU_CYCLE_1)
	s_and_not1_b32 vcc_lo, exec_lo, s1
	s_cbranch_vccnz .LBB20_370
; %bb.361:
	v_and_b32_e32 v5, 0x7fffffff, v0
	s_mov_b32 s1, exec_lo
                                        ; implicit-def: $vgpr1
	s_delay_alu instid0(VALU_DEP_1)
	v_cmpx_gt_u32_e32 0x47800000, v5
	s_xor_b32 s1, exec_lo, s1
	s_cbranch_execz .LBB20_367
; %bb.362:
	s_mov_b32 s15, exec_lo
                                        ; implicit-def: $vgpr1
	v_cmpx_lt_u32_e32 0x387fffff, v5
	s_xor_b32 s15, exec_lo, s15
; %bb.363:
	v_bfe_u32 v1, v0, 21, 1
	s_delay_alu instid0(VALU_DEP_1) | instskip(NEXT) | instid1(VALU_DEP_1)
	v_add3_u32 v1, v0, v1, 0x80fffff
	v_lshrrev_b32_e32 v1, 21, v1
; %bb.364:
	s_and_not1_saveexec_b32 s15, s15
; %bb.365:
	v_add_f32_e64 v1, 0x43000000, |v0|
; %bb.366:
	s_or_b32 exec_lo, exec_lo, s15
                                        ; implicit-def: $vgpr5
.LBB20_367:
	s_and_not1_saveexec_b32 s1, s1
; %bb.368:
	v_mov_b32_e32 v1, 0x7f
	v_cmp_lt_u32_e32 vcc_lo, 0x7f800000, v5
	s_delay_alu instid0(VALU_DEP_2)
	v_cndmask_b32_e32 v1, 0x7c, v1, vcc_lo
; %bb.369:
	s_or_b32 exec_lo, exec_lo, s1
	v_lshrrev_b32_e32 v5, 24, v0
	s_delay_alu instid0(VALU_DEP_1)
	v_and_or_b32 v1, 0x80, v5, v1
	global_store_b8 v[2:3], v1, off
.LBB20_370:
	s_mov_b32 s15, 0
	s_mov_b32 s1, -1
.LBB20_371:
	s_and_not1_b32 vcc_lo, exec_lo, s15
	s_cbranch_vccnz .LBB20_379
; %bb.372:
	v_cmp_lt_i16_e32 vcc_lo, 14, v4
	s_mov_b32 s15, -1
	s_cbranch_vccz .LBB20_376
; %bb.373:
	v_cmp_eq_u16_e32 vcc_lo, 15, v4
	s_mov_b32 s0, -1
	s_cbranch_vccz .LBB20_375
; %bb.374:
	v_bfe_u32 v1, v0, 16, 1
	v_cmp_o_f32_e32 vcc_lo, v0, v0
	s_mov_b32 s1, -1
	s_mov_b32 s0, 0
	s_delay_alu instid0(VALU_DEP_2) | instskip(NEXT) | instid1(VALU_DEP_1)
	v_add3_u32 v1, v0, v1, 0x7fff
	v_lshrrev_b32_e32 v1, 16, v1
	s_delay_alu instid0(VALU_DEP_1)
	v_cndmask_b32_e32 v1, 0x7fc0, v1, vcc_lo
	global_store_b16 v[2:3], v1, off
.LBB20_375:
	s_mov_b32 s15, 0
.LBB20_376:
	s_delay_alu instid0(SALU_CYCLE_1)
	s_and_b32 vcc_lo, exec_lo, s15
	s_cbranch_vccz .LBB20_379
; %bb.377:
	v_cmp_eq_u16_e32 vcc_lo, 11, v4
	s_mov_b32 s0, -1
	s_cbranch_vccz .LBB20_379
; %bb.378:
	v_cmp_neq_f32_e32 vcc_lo, 0, v0
	s_mov_b32 s0, 0
	s_mov_b32 s1, -1
	v_cndmask_b32_e64 v1, 0, 1, vcc_lo
	global_store_b8 v[2:3], v1, off
.LBB20_379:
	s_mov_b32 s15, 0
.LBB20_380:
	s_delay_alu instid0(SALU_CYCLE_1)
	s_and_b32 vcc_lo, exec_lo, s15
	s_cbranch_vccz .LBB20_419
; %bb.381:
	v_cmp_gt_i16_e32 vcc_lo, 5, v4
	s_mov_b32 s1, -1
	s_cbranch_vccnz .LBB20_402
; %bb.382:
	v_cmp_gt_i16_e32 vcc_lo, 8, v4
	s_cbranch_vccnz .LBB20_392
; %bb.383:
	v_cmp_gt_i16_e32 vcc_lo, 9, v4
	s_cbranch_vccnz .LBB20_389
; %bb.384:
	v_cmp_lt_i16_e32 vcc_lo, 9, v4
	s_cbranch_vccz .LBB20_386
; %bb.385:
	v_cvt_f64_f32_e32 v[10:11], v0
	v_mov_b32_e32 v12, 0
	s_mov_b32 s1, 0
	s_delay_alu instid0(VALU_DEP_1)
	v_mov_b32_e32 v13, v12
	global_store_b128 v[2:3], v[10:13], off
.LBB20_386:
	s_and_not1_b32 vcc_lo, exec_lo, s1
	s_cbranch_vccnz .LBB20_388
; %bb.387:
	v_mov_b32_e32 v1, 0
	global_store_b64 v[2:3], v[0:1], off
.LBB20_388:
	s_mov_b32 s1, 0
.LBB20_389:
	s_delay_alu instid0(SALU_CYCLE_1)
	s_and_not1_b32 vcc_lo, exec_lo, s1
	s_cbranch_vccnz .LBB20_391
; %bb.390:
	v_cvt_f16_f32_e32 v1, v0
	s_delay_alu instid0(VALU_DEP_1)
	v_and_b32_e32 v1, 0xffff, v1
	global_store_b32 v[2:3], v1, off
.LBB20_391:
	s_mov_b32 s1, 0
.LBB20_392:
	s_delay_alu instid0(SALU_CYCLE_1)
	s_and_not1_b32 vcc_lo, exec_lo, s1
	s_cbranch_vccnz .LBB20_401
; %bb.393:
	v_cmp_gt_i16_e32 vcc_lo, 6, v4
	s_mov_b32 s1, -1
	s_cbranch_vccnz .LBB20_399
; %bb.394:
	v_cmp_lt_i16_e32 vcc_lo, 6, v4
	s_cbranch_vccz .LBB20_396
; %bb.395:
	v_cvt_f64_f32_e32 v[5:6], v0
	s_mov_b32 s1, 0
	global_store_b64 v[2:3], v[5:6], off
.LBB20_396:
	s_and_not1_b32 vcc_lo, exec_lo, s1
	s_cbranch_vccnz .LBB20_398
; %bb.397:
	global_store_b32 v[2:3], v0, off
.LBB20_398:
	s_mov_b32 s1, 0
.LBB20_399:
	s_delay_alu instid0(SALU_CYCLE_1)
	s_and_not1_b32 vcc_lo, exec_lo, s1
	s_cbranch_vccnz .LBB20_401
; %bb.400:
	v_cvt_f16_f32_e32 v1, v0
	global_store_b16 v[2:3], v1, off
.LBB20_401:
	s_mov_b32 s1, 0
.LBB20_402:
	s_delay_alu instid0(SALU_CYCLE_1)
	s_and_not1_b32 vcc_lo, exec_lo, s1
	s_cbranch_vccnz .LBB20_418
; %bb.403:
	v_cmp_gt_i16_e32 vcc_lo, 2, v4
	s_mov_b32 s1, -1
	s_cbranch_vccnz .LBB20_413
; %bb.404:
	v_cmp_gt_i16_e32 vcc_lo, 3, v4
	s_cbranch_vccnz .LBB20_410
; %bb.405:
	v_cmp_lt_i16_e32 vcc_lo, 3, v4
	s_cbranch_vccz .LBB20_407
; %bb.406:
	v_trunc_f32_e32 v1, v0
	s_mov_b32 s1, 0
	s_delay_alu instid0(VALU_DEP_1) | instskip(NEXT) | instid1(VALU_DEP_1)
	v_mul_f32_e64 v5, 0x2f800000, |v1|
	v_floor_f32_e32 v5, v5
	s_delay_alu instid0(VALU_DEP_1) | instskip(SKIP_2) | instid1(VALU_DEP_3)
	v_fma_f32 v6, 0xcf800000, v5, |v1|
	v_ashrrev_i32_e32 v1, 31, v1
	v_cvt_u32_f32_e32 v5, v5
	v_cvt_u32_f32_e32 v6, v6
	s_delay_alu instid0(VALU_DEP_2) | instskip(NEXT) | instid1(VALU_DEP_2)
	v_xor_b32_e32 v10, v5, v1
	v_xor_b32_e32 v6, v6, v1
	s_delay_alu instid0(VALU_DEP_1) | instskip(NEXT) | instid1(VALU_DEP_3)
	v_sub_co_u32 v5, vcc_lo, v6, v1
	v_sub_co_ci_u32_e32 v6, vcc_lo, v10, v1, vcc_lo
	global_store_b64 v[2:3], v[5:6], off
.LBB20_407:
	s_and_not1_b32 vcc_lo, exec_lo, s1
	s_cbranch_vccnz .LBB20_409
; %bb.408:
	v_cvt_i32_f32_e32 v1, v0
	global_store_b32 v[2:3], v1, off
.LBB20_409:
	s_mov_b32 s1, 0
.LBB20_410:
	s_delay_alu instid0(SALU_CYCLE_1)
	s_and_not1_b32 vcc_lo, exec_lo, s1
	s_cbranch_vccnz .LBB20_412
; %bb.411:
	v_cvt_i32_f32_e32 v1, v0
	global_store_b16 v[2:3], v1, off
.LBB20_412:
	s_mov_b32 s1, 0
.LBB20_413:
	s_delay_alu instid0(SALU_CYCLE_1)
	s_and_not1_b32 vcc_lo, exec_lo, s1
	s_cbranch_vccnz .LBB20_418
; %bb.414:
	v_cmp_lt_i16_e32 vcc_lo, 0, v4
	s_mov_b32 s1, -1
	s_cbranch_vccz .LBB20_416
; %bb.415:
	v_cvt_i32_f32_e32 v1, v0
	s_mov_b32 s1, 0
	global_store_b8 v[2:3], v1, off
.LBB20_416:
	s_and_not1_b32 vcc_lo, exec_lo, s1
	s_cbranch_vccnz .LBB20_418
; %bb.417:
	v_trunc_f32_e32 v0, v0
	s_delay_alu instid0(VALU_DEP_1) | instskip(NEXT) | instid1(VALU_DEP_1)
	v_mul_f32_e64 v1, 0x2f800000, |v0|
	v_floor_f32_e32 v1, v1
	s_delay_alu instid0(VALU_DEP_1) | instskip(SKIP_1) | instid1(VALU_DEP_2)
	v_fma_f32 v1, 0xcf800000, v1, |v0|
	v_ashrrev_i32_e32 v0, 31, v0
	v_cvt_u32_f32_e32 v1, v1
	s_delay_alu instid0(VALU_DEP_1) | instskip(NEXT) | instid1(VALU_DEP_1)
	v_xor_b32_e32 v1, v1, v0
	v_sub_nc_u32_e32 v0, v1, v0
	global_store_b8 v[2:3], v0, off
.LBB20_418:
	s_mov_b32 s1, -1
.LBB20_419:
	s_delay_alu instid0(SALU_CYCLE_1)
	s_and_not1_b32 vcc_lo, exec_lo, s1
	s_cbranch_vccnz .LBB20_421
; %bb.420:
	v_add_nc_u32_e32 v8, 0x80, v8
	s_mov_b32 s1, -1
	s_branch .LBB20_534
.LBB20_421:
	s_mov_b32 s1, 0
	s_branch .LBB20_533
.LBB20_422:
	s_mov_b32 s14, -1
                                        ; implicit-def: $vgpr2
.LBB20_423:
	s_mov_b32 s1, 0
.LBB20_424:
	s_delay_alu instid0(SALU_CYCLE_1)
	s_and_b32 vcc_lo, exec_lo, s1
	s_cbranch_vccz .LBB20_428
; %bb.425:
	v_cmp_eq_u16_e32 vcc_lo, 29, v9
	s_cbranch_vccz .LBB20_427
; %bb.426:
	global_load_b64 v[2:3], v[0:1], off
	s_mov_b32 s0, -1
	s_mov_b32 s14, 0
	s_mov_b32 s1, 0
	s_waitcnt vmcnt(0)
	v_clz_i32_u32_e32 v4, v3
	s_delay_alu instid0(VALU_DEP_1) | instskip(NEXT) | instid1(VALU_DEP_1)
	v_min_u32_e32 v4, 32, v4
	v_lshlrev_b64 v[2:3], v4, v[2:3]
	s_delay_alu instid0(VALU_DEP_1) | instskip(NEXT) | instid1(VALU_DEP_1)
	v_min_u32_e32 v2, 1, v2
	v_or_b32_e32 v2, v3, v2
	v_sub_nc_u32_e32 v3, 32, v4
	s_delay_alu instid0(VALU_DEP_2) | instskip(NEXT) | instid1(VALU_DEP_1)
	v_cvt_f32_u32_e32 v2, v2
	v_ldexp_f32 v2, v2, v3
	s_branch .LBB20_429
.LBB20_427:
	s_mov_b32 s14, -1
                                        ; implicit-def: $vgpr2
.LBB20_428:
	s_mov_b32 s1, 0
.LBB20_429:
	s_delay_alu instid0(SALU_CYCLE_1)
	s_and_b32 vcc_lo, exec_lo, s1
	s_cbranch_vccz .LBB20_447
; %bb.430:
	v_cmp_gt_i16_e32 vcc_lo, 27, v9
	s_cbranch_vccnz .LBB20_433
; %bb.431:
	v_cmp_lt_i16_e32 vcc_lo, 27, v9
	s_cbranch_vccz .LBB20_434
; %bb.432:
	global_load_b32 v2, v[0:1], off
	s_mov_b32 s0, 0
	s_waitcnt vmcnt(0)
	v_cvt_f32_u32_e32 v2, v2
	s_branch .LBB20_435
.LBB20_433:
	s_mov_b32 s0, -1
                                        ; implicit-def: $vgpr2
	s_branch .LBB20_438
.LBB20_434:
	s_mov_b32 s0, -1
                                        ; implicit-def: $vgpr2
.LBB20_435:
	s_delay_alu instid0(SALU_CYCLE_1)
	s_and_not1_b32 vcc_lo, exec_lo, s0
	s_cbranch_vccnz .LBB20_437
; %bb.436:
	global_load_u16 v2, v[0:1], off
	s_waitcnt vmcnt(0)
	v_cvt_f32_u32_e32 v2, v2
.LBB20_437:
	s_mov_b32 s0, 0
.LBB20_438:
	s_delay_alu instid0(SALU_CYCLE_1)
	s_and_not1_b32 vcc_lo, exec_lo, s0
	s_cbranch_vccnz .LBB20_446
; %bb.439:
	global_load_u8 v3, v[0:1], off
	s_mov_b32 s0, 0
	s_mov_b32 s15, exec_lo
                                        ; implicit-def: $sgpr1
	s_waitcnt vmcnt(0)
	v_cmpx_lt_i16_e32 0x7f, v3
	s_xor_b32 s15, exec_lo, s15
	s_cbranch_execz .LBB20_460
; %bb.440:
	s_mov_b32 s0, -1
	s_mov_b32 s17, exec_lo
                                        ; implicit-def: $sgpr1
	v_cmpx_eq_u16_e32 0x80, v3
; %bb.441:
	s_mov_b32 s1, 0x7f800001
	s_xor_b32 s0, exec_lo, -1
; %bb.442:
	s_or_b32 exec_lo, exec_lo, s17
	s_delay_alu instid0(SALU_CYCLE_1)
	s_and_b32 s0, s0, exec_lo
	s_or_saveexec_b32 s15, s15
	v_mov_b32_e32 v2, s1
	s_xor_b32 exec_lo, exec_lo, s15
	s_cbranch_execnz .LBB20_461
.LBB20_443:
	s_or_b32 exec_lo, exec_lo, s15
	s_and_saveexec_b32 s1, s0
	s_cbranch_execz .LBB20_445
.LBB20_444:
	v_and_b32_e32 v2, 0xffff, v3
	s_delay_alu instid0(VALU_DEP_1) | instskip(NEXT) | instid1(VALU_DEP_1)
	v_and_b32_e32 v4, 7, v2
	v_clz_i32_u32_e32 v5, v4
	s_delay_alu instid0(VALU_DEP_1) | instskip(NEXT) | instid1(VALU_DEP_1)
	v_min_u32_e32 v5, 32, v5
	v_subrev_nc_u32_e32 v6, 28, v5
	v_sub_nc_u32_e32 v5, 29, v5
	s_delay_alu instid0(VALU_DEP_2) | instskip(SKIP_1) | instid1(VALU_DEP_2)
	v_lshlrev_b32_e32 v6, v6, v2
	v_bfe_u32 v2, v2, 3, 4
	v_and_b32_e32 v6, 7, v6
	s_delay_alu instid0(VALU_DEP_2) | instskip(SKIP_1) | instid1(VALU_DEP_1)
	v_cmp_eq_u32_e32 vcc_lo, 0, v2
	v_dual_cndmask_b32 v2, v2, v5 :: v_dual_lshlrev_b32 v3, 24, v3
	v_dual_cndmask_b32 v4, v4, v6 :: v_dual_and_b32 v3, 0x80000000, v3
	s_delay_alu instid0(VALU_DEP_2) | instskip(NEXT) | instid1(VALU_DEP_2)
	v_lshl_add_u32 v2, v2, 23, 0x3b800000
	v_lshlrev_b32_e32 v4, 20, v4
	s_delay_alu instid0(VALU_DEP_1)
	v_or3_b32 v2, v3, v2, v4
.LBB20_445:
	s_or_b32 exec_lo, exec_lo, s1
.LBB20_446:
	s_mov_b32 s0, -1
.LBB20_447:
	s_mov_b32 s1, 0
.LBB20_448:
	s_delay_alu instid0(SALU_CYCLE_1)
	s_and_b32 vcc_lo, exec_lo, s1
	s_cbranch_vccz .LBB20_483
; %bb.449:
	v_cmp_lt_i16_e32 vcc_lo, 22, v9
	s_cbranch_vccz .LBB20_459
; %bb.450:
	v_cmp_gt_i16_e32 vcc_lo, 24, v9
	s_cbranch_vccnz .LBB20_462
; %bb.451:
	v_cmp_lt_i16_e32 vcc_lo, 24, v9
	s_cbranch_vccz .LBB20_463
; %bb.452:
	global_load_u8 v3, v[0:1], off
	s_mov_b32 s0, 0
	s_mov_b32 s15, exec_lo
                                        ; implicit-def: $sgpr1
	s_waitcnt vmcnt(0)
	v_cmpx_lt_i16_e32 0x7f, v3
	s_xor_b32 s15, exec_lo, s15
	s_cbranch_execz .LBB20_475
; %bb.453:
	s_mov_b32 s0, -1
	s_mov_b32 s17, exec_lo
                                        ; implicit-def: $sgpr1
	v_cmpx_eq_u16_e32 0x80, v3
; %bb.454:
	s_mov_b32 s1, 0x7f800001
	s_xor_b32 s0, exec_lo, -1
; %bb.455:
	s_or_b32 exec_lo, exec_lo, s17
	s_delay_alu instid0(SALU_CYCLE_1)
	s_and_b32 s0, s0, exec_lo
	s_or_saveexec_b32 s15, s15
	v_mov_b32_e32 v2, s1
	s_xor_b32 exec_lo, exec_lo, s15
	s_cbranch_execnz .LBB20_476
.LBB20_456:
	s_or_b32 exec_lo, exec_lo, s15
	s_and_saveexec_b32 s1, s0
	s_cbranch_execz .LBB20_458
.LBB20_457:
	v_and_b32_e32 v2, 0xffff, v3
	s_delay_alu instid0(VALU_DEP_1) | instskip(NEXT) | instid1(VALU_DEP_1)
	v_and_b32_e32 v4, 3, v2
	v_clz_i32_u32_e32 v5, v4
	s_delay_alu instid0(VALU_DEP_1) | instskip(NEXT) | instid1(VALU_DEP_1)
	v_min_u32_e32 v5, 32, v5
	v_subrev_nc_u32_e32 v6, 29, v5
	v_sub_nc_u32_e32 v5, 30, v5
	s_delay_alu instid0(VALU_DEP_2) | instskip(SKIP_1) | instid1(VALU_DEP_2)
	v_lshlrev_b32_e32 v6, v6, v2
	v_bfe_u32 v2, v2, 2, 5
	v_and_b32_e32 v6, 3, v6
	s_delay_alu instid0(VALU_DEP_2) | instskip(SKIP_1) | instid1(VALU_DEP_1)
	v_cmp_eq_u32_e32 vcc_lo, 0, v2
	v_dual_cndmask_b32 v2, v2, v5 :: v_dual_lshlrev_b32 v3, 24, v3
	v_dual_cndmask_b32 v4, v4, v6 :: v_dual_and_b32 v3, 0x80000000, v3
	s_delay_alu instid0(VALU_DEP_2) | instskip(NEXT) | instid1(VALU_DEP_2)
	v_lshl_add_u32 v2, v2, 23, 0x37800000
	v_lshlrev_b32_e32 v4, 21, v4
	s_delay_alu instid0(VALU_DEP_1)
	v_or3_b32 v2, v3, v2, v4
.LBB20_458:
	s_or_b32 exec_lo, exec_lo, s1
	s_mov_b32 s0, 0
	s_branch .LBB20_464
.LBB20_459:
	s_mov_b32 s1, -1
                                        ; implicit-def: $vgpr2
	s_branch .LBB20_470
.LBB20_460:
	s_or_saveexec_b32 s15, s15
	v_mov_b32_e32 v2, s1
	s_xor_b32 exec_lo, exec_lo, s15
	s_cbranch_execz .LBB20_443
.LBB20_461:
	v_cmp_ne_u16_e32 vcc_lo, 0, v3
	v_mov_b32_e32 v2, 0
	s_and_not1_b32 s0, s0, exec_lo
	s_and_b32 s1, vcc_lo, exec_lo
	s_delay_alu instid0(SALU_CYCLE_1)
	s_or_b32 s0, s0, s1
	s_or_b32 exec_lo, exec_lo, s15
	s_and_saveexec_b32 s1, s0
	s_cbranch_execnz .LBB20_444
	s_branch .LBB20_445
.LBB20_462:
	s_mov_b32 s0, -1
                                        ; implicit-def: $vgpr2
	s_branch .LBB20_467
.LBB20_463:
	s_mov_b32 s0, -1
                                        ; implicit-def: $vgpr2
.LBB20_464:
	s_delay_alu instid0(SALU_CYCLE_1)
	s_and_b32 vcc_lo, exec_lo, s0
	s_cbranch_vccz .LBB20_466
; %bb.465:
	global_load_u8 v2, v[0:1], off
	s_waitcnt vmcnt(0)
	v_lshlrev_b32_e32 v2, 24, v2
	s_delay_alu instid0(VALU_DEP_1) | instskip(NEXT) | instid1(VALU_DEP_1)
	v_and_b32_e32 v3, 0x7f000000, v2
	v_clz_i32_u32_e32 v4, v3
	v_add_nc_u32_e32 v6, 0x1000000, v3
	v_cmp_ne_u32_e32 vcc_lo, 0, v3
	s_delay_alu instid0(VALU_DEP_3) | instskip(NEXT) | instid1(VALU_DEP_1)
	v_min_u32_e32 v4, 32, v4
	v_sub_nc_u32_e64 v4, v4, 4 clamp
	s_delay_alu instid0(VALU_DEP_1) | instskip(SKIP_1) | instid1(VALU_DEP_2)
	v_lshlrev_b32_e32 v5, v4, v3
	v_lshlrev_b32_e32 v4, 23, v4
	v_lshrrev_b32_e32 v5, 4, v5
	s_delay_alu instid0(VALU_DEP_1) | instskip(SKIP_1) | instid1(VALU_DEP_2)
	v_sub_nc_u32_e32 v4, v5, v4
	v_ashrrev_i32_e32 v5, 8, v6
	v_add_nc_u32_e32 v4, 0x3c000000, v4
	s_delay_alu instid0(VALU_DEP_1) | instskip(NEXT) | instid1(VALU_DEP_1)
	v_and_or_b32 v4, 0x7f800000, v5, v4
	v_cndmask_b32_e32 v3, 0, v4, vcc_lo
	s_delay_alu instid0(VALU_DEP_1)
	v_and_or_b32 v2, 0x80000000, v2, v3
.LBB20_466:
	s_mov_b32 s0, 0
.LBB20_467:
	s_delay_alu instid0(SALU_CYCLE_1)
	s_and_not1_b32 vcc_lo, exec_lo, s0
	s_cbranch_vccnz .LBB20_469
; %bb.468:
	global_load_u8 v2, v[0:1], off
	s_waitcnt vmcnt(0)
	v_lshlrev_b32_e32 v3, 25, v2
	v_lshlrev_b16 v2, 8, v2
	s_delay_alu instid0(VALU_DEP_2) | instskip(NEXT) | instid1(VALU_DEP_2)
	v_lshrrev_b32_e32 v4, 4, v3
	v_and_or_b32 v5, 0x7f00, v2, 0.5
	v_bfe_i32 v2, v2, 0, 16
	s_delay_alu instid0(VALU_DEP_3) | instskip(NEXT) | instid1(VALU_DEP_1)
	v_or_b32_e32 v4, 0x70000000, v4
	v_dual_add_f32 v5, -0.5, v5 :: v_dual_mul_f32 v4, 0x7800000, v4
	v_cmp_gt_u32_e32 vcc_lo, 0x8000000, v3
	s_delay_alu instid0(VALU_DEP_2) | instskip(NEXT) | instid1(VALU_DEP_1)
	v_cndmask_b32_e32 v3, v4, v5, vcc_lo
	v_and_or_b32 v2, 0x80000000, v2, v3
.LBB20_469:
	s_mov_b32 s1, 0
	s_mov_b32 s0, -1
.LBB20_470:
	s_and_not1_b32 vcc_lo, exec_lo, s1
	s_cbranch_vccnz .LBB20_483
; %bb.471:
	v_cmp_lt_i16_e32 vcc_lo, 14, v9
	s_cbranch_vccz .LBB20_474
; %bb.472:
	v_cmp_eq_u16_e32 vcc_lo, 15, v9
	s_cbranch_vccz .LBB20_477
; %bb.473:
	global_load_u16 v2, v[0:1], off
	s_mov_b32 s0, -1
	s_mov_b32 s14, 0
	s_waitcnt vmcnt(0)
	v_lshlrev_b32_e32 v2, 16, v2
	s_branch .LBB20_478
.LBB20_474:
	s_mov_b32 s1, -1
                                        ; implicit-def: $vgpr2
	s_branch .LBB20_479
.LBB20_475:
	s_or_saveexec_b32 s15, s15
	v_mov_b32_e32 v2, s1
	s_xor_b32 exec_lo, exec_lo, s15
	s_cbranch_execz .LBB20_456
.LBB20_476:
	v_cmp_ne_u16_e32 vcc_lo, 0, v3
	v_mov_b32_e32 v2, 0
	s_and_not1_b32 s0, s0, exec_lo
	s_and_b32 s1, vcc_lo, exec_lo
	s_delay_alu instid0(SALU_CYCLE_1)
	s_or_b32 s0, s0, s1
	s_or_b32 exec_lo, exec_lo, s15
	s_and_saveexec_b32 s1, s0
	s_cbranch_execnz .LBB20_457
	s_branch .LBB20_458
.LBB20_477:
	s_mov_b32 s14, -1
                                        ; implicit-def: $vgpr2
.LBB20_478:
	s_mov_b32 s1, 0
.LBB20_479:
	s_delay_alu instid0(SALU_CYCLE_1)
	s_and_b32 vcc_lo, exec_lo, s1
	s_cbranch_vccz .LBB20_483
; %bb.480:
	v_cmp_eq_u16_e32 vcc_lo, 11, v9
	s_cbranch_vccz .LBB20_482
; %bb.481:
	global_load_u8 v2, v[0:1], off
	s_mov_b32 s14, 0
	s_mov_b32 s0, -1
	s_waitcnt vmcnt(0)
	v_cmp_ne_u16_e32 vcc_lo, 0, v2
	v_cndmask_b32_e64 v2, 0, 1.0, vcc_lo
	s_branch .LBB20_483
.LBB20_482:
	s_mov_b32 s14, -1
                                        ; implicit-def: $vgpr2
.LBB20_483:
	s_branch .LBB20_273
.LBB20_484:
	v_cmp_gt_i16_e32 vcc_lo, 5, v9
	s_cbranch_vccnz .LBB20_489
; %bb.485:
	v_cmp_gt_i16_e32 vcc_lo, 8, v9
	s_cbranch_vccnz .LBB20_490
; %bb.486:
	;; [unrolled: 3-line block ×3, first 2 shown]
	v_cmp_lt_i16_e32 vcc_lo, 9, v9
	s_cbranch_vccz .LBB20_492
; %bb.488:
	global_load_b64 v[2:3], v[0:1], off
	s_mov_b32 s0, 0
	s_waitcnt vmcnt(0)
	v_cvt_f32_f64_e32 v2, v[2:3]
	s_branch .LBB20_493
.LBB20_489:
	s_mov_b32 s0, -1
                                        ; implicit-def: $vgpr2
	s_branch .LBB20_511
.LBB20_490:
	s_mov_b32 s0, -1
                                        ; implicit-def: $vgpr2
	s_branch .LBB20_499
.LBB20_491:
	s_mov_b32 s0, -1
                                        ; implicit-def: $vgpr2
	s_branch .LBB20_496
.LBB20_492:
	s_mov_b32 s0, -1
                                        ; implicit-def: $vgpr2
.LBB20_493:
	s_delay_alu instid0(SALU_CYCLE_1)
	s_and_not1_b32 vcc_lo, exec_lo, s0
	s_cbranch_vccnz .LBB20_495
; %bb.494:
	global_load_b32 v2, v[0:1], off
.LBB20_495:
	s_mov_b32 s0, 0
.LBB20_496:
	s_delay_alu instid0(SALU_CYCLE_1)
	s_and_not1_b32 vcc_lo, exec_lo, s0
	s_cbranch_vccnz .LBB20_498
; %bb.497:
	global_load_b32 v2, v[0:1], off
	s_waitcnt vmcnt(0)
	v_cvt_f32_f16_e32 v2, v2
.LBB20_498:
	s_mov_b32 s0, 0
.LBB20_499:
	s_delay_alu instid0(SALU_CYCLE_1)
	s_and_not1_b32 vcc_lo, exec_lo, s0
	s_cbranch_vccnz .LBB20_510
; %bb.500:
	v_cmp_gt_i16_e32 vcc_lo, 6, v9
	s_cbranch_vccnz .LBB20_503
; %bb.501:
	v_cmp_lt_i16_e32 vcc_lo, 6, v9
	s_cbranch_vccz .LBB20_504
; %bb.502:
	global_load_b64 v[2:3], v[0:1], off
	s_mov_b32 s0, 0
	s_waitcnt vmcnt(0)
	v_cvt_f32_f64_e32 v2, v[2:3]
	s_branch .LBB20_505
.LBB20_503:
	s_mov_b32 s0, -1
                                        ; implicit-def: $vgpr2
	s_branch .LBB20_508
.LBB20_504:
	s_mov_b32 s0, -1
                                        ; implicit-def: $vgpr2
.LBB20_505:
	s_delay_alu instid0(SALU_CYCLE_1)
	s_and_not1_b32 vcc_lo, exec_lo, s0
	s_cbranch_vccnz .LBB20_507
; %bb.506:
	global_load_b32 v2, v[0:1], off
.LBB20_507:
	s_mov_b32 s0, 0
.LBB20_508:
	s_delay_alu instid0(SALU_CYCLE_1)
	s_and_not1_b32 vcc_lo, exec_lo, s0
	s_cbranch_vccnz .LBB20_510
; %bb.509:
	global_load_u16 v2, v[0:1], off
	s_waitcnt vmcnt(0)
	v_cvt_f32_f16_e32 v2, v2
.LBB20_510:
	s_mov_b32 s0, 0
.LBB20_511:
	s_delay_alu instid0(SALU_CYCLE_1)
	s_and_not1_b32 vcc_lo, exec_lo, s0
	s_cbranch_vccnz .LBB20_531
; %bb.512:
	v_cmp_gt_i16_e32 vcc_lo, 2, v9
	s_cbranch_vccnz .LBB20_516
; %bb.513:
	v_cmp_gt_i16_e32 vcc_lo, 3, v9
	s_cbranch_vccnz .LBB20_517
; %bb.514:
	v_cmp_lt_i16_e32 vcc_lo, 3, v9
	s_cbranch_vccz .LBB20_518
; %bb.515:
	global_load_b64 v[2:3], v[0:1], off
	s_mov_b32 s0, 0
	s_waitcnt vmcnt(0)
	v_xor_b32_e32 v4, v2, v3
	v_cls_i32_e32 v5, v3
	s_delay_alu instid0(VALU_DEP_2) | instskip(NEXT) | instid1(VALU_DEP_2)
	v_ashrrev_i32_e32 v4, 31, v4
	v_add_nc_u32_e32 v5, -1, v5
	s_delay_alu instid0(VALU_DEP_2) | instskip(NEXT) | instid1(VALU_DEP_1)
	v_add_nc_u32_e32 v4, 32, v4
	v_min_u32_e32 v4, v5, v4
	s_delay_alu instid0(VALU_DEP_1) | instskip(NEXT) | instid1(VALU_DEP_1)
	v_lshlrev_b64 v[2:3], v4, v[2:3]
	v_min_u32_e32 v2, 1, v2
	s_delay_alu instid0(VALU_DEP_1) | instskip(SKIP_1) | instid1(VALU_DEP_2)
	v_or_b32_e32 v2, v3, v2
	v_sub_nc_u32_e32 v3, 32, v4
	v_cvt_f32_i32_e32 v2, v2
	s_delay_alu instid0(VALU_DEP_1)
	v_ldexp_f32 v2, v2, v3
	s_branch .LBB20_519
.LBB20_516:
	s_mov_b32 s0, -1
                                        ; implicit-def: $vgpr2
	s_branch .LBB20_525
.LBB20_517:
	s_mov_b32 s0, -1
                                        ; implicit-def: $vgpr2
	s_branch .LBB20_522
.LBB20_518:
	s_mov_b32 s0, -1
                                        ; implicit-def: $vgpr2
.LBB20_519:
	s_delay_alu instid0(SALU_CYCLE_1)
	s_and_not1_b32 vcc_lo, exec_lo, s0
	s_cbranch_vccnz .LBB20_521
; %bb.520:
	global_load_b32 v2, v[0:1], off
	s_waitcnt vmcnt(0)
	v_cvt_f32_i32_e32 v2, v2
.LBB20_521:
	s_mov_b32 s0, 0
.LBB20_522:
	s_delay_alu instid0(SALU_CYCLE_1)
	s_and_not1_b32 vcc_lo, exec_lo, s0
	s_cbranch_vccnz .LBB20_524
; %bb.523:
	global_load_i16 v2, v[0:1], off
	s_waitcnt vmcnt(0)
	v_cvt_f32_i32_e32 v2, v2
.LBB20_524:
	s_mov_b32 s0, 0
.LBB20_525:
	s_delay_alu instid0(SALU_CYCLE_1)
	s_and_not1_b32 vcc_lo, exec_lo, s0
	s_cbranch_vccnz .LBB20_531
; %bb.526:
	v_cmp_lt_i16_e32 vcc_lo, 0, v9
	s_mov_b32 s0, 0
	s_cbranch_vccz .LBB20_528
; %bb.527:
	global_load_i8 v2, v[0:1], off
	s_waitcnt vmcnt(0)
	v_cvt_f32_i32_e32 v2, v2
	s_branch .LBB20_529
.LBB20_528:
	s_mov_b32 s0, -1
                                        ; implicit-def: $vgpr2
.LBB20_529:
	s_delay_alu instid0(SALU_CYCLE_1)
	s_and_not1_b32 vcc_lo, exec_lo, s0
	s_cbranch_vccnz .LBB20_531
; %bb.530:
	global_load_u8 v0, v[0:1], off
	s_waitcnt vmcnt(0)
	v_cvt_f32_ubyte0_e32 v2, v0
.LBB20_531:
	s_branch .LBB20_274
.LBB20_532:
	s_mov_b32 s1, 0
	s_mov_b32 s0, s10
.LBB20_533:
                                        ; implicit-def: $vgpr8
.LBB20_534:
	s_and_not1_b32 s15, s10, exec_lo
	s_and_b32 s0, s0, exec_lo
	s_and_not1_b32 s17, s12, exec_lo
	s_and_b32 s14, s14, exec_lo
	s_or_b32 s15, s15, s0
	s_or_b32 s14, s17, s14
	s_or_not1_b32 s18, s1, exec_lo
.LBB20_535:
	s_or_b32 exec_lo, exec_lo, s16
	s_mov_b32 s1, 0
	s_mov_b32 s17, 0
	;; [unrolled: 1-line block ×3, first 2 shown]
                                        ; implicit-def: $vgpr0_vgpr1
                                        ; implicit-def: $vgpr4
	s_and_saveexec_b32 s16, s18
	s_cbranch_execz .LBB20_894
; %bb.536:
	s_mov_b32 s0, -1
	s_mov_b32 s1, s14
	s_mov_b32 s18, s15
	s_mov_b32 s17, exec_lo
	v_cmpx_gt_i32_e64 s11, v8
	s_cbranch_execz .LBB20_808
; %bb.537:
	v_mul_lo_u32 v0, v8, s3
	v_cmp_gt_i16_e32 vcc_lo, 11, v9
	s_delay_alu instid0(VALU_DEP_2) | instskip(SKIP_1) | instid1(VALU_DEP_1)
	v_ashrrev_i32_e32 v1, 31, v0
	v_add_co_u32 v0, s0, s6, v0
	v_add_co_ci_u32_e64 v1, s0, s7, v1, s0
	s_cbranch_vccnz .LBB20_544
; %bb.538:
	v_cmp_lt_i16_e32 vcc_lo, 25, v9
	s_cbranch_vccz .LBB20_545
; %bb.539:
	v_cmp_lt_i16_e32 vcc_lo, 28, v9
	s_cbranch_vccz .LBB20_546
; %bb.540:
	v_cmp_lt_i16_e32 vcc_lo, 43, v9
	s_cbranch_vccz .LBB20_547
; %bb.541:
	v_cmp_lt_i16_e32 vcc_lo, 45, v9
	s_cbranch_vccz .LBB20_550
; %bb.542:
	v_cmp_eq_u16_e32 vcc_lo, 46, v9
	s_mov_b32 s1, 0
	s_cbranch_vccz .LBB20_553
; %bb.543:
	global_load_b32 v2, v[0:1], off
	s_mov_b32 s0, -1
	s_mov_b32 s18, 0
	s_waitcnt vmcnt(0)
	v_lshlrev_b32_e32 v2, 16, v2
	s_branch .LBB20_555
.LBB20_544:
	s_mov_b32 s1, -1
	s_mov_b32 s0, 0
	s_mov_b32 s18, s14
                                        ; implicit-def: $vgpr2
	s_branch .LBB20_620
.LBB20_545:
	s_mov_b32 s1, -1
	s_mov_b32 s0, 0
	s_mov_b32 s18, s14
                                        ; implicit-def: $vgpr2
	s_branch .LBB20_584
.LBB20_546:
	s_mov_b32 s1, -1
	s_mov_b32 s0, 0
	s_mov_b32 s18, s14
                                        ; implicit-def: $vgpr2
	s_branch .LBB20_565
.LBB20_547:
	s_mov_b32 s1, -1
	s_mov_b32 s0, 0
	s_mov_b32 s18, s14
                                        ; implicit-def: $vgpr2
	s_branch .LBB20_560
.LBB20_548:
	s_or_saveexec_b32 s17, s17
                                        ; implicit-def: $sgpr18
	s_delay_alu instid0(SALU_CYCLE_1)
	s_xor_b32 exec_lo, exec_lo, s17
	s_cbranch_execz .LBB20_332
.LBB20_549:
	v_add_f32_e64 v1, 0x46000000, |v0|
	s_and_not1_b32 s15, s15, exec_lo
	s_mov_b32 s18, 0
	s_delay_alu instid0(VALU_DEP_1) | instskip(NEXT) | instid1(VALU_DEP_1)
	v_and_b32_e32 v1, 0xff, v1
	v_cmp_ne_u32_e32 vcc_lo, 0, v1
	s_and_b32 s19, vcc_lo, exec_lo
	s_delay_alu instid0(SALU_CYCLE_1)
	s_or_b32 s15, s15, s19
	s_or_b32 exec_lo, exec_lo, s17
	v_mov_b32_e32 v5, s18
	s_and_saveexec_b32 s17, s15
	s_cbranch_execnz .LBB20_333
	s_branch .LBB20_334
.LBB20_550:
	s_mov_b32 s1, -1
	s_mov_b32 s0, 0
	s_mov_b32 s18, s14
	s_branch .LBB20_554
.LBB20_551:
	s_or_saveexec_b32 s17, s17
                                        ; implicit-def: $sgpr18
	s_delay_alu instid0(SALU_CYCLE_1)
	s_xor_b32 exec_lo, exec_lo, s17
	s_cbranch_execz .LBB20_345
.LBB20_552:
	v_add_f32_e64 v1, 0x42800000, |v0|
	s_and_not1_b32 s15, s15, exec_lo
	s_mov_b32 s18, 0
	s_delay_alu instid0(VALU_DEP_1) | instskip(NEXT) | instid1(VALU_DEP_1)
	v_and_b32_e32 v1, 0xff, v1
	v_cmp_ne_u32_e32 vcc_lo, 0, v1
	s_and_b32 s19, vcc_lo, exec_lo
	s_delay_alu instid0(SALU_CYCLE_1)
	s_or_b32 s15, s15, s19
	s_or_b32 exec_lo, exec_lo, s17
	v_mov_b32_e32 v5, s18
	s_and_saveexec_b32 s17, s15
	s_cbranch_execnz .LBB20_346
	s_branch .LBB20_347
.LBB20_553:
	s_mov_b32 s18, -1
	s_mov_b32 s0, 0
.LBB20_554:
                                        ; implicit-def: $vgpr2
.LBB20_555:
	s_and_b32 vcc_lo, exec_lo, s1
	s_cbranch_vccz .LBB20_559
; %bb.556:
	v_cmp_eq_u16_e32 vcc_lo, 44, v9
	s_cbranch_vccz .LBB20_558
; %bb.557:
	global_load_u8 v2, v[0:1], off
	s_mov_b32 s18, 0
	s_mov_b32 s0, -1
	s_waitcnt vmcnt(0)
	v_lshlrev_b32_e32 v3, 23, v2
	v_cmp_ne_u32_e32 vcc_lo, 0xff, v2
	s_delay_alu instid0(VALU_DEP_2) | instskip(SKIP_1) | instid1(VALU_DEP_2)
	v_cndmask_b32_e32 v3, 0x7f800001, v3, vcc_lo
	v_cmp_ne_u32_e32 vcc_lo, 0, v2
	v_cndmask_b32_e32 v2, 0x400000, v3, vcc_lo
	s_branch .LBB20_559
.LBB20_558:
	s_mov_b32 s18, -1
                                        ; implicit-def: $vgpr2
.LBB20_559:
	s_mov_b32 s1, 0
.LBB20_560:
	s_delay_alu instid0(SALU_CYCLE_1)
	s_and_b32 vcc_lo, exec_lo, s1
	s_cbranch_vccz .LBB20_564
; %bb.561:
	v_cmp_eq_u16_e32 vcc_lo, 29, v9
	s_cbranch_vccz .LBB20_563
; %bb.562:
	global_load_b64 v[2:3], v[0:1], off
	s_mov_b32 s0, -1
	s_mov_b32 s18, 0
	s_mov_b32 s1, 0
	s_waitcnt vmcnt(0)
	v_clz_i32_u32_e32 v4, v3
	s_delay_alu instid0(VALU_DEP_1) | instskip(NEXT) | instid1(VALU_DEP_1)
	v_min_u32_e32 v4, 32, v4
	v_lshlrev_b64 v[2:3], v4, v[2:3]
	s_delay_alu instid0(VALU_DEP_1) | instskip(NEXT) | instid1(VALU_DEP_1)
	v_min_u32_e32 v2, 1, v2
	v_or_b32_e32 v2, v3, v2
	v_sub_nc_u32_e32 v3, 32, v4
	s_delay_alu instid0(VALU_DEP_2) | instskip(NEXT) | instid1(VALU_DEP_1)
	v_cvt_f32_u32_e32 v2, v2
	v_ldexp_f32 v2, v2, v3
	s_branch .LBB20_565
.LBB20_563:
	s_mov_b32 s18, -1
                                        ; implicit-def: $vgpr2
.LBB20_564:
	s_mov_b32 s1, 0
.LBB20_565:
	s_delay_alu instid0(SALU_CYCLE_1)
	s_and_b32 vcc_lo, exec_lo, s1
	s_cbranch_vccz .LBB20_583
; %bb.566:
	v_cmp_gt_i16_e32 vcc_lo, 27, v9
	s_cbranch_vccnz .LBB20_569
; %bb.567:
	v_cmp_lt_i16_e32 vcc_lo, 27, v9
	s_cbranch_vccz .LBB20_570
; %bb.568:
	global_load_b32 v2, v[0:1], off
	s_mov_b32 s0, 0
	s_waitcnt vmcnt(0)
	v_cvt_f32_u32_e32 v2, v2
	s_branch .LBB20_571
.LBB20_569:
	s_mov_b32 s0, -1
                                        ; implicit-def: $vgpr2
	s_branch .LBB20_574
.LBB20_570:
	s_mov_b32 s0, -1
                                        ; implicit-def: $vgpr2
.LBB20_571:
	s_delay_alu instid0(SALU_CYCLE_1)
	s_and_not1_b32 vcc_lo, exec_lo, s0
	s_cbranch_vccnz .LBB20_573
; %bb.572:
	global_load_u16 v2, v[0:1], off
	s_waitcnt vmcnt(0)
	v_cvt_f32_u32_e32 v2, v2
.LBB20_573:
	s_mov_b32 s0, 0
.LBB20_574:
	s_delay_alu instid0(SALU_CYCLE_1)
	s_and_not1_b32 vcc_lo, exec_lo, s0
	s_cbranch_vccnz .LBB20_582
; %bb.575:
	global_load_u8 v3, v[0:1], off
	s_mov_b32 s0, 0
	s_mov_b32 s19, exec_lo
                                        ; implicit-def: $sgpr1
	s_waitcnt vmcnt(0)
	v_cmpx_lt_i16_e32 0x7f, v3
	s_xor_b32 s19, exec_lo, s19
	s_cbranch_execz .LBB20_596
; %bb.576:
	s_mov_b32 s0, -1
	s_mov_b32 s20, exec_lo
                                        ; implicit-def: $sgpr1
	v_cmpx_eq_u16_e32 0x80, v3
; %bb.577:
	s_mov_b32 s1, 0x7f800001
	s_xor_b32 s0, exec_lo, -1
; %bb.578:
	s_or_b32 exec_lo, exec_lo, s20
	s_delay_alu instid0(SALU_CYCLE_1)
	s_and_b32 s0, s0, exec_lo
	s_or_saveexec_b32 s19, s19
	v_mov_b32_e32 v2, s1
	s_xor_b32 exec_lo, exec_lo, s19
	s_cbranch_execnz .LBB20_597
.LBB20_579:
	s_or_b32 exec_lo, exec_lo, s19
	s_and_saveexec_b32 s1, s0
	s_cbranch_execz .LBB20_581
.LBB20_580:
	v_and_b32_e32 v2, 0xffff, v3
	s_delay_alu instid0(VALU_DEP_1) | instskip(NEXT) | instid1(VALU_DEP_1)
	v_and_b32_e32 v4, 7, v2
	v_clz_i32_u32_e32 v5, v4
	s_delay_alu instid0(VALU_DEP_1) | instskip(NEXT) | instid1(VALU_DEP_1)
	v_min_u32_e32 v5, 32, v5
	v_subrev_nc_u32_e32 v6, 28, v5
	v_sub_nc_u32_e32 v5, 29, v5
	s_delay_alu instid0(VALU_DEP_2) | instskip(SKIP_1) | instid1(VALU_DEP_2)
	v_lshlrev_b32_e32 v6, v6, v2
	v_bfe_u32 v2, v2, 3, 4
	v_and_b32_e32 v6, 7, v6
	s_delay_alu instid0(VALU_DEP_2) | instskip(SKIP_1) | instid1(VALU_DEP_1)
	v_cmp_eq_u32_e32 vcc_lo, 0, v2
	v_dual_cndmask_b32 v2, v2, v5 :: v_dual_lshlrev_b32 v3, 24, v3
	v_dual_cndmask_b32 v4, v4, v6 :: v_dual_and_b32 v3, 0x80000000, v3
	s_delay_alu instid0(VALU_DEP_2) | instskip(NEXT) | instid1(VALU_DEP_2)
	v_lshl_add_u32 v2, v2, 23, 0x3b800000
	v_lshlrev_b32_e32 v4, 20, v4
	s_delay_alu instid0(VALU_DEP_1)
	v_or3_b32 v2, v3, v2, v4
.LBB20_581:
	s_or_b32 exec_lo, exec_lo, s1
.LBB20_582:
	s_mov_b32 s0, -1
.LBB20_583:
	s_mov_b32 s1, 0
.LBB20_584:
	s_delay_alu instid0(SALU_CYCLE_1)
	s_and_b32 vcc_lo, exec_lo, s1
	s_cbranch_vccz .LBB20_619
; %bb.585:
	v_cmp_lt_i16_e32 vcc_lo, 22, v9
	s_cbranch_vccz .LBB20_595
; %bb.586:
	v_cmp_gt_i16_e32 vcc_lo, 24, v9
	s_cbranch_vccnz .LBB20_598
; %bb.587:
	v_cmp_lt_i16_e32 vcc_lo, 24, v9
	s_cbranch_vccz .LBB20_599
; %bb.588:
	global_load_u8 v3, v[0:1], off
	s_mov_b32 s0, 0
	s_mov_b32 s19, exec_lo
                                        ; implicit-def: $sgpr1
	s_waitcnt vmcnt(0)
	v_cmpx_lt_i16_e32 0x7f, v3
	s_xor_b32 s19, exec_lo, s19
	s_cbranch_execz .LBB20_611
; %bb.589:
	s_mov_b32 s0, -1
	s_mov_b32 s20, exec_lo
                                        ; implicit-def: $sgpr1
	v_cmpx_eq_u16_e32 0x80, v3
; %bb.590:
	s_mov_b32 s1, 0x7f800001
	s_xor_b32 s0, exec_lo, -1
; %bb.591:
	s_or_b32 exec_lo, exec_lo, s20
	s_delay_alu instid0(SALU_CYCLE_1)
	s_and_b32 s0, s0, exec_lo
	s_or_saveexec_b32 s19, s19
	v_mov_b32_e32 v2, s1
	s_xor_b32 exec_lo, exec_lo, s19
	s_cbranch_execnz .LBB20_612
.LBB20_592:
	s_or_b32 exec_lo, exec_lo, s19
	s_and_saveexec_b32 s1, s0
	s_cbranch_execz .LBB20_594
.LBB20_593:
	v_and_b32_e32 v2, 0xffff, v3
	s_delay_alu instid0(VALU_DEP_1) | instskip(NEXT) | instid1(VALU_DEP_1)
	v_and_b32_e32 v4, 3, v2
	v_clz_i32_u32_e32 v5, v4
	s_delay_alu instid0(VALU_DEP_1) | instskip(NEXT) | instid1(VALU_DEP_1)
	v_min_u32_e32 v5, 32, v5
	v_subrev_nc_u32_e32 v6, 29, v5
	v_sub_nc_u32_e32 v5, 30, v5
	s_delay_alu instid0(VALU_DEP_2) | instskip(SKIP_1) | instid1(VALU_DEP_2)
	v_lshlrev_b32_e32 v6, v6, v2
	v_bfe_u32 v2, v2, 2, 5
	v_and_b32_e32 v6, 3, v6
	s_delay_alu instid0(VALU_DEP_2) | instskip(SKIP_1) | instid1(VALU_DEP_1)
	v_cmp_eq_u32_e32 vcc_lo, 0, v2
	v_dual_cndmask_b32 v2, v2, v5 :: v_dual_lshlrev_b32 v3, 24, v3
	v_dual_cndmask_b32 v4, v4, v6 :: v_dual_and_b32 v3, 0x80000000, v3
	s_delay_alu instid0(VALU_DEP_2) | instskip(NEXT) | instid1(VALU_DEP_2)
	v_lshl_add_u32 v2, v2, 23, 0x37800000
	v_lshlrev_b32_e32 v4, 21, v4
	s_delay_alu instid0(VALU_DEP_1)
	v_or3_b32 v2, v3, v2, v4
.LBB20_594:
	s_or_b32 exec_lo, exec_lo, s1
	s_mov_b32 s0, 0
	s_branch .LBB20_600
.LBB20_595:
	s_mov_b32 s1, -1
                                        ; implicit-def: $vgpr2
	s_branch .LBB20_606
.LBB20_596:
	s_or_saveexec_b32 s19, s19
	v_mov_b32_e32 v2, s1
	s_xor_b32 exec_lo, exec_lo, s19
	s_cbranch_execz .LBB20_579
.LBB20_597:
	v_cmp_ne_u16_e32 vcc_lo, 0, v3
	v_mov_b32_e32 v2, 0
	s_and_not1_b32 s0, s0, exec_lo
	s_and_b32 s1, vcc_lo, exec_lo
	s_delay_alu instid0(SALU_CYCLE_1)
	s_or_b32 s0, s0, s1
	s_or_b32 exec_lo, exec_lo, s19
	s_and_saveexec_b32 s1, s0
	s_cbranch_execnz .LBB20_580
	s_branch .LBB20_581
.LBB20_598:
	s_mov_b32 s0, -1
                                        ; implicit-def: $vgpr2
	s_branch .LBB20_603
.LBB20_599:
	s_mov_b32 s0, -1
                                        ; implicit-def: $vgpr2
.LBB20_600:
	s_delay_alu instid0(SALU_CYCLE_1)
	s_and_b32 vcc_lo, exec_lo, s0
	s_cbranch_vccz .LBB20_602
; %bb.601:
	global_load_u8 v2, v[0:1], off
	s_waitcnt vmcnt(0)
	v_lshlrev_b32_e32 v2, 24, v2
	s_delay_alu instid0(VALU_DEP_1) | instskip(NEXT) | instid1(VALU_DEP_1)
	v_and_b32_e32 v3, 0x7f000000, v2
	v_clz_i32_u32_e32 v4, v3
	v_add_nc_u32_e32 v6, 0x1000000, v3
	v_cmp_ne_u32_e32 vcc_lo, 0, v3
	s_delay_alu instid0(VALU_DEP_3) | instskip(NEXT) | instid1(VALU_DEP_1)
	v_min_u32_e32 v4, 32, v4
	v_sub_nc_u32_e64 v4, v4, 4 clamp
	s_delay_alu instid0(VALU_DEP_1) | instskip(SKIP_1) | instid1(VALU_DEP_2)
	v_lshlrev_b32_e32 v5, v4, v3
	v_lshlrev_b32_e32 v4, 23, v4
	v_lshrrev_b32_e32 v5, 4, v5
	s_delay_alu instid0(VALU_DEP_1) | instskip(SKIP_1) | instid1(VALU_DEP_2)
	v_sub_nc_u32_e32 v4, v5, v4
	v_ashrrev_i32_e32 v5, 8, v6
	v_add_nc_u32_e32 v4, 0x3c000000, v4
	s_delay_alu instid0(VALU_DEP_1) | instskip(NEXT) | instid1(VALU_DEP_1)
	v_and_or_b32 v4, 0x7f800000, v5, v4
	v_cndmask_b32_e32 v3, 0, v4, vcc_lo
	s_delay_alu instid0(VALU_DEP_1)
	v_and_or_b32 v2, 0x80000000, v2, v3
.LBB20_602:
	s_mov_b32 s0, 0
.LBB20_603:
	s_delay_alu instid0(SALU_CYCLE_1)
	s_and_not1_b32 vcc_lo, exec_lo, s0
	s_cbranch_vccnz .LBB20_605
; %bb.604:
	global_load_u8 v2, v[0:1], off
	s_waitcnt vmcnt(0)
	v_lshlrev_b32_e32 v3, 25, v2
	v_lshlrev_b16 v2, 8, v2
	s_delay_alu instid0(VALU_DEP_2) | instskip(NEXT) | instid1(VALU_DEP_2)
	v_lshrrev_b32_e32 v4, 4, v3
	v_and_or_b32 v5, 0x7f00, v2, 0.5
	v_bfe_i32 v2, v2, 0, 16
	s_delay_alu instid0(VALU_DEP_3) | instskip(NEXT) | instid1(VALU_DEP_1)
	v_or_b32_e32 v4, 0x70000000, v4
	v_dual_add_f32 v5, -0.5, v5 :: v_dual_mul_f32 v4, 0x7800000, v4
	v_cmp_gt_u32_e32 vcc_lo, 0x8000000, v3
	s_delay_alu instid0(VALU_DEP_2) | instskip(NEXT) | instid1(VALU_DEP_1)
	v_cndmask_b32_e32 v3, v4, v5, vcc_lo
	v_and_or_b32 v2, 0x80000000, v2, v3
.LBB20_605:
	s_mov_b32 s1, 0
	s_mov_b32 s0, -1
.LBB20_606:
	s_and_not1_b32 vcc_lo, exec_lo, s1
	s_cbranch_vccnz .LBB20_619
; %bb.607:
	v_cmp_lt_i16_e32 vcc_lo, 14, v9
	s_cbranch_vccz .LBB20_610
; %bb.608:
	v_cmp_eq_u16_e32 vcc_lo, 15, v9
	s_cbranch_vccz .LBB20_613
; %bb.609:
	global_load_u16 v2, v[0:1], off
	s_mov_b32 s0, -1
	s_mov_b32 s18, 0
	s_waitcnt vmcnt(0)
	v_lshlrev_b32_e32 v2, 16, v2
	s_branch .LBB20_614
.LBB20_610:
	s_mov_b32 s1, -1
                                        ; implicit-def: $vgpr2
	s_branch .LBB20_615
.LBB20_611:
	s_or_saveexec_b32 s19, s19
	v_mov_b32_e32 v2, s1
	s_xor_b32 exec_lo, exec_lo, s19
	s_cbranch_execz .LBB20_592
.LBB20_612:
	v_cmp_ne_u16_e32 vcc_lo, 0, v3
	v_mov_b32_e32 v2, 0
	s_and_not1_b32 s0, s0, exec_lo
	s_and_b32 s1, vcc_lo, exec_lo
	s_delay_alu instid0(SALU_CYCLE_1)
	s_or_b32 s0, s0, s1
	s_or_b32 exec_lo, exec_lo, s19
	s_and_saveexec_b32 s1, s0
	s_cbranch_execnz .LBB20_593
	s_branch .LBB20_594
.LBB20_613:
	s_mov_b32 s18, -1
                                        ; implicit-def: $vgpr2
.LBB20_614:
	s_mov_b32 s1, 0
.LBB20_615:
	s_delay_alu instid0(SALU_CYCLE_1)
	s_and_b32 vcc_lo, exec_lo, s1
	s_cbranch_vccz .LBB20_619
; %bb.616:
	v_cmp_eq_u16_e32 vcc_lo, 11, v9
	s_cbranch_vccz .LBB20_618
; %bb.617:
	global_load_u8 v2, v[0:1], off
	s_mov_b32 s18, 0
	s_mov_b32 s0, -1
	s_waitcnt vmcnt(0)
	v_cmp_ne_u16_e32 vcc_lo, 0, v2
	v_cndmask_b32_e64 v2, 0, 1.0, vcc_lo
	s_branch .LBB20_619
.LBB20_618:
	s_mov_b32 s18, -1
                                        ; implicit-def: $vgpr2
.LBB20_619:
	s_mov_b32 s1, 0
.LBB20_620:
	s_delay_alu instid0(SALU_CYCLE_1)
	s_and_b32 vcc_lo, exec_lo, s1
	s_cbranch_vccz .LBB20_669
; %bb.621:
	v_cmp_gt_i16_e32 vcc_lo, 5, v9
	s_cbranch_vccnz .LBB20_626
; %bb.622:
	v_cmp_gt_i16_e32 vcc_lo, 8, v9
	s_cbranch_vccnz .LBB20_627
	;; [unrolled: 3-line block ×3, first 2 shown]
; %bb.624:
	v_cmp_lt_i16_e32 vcc_lo, 9, v9
	s_cbranch_vccz .LBB20_629
; %bb.625:
	global_load_b64 v[2:3], v[0:1], off
	s_mov_b32 s0, 0
	s_waitcnt vmcnt(0)
	v_cvt_f32_f64_e32 v2, v[2:3]
	s_branch .LBB20_630
.LBB20_626:
	s_mov_b32 s0, -1
                                        ; implicit-def: $vgpr2
	s_branch .LBB20_648
.LBB20_627:
	s_mov_b32 s0, -1
                                        ; implicit-def: $vgpr2
	s_branch .LBB20_636
.LBB20_628:
	s_mov_b32 s0, -1
                                        ; implicit-def: $vgpr2
	s_branch .LBB20_633
.LBB20_629:
	s_mov_b32 s0, -1
                                        ; implicit-def: $vgpr2
.LBB20_630:
	s_delay_alu instid0(SALU_CYCLE_1)
	s_and_not1_b32 vcc_lo, exec_lo, s0
	s_cbranch_vccnz .LBB20_632
; %bb.631:
	global_load_b32 v2, v[0:1], off
.LBB20_632:
	s_mov_b32 s0, 0
.LBB20_633:
	s_delay_alu instid0(SALU_CYCLE_1)
	s_and_not1_b32 vcc_lo, exec_lo, s0
	s_cbranch_vccnz .LBB20_635
; %bb.634:
	global_load_b32 v2, v[0:1], off
	s_waitcnt vmcnt(0)
	v_cvt_f32_f16_e32 v2, v2
.LBB20_635:
	s_mov_b32 s0, 0
.LBB20_636:
	s_delay_alu instid0(SALU_CYCLE_1)
	s_and_not1_b32 vcc_lo, exec_lo, s0
	s_cbranch_vccnz .LBB20_647
; %bb.637:
	v_cmp_gt_i16_e32 vcc_lo, 6, v9
	s_cbranch_vccnz .LBB20_640
; %bb.638:
	v_cmp_lt_i16_e32 vcc_lo, 6, v9
	s_cbranch_vccz .LBB20_641
; %bb.639:
	global_load_b64 v[2:3], v[0:1], off
	s_mov_b32 s0, 0
	s_waitcnt vmcnt(0)
	v_cvt_f32_f64_e32 v2, v[2:3]
	s_branch .LBB20_642
.LBB20_640:
	s_mov_b32 s0, -1
                                        ; implicit-def: $vgpr2
	s_branch .LBB20_645
.LBB20_641:
	s_mov_b32 s0, -1
                                        ; implicit-def: $vgpr2
.LBB20_642:
	s_delay_alu instid0(SALU_CYCLE_1)
	s_and_not1_b32 vcc_lo, exec_lo, s0
	s_cbranch_vccnz .LBB20_644
; %bb.643:
	global_load_b32 v2, v[0:1], off
.LBB20_644:
	s_mov_b32 s0, 0
.LBB20_645:
	s_delay_alu instid0(SALU_CYCLE_1)
	s_and_not1_b32 vcc_lo, exec_lo, s0
	s_cbranch_vccnz .LBB20_647
; %bb.646:
	global_load_u16 v2, v[0:1], off
	s_waitcnt vmcnt(0)
	v_cvt_f32_f16_e32 v2, v2
.LBB20_647:
	s_mov_b32 s0, 0
.LBB20_648:
	s_delay_alu instid0(SALU_CYCLE_1)
	s_and_not1_b32 vcc_lo, exec_lo, s0
	s_cbranch_vccnz .LBB20_668
; %bb.649:
	v_cmp_gt_i16_e32 vcc_lo, 2, v9
	s_cbranch_vccnz .LBB20_653
; %bb.650:
	v_cmp_gt_i16_e32 vcc_lo, 3, v9
	s_cbranch_vccnz .LBB20_654
; %bb.651:
	v_cmp_lt_i16_e32 vcc_lo, 3, v9
	s_cbranch_vccz .LBB20_655
; %bb.652:
	global_load_b64 v[2:3], v[0:1], off
	s_mov_b32 s0, 0
	s_waitcnt vmcnt(0)
	v_xor_b32_e32 v4, v2, v3
	v_cls_i32_e32 v5, v3
	s_delay_alu instid0(VALU_DEP_2) | instskip(NEXT) | instid1(VALU_DEP_2)
	v_ashrrev_i32_e32 v4, 31, v4
	v_add_nc_u32_e32 v5, -1, v5
	s_delay_alu instid0(VALU_DEP_2) | instskip(NEXT) | instid1(VALU_DEP_1)
	v_add_nc_u32_e32 v4, 32, v4
	v_min_u32_e32 v4, v5, v4
	s_delay_alu instid0(VALU_DEP_1) | instskip(NEXT) | instid1(VALU_DEP_1)
	v_lshlrev_b64 v[2:3], v4, v[2:3]
	v_min_u32_e32 v2, 1, v2
	s_delay_alu instid0(VALU_DEP_1) | instskip(SKIP_1) | instid1(VALU_DEP_2)
	v_or_b32_e32 v2, v3, v2
	v_sub_nc_u32_e32 v3, 32, v4
	v_cvt_f32_i32_e32 v2, v2
	s_delay_alu instid0(VALU_DEP_1)
	v_ldexp_f32 v2, v2, v3
	s_branch .LBB20_656
.LBB20_653:
	s_mov_b32 s0, -1
                                        ; implicit-def: $vgpr2
	s_branch .LBB20_662
.LBB20_654:
	s_mov_b32 s0, -1
                                        ; implicit-def: $vgpr2
	s_branch .LBB20_659
.LBB20_655:
	s_mov_b32 s0, -1
                                        ; implicit-def: $vgpr2
.LBB20_656:
	s_delay_alu instid0(SALU_CYCLE_1)
	s_and_not1_b32 vcc_lo, exec_lo, s0
	s_cbranch_vccnz .LBB20_658
; %bb.657:
	global_load_b32 v2, v[0:1], off
	s_waitcnt vmcnt(0)
	v_cvt_f32_i32_e32 v2, v2
.LBB20_658:
	s_mov_b32 s0, 0
.LBB20_659:
	s_delay_alu instid0(SALU_CYCLE_1)
	s_and_not1_b32 vcc_lo, exec_lo, s0
	s_cbranch_vccnz .LBB20_661
; %bb.660:
	global_load_i16 v2, v[0:1], off
	s_waitcnt vmcnt(0)
	v_cvt_f32_i32_e32 v2, v2
.LBB20_661:
	s_mov_b32 s0, 0
.LBB20_662:
	s_delay_alu instid0(SALU_CYCLE_1)
	s_and_not1_b32 vcc_lo, exec_lo, s0
	s_cbranch_vccnz .LBB20_668
; %bb.663:
	v_cmp_lt_i16_e32 vcc_lo, 0, v9
	s_mov_b32 s0, 0
	s_cbranch_vccz .LBB20_665
; %bb.664:
	global_load_i8 v2, v[0:1], off
	s_waitcnt vmcnt(0)
	v_cvt_f32_i32_e32 v2, v2
	s_branch .LBB20_666
.LBB20_665:
	s_mov_b32 s0, -1
                                        ; implicit-def: $vgpr2
.LBB20_666:
	s_delay_alu instid0(SALU_CYCLE_1)
	s_and_not1_b32 vcc_lo, exec_lo, s0
	s_cbranch_vccnz .LBB20_668
; %bb.667:
	global_load_u8 v0, v[0:1], off
	s_waitcnt vmcnt(0)
	v_cvt_f32_ubyte0_e32 v2, v0
.LBB20_668:
	s_mov_b32 s0, -1
.LBB20_669:
	s_delay_alu instid0(SALU_CYCLE_1)
	s_and_not1_b32 vcc_lo, exec_lo, s0
	s_cbranch_vccnz .LBB20_689
; %bb.670:
	v_mov_b32_e32 v0, 0x7f800000
	s_mov_b32 s19, exec_lo
	s_waitcnt vmcnt(0)
	s_delay_alu instid0(VALU_DEP_2)
	v_cmpx_neq_f32_e32 0, v2
	s_cbranch_execz .LBB20_682
; %bb.671:
	v_mov_b32_e32 v0, 0x7fc00000
	s_mov_b32 s20, exec_lo
	v_cmpx_ngt_f32_e32 0, v2
	s_cbranch_execz .LBB20_681
; %bb.672:
                                        ; implicit-def: $vgpr0
	s_mov_b32 s0, exec_lo
	v_cmpx_ge_f32_e32 2.0, v2
	s_xor_b32 s21, exec_lo, s0
	s_cbranch_execz .LBB20_678
; %bb.673:
	v_mul_f32_e32 v0, 0.5, v2
	s_mov_b32 s0, exec_lo
                                        ; implicit-def: $vgpr3
                                        ; implicit-def: $vgpr1
	v_cmpx_ge_f32_e32 0x41000000, v2
	s_xor_b32 s0, exec_lo, s0
	s_cbranch_execz .LBB20_675
; %bb.674:
	v_mul_f32_e32 v5, 0x3fb8aa3b, v2
	s_mov_b32 s1, 0x224cf950
	v_cmp_ngt_f32_e32 vcc_lo, 0xc2ce8ed0, v2
	s_delay_alu instid0(VALU_DEP_2) | instskip(SKIP_2) | instid1(VALU_DEP_3)
	v_fma_f32 v10, 0x3fb8aa3b, v2, -v5
	v_add_f32_e32 v1, -2.0, v0
	v_rndne_f32_e32 v6, v5
	v_fmamk_f32 v10, v2, 0x32a5705f, v10
	s_delay_alu instid0(VALU_DEP_3) | instskip(NEXT) | instid1(VALU_DEP_3)
	v_fmaak_f32 v3, s1, v1, 0xa3c2be86
	v_sub_f32_e32 v5, v5, v6
	s_delay_alu instid0(VALU_DEP_2) | instskip(NEXT) | instid1(VALU_DEP_1)
	v_fmaak_f32 v4, v1, v3, 0xa24cf950
	v_dual_add_f32 v5, v5, v10 :: v_dual_add_f32 v4, 0x25331f1f, v4
	s_delay_alu instid0(VALU_DEP_1) | instskip(NEXT) | instid1(VALU_DEP_1)
	v_fma_f32 v3, v1, v4, -v3
	v_add_f32_e32 v3, 0xa69f5554, v3
	s_delay_alu instid0(VALU_DEP_1) | instskip(NEXT) | instid1(VALU_DEP_1)
	v_fma_f32 v4, v1, v3, -v4
	v_add_f32_e32 v4, 0x2808ebf8, v4
	;; [unrolled: 3-line block ×25, first 2 shown]
	s_delay_alu instid0(VALU_DEP_1) | instskip(SKIP_2) | instid1(VALU_DEP_2)
	v_fma_f32 v1, v1, v3, -v4
	v_exp_f32_e32 v3, v5
	v_cvt_i32_f32_e32 v5, v6
	v_add_f32_e32 v1, 0x3e81531c, v1
	s_delay_alu instid0(VALU_DEP_1) | instskip(SKIP_3) | instid1(VALU_DEP_2)
	v_sub_f32_e32 v1, v1, v4
	s_waitcnt_depctr 0xfff
	v_ldexp_f32 v3, v3, v5
	v_mul_f32_e32 v1, 0.5, v1
	v_cndmask_b32_e32 v3, 0, v3, vcc_lo
	v_cmp_nlt_f32_e32 vcc_lo, 0x42b17218, v2
	s_delay_alu instid0(VALU_DEP_2) | instskip(NEXT) | instid1(VALU_DEP_1)
	v_dual_mul_f32 v4, v2, v1 :: v_dual_cndmask_b32 v1, 0x7f800000, v3
	v_mul_f32_e32 v3, v1, v4
.LBB20_675:
	s_and_not1_saveexec_b32 s1, s0
	s_cbranch_execz .LBB20_677
; %bb.676:
	v_div_scale_f32 v1, null, v2, v2, 0x42000000
	v_div_scale_f32 v5, vcc_lo, 0x42000000, v2, 0x42000000
	s_mov_b32 s0, 0x230aab6e
	s_delay_alu instid0(VALU_DEP_2) | instskip(SKIP_2) | instid1(VALU_DEP_1)
	v_rcp_f32_e32 v3, v1
	s_waitcnt_depctr 0xfff
	v_fma_f32 v4, -v1, v3, 1.0
	v_fmac_f32_e32 v3, v4, v3
	s_delay_alu instid0(VALU_DEP_1) | instskip(NEXT) | instid1(VALU_DEP_1)
	v_mul_f32_e32 v4, v5, v3
	v_fma_f32 v6, -v1, v4, v5
	s_delay_alu instid0(VALU_DEP_1) | instskip(SKIP_1) | instid1(VALU_DEP_2)
	v_fmac_f32_e32 v4, v6, v3
	v_mul_f32_e32 v6, 0x3fb8aa3b, v2
	v_fma_f32 v1, -v1, v4, v5
	s_delay_alu instid0(VALU_DEP_2) | instskip(SKIP_1) | instid1(VALU_DEP_3)
	v_fma_f32 v11, 0x3fb8aa3b, v2, -v6
	v_rndne_f32_e32 v10, v6
	v_div_fmas_f32 v1, v1, v3, v4
	v_cmp_gt_f32_e32 vcc_lo, 0xf800000, v2
	s_delay_alu instid0(VALU_DEP_4) | instskip(SKIP_4) | instid1(VALU_DEP_4)
	v_fmamk_f32 v11, v2, 0x32a5705f, v11
	v_mul_f32_e32 v5, 0x4f800000, v2
	v_sub_f32_e32 v6, v6, v10
	v_div_fixup_f32 v1, v1, v2, 0x42000000
	v_cvt_i32_f32_e32 v10, v10
	v_cndmask_b32_e32 v5, v2, v5, vcc_lo
	s_delay_alu instid0(VALU_DEP_3) | instskip(NEXT) | instid1(VALU_DEP_2)
	v_dual_add_f32 v6, v6, v11 :: v_dual_add_f32 v1, -2.0, v1
	v_sqrt_f32_e32 v12, v5
	s_delay_alu instid0(VALU_DEP_1) | instskip(NEXT) | instid1(VALU_DEP_1)
	v_exp_f32_e32 v6, v6
	v_fmaak_f32 v3, s0, v1, 0x22a2dc57
	s_waitcnt_depctr 0xfff
	v_dual_fmaak_f32 v4, v1, v3, 0xa30aab6e :: v_dual_add_nc_u32 v11, -1, v12
	v_add_nc_u32_e32 v13, 1, v12
	s_delay_alu instid0(VALU_DEP_2) | instskip(NEXT) | instid1(VALU_DEP_3)
	v_add_f32_e32 v4, 0xa456751e, v4
	v_fma_f32 v14, -v11, v12, v5
	s_delay_alu instid0(VALU_DEP_3) | instskip(NEXT) | instid1(VALU_DEP_3)
	v_fma_f32 v15, -v13, v12, v5
	v_fma_f32 v3, v1, v4, -v3
	s_delay_alu instid0(VALU_DEP_3) | instskip(NEXT) | instid1(VALU_DEP_2)
	v_cmp_ge_f32_e64 s0, 0, v14
	v_add_f32_e32 v3, 0xa4140365, v3
	s_delay_alu instid0(VALU_DEP_2) | instskip(SKIP_1) | instid1(VALU_DEP_3)
	v_cndmask_b32_e64 v11, v12, v11, s0
	v_cmp_lt_f32_e64 s0, 0, v15
	v_fma_f32 v4, v1, v3, -v4
	s_delay_alu instid0(VALU_DEP_1) | instskip(NEXT) | instid1(VALU_DEP_1)
	v_add_f32_e32 v4, 0x25aac8b0, v4
	v_fma_f32 v3, v1, v4, -v3
	s_delay_alu instid0(VALU_DEP_1) | instskip(NEXT) | instid1(VALU_DEP_1)
	v_add_f32_e32 v3, 0x25beb473, v3
	v_fma_f32 v4, v1, v3, -v4
	s_delay_alu instid0(VALU_DEP_1) | instskip(NEXT) | instid1(VALU_DEP_1)
	v_add_f32_e32 v4, 0xa7077e6c, v4
	v_fma_f32 v3, v1, v4, -v3
	s_delay_alu instid0(VALU_DEP_1) | instskip(NEXT) | instid1(VALU_DEP_1)
	v_add_f32_e32 v3, 0xa7896da9, v3
	v_fma_f32 v4, v1, v3, -v4
	s_delay_alu instid0(VALU_DEP_1) | instskip(NEXT) | instid1(VALU_DEP_1)
	v_add_f32_e32 v4, 0x283bb70c, v4
	v_fma_f32 v3, v1, v4, -v3
	s_delay_alu instid0(VALU_DEP_1) | instskip(NEXT) | instid1(VALU_DEP_1)
	v_add_f32_e32 v3, 0x294069e1, v3
	v_fma_f32 v4, v1, v3, -v4
	s_delay_alu instid0(VALU_DEP_1) | instskip(NEXT) | instid1(VALU_DEP_1)
	v_add_f32_e32 v4, 0xa8bd4a41, v4
	v_fma_f32 v3, v1, v4, -v3
	s_delay_alu instid0(VALU_DEP_1) | instskip(NEXT) | instid1(VALU_DEP_1)
	v_add_f32_e32 v3, 0xaae5e22c, v3
	v_fma_f32 v4, v1, v3, -v4
	s_delay_alu instid0(VALU_DEP_1) | instskip(NEXT) | instid1(VALU_DEP_1)
	v_add_f32_e32 v4, 0xab4a9f08, v4
	v_fma_f32 v3, v1, v4, -v3
	s_delay_alu instid0(VALU_DEP_1) | instskip(NEXT) | instid1(VALU_DEP_1)
	v_add_f32_e32 v3, 0x2c0f3ea0, v3
	v_fma_f32 v4, v1, v3, -v4
	s_delay_alu instid0(VALU_DEP_1) | instskip(NEXT) | instid1(VALU_DEP_1)
	v_add_f32_e32 v4, 0x2d7880fb, v4
	v_fma_f32 v3, v1, v4, -v3
	s_delay_alu instid0(VALU_DEP_1) | instskip(NEXT) | instid1(VALU_DEP_1)
	v_add_f32_e32 v3, 0x2e0f0d10, v3
	v_fma_f32 v4, v1, v3, -v4
	s_delay_alu instid0(VALU_DEP_1) | instskip(NEXT) | instid1(VALU_DEP_1)
	v_add_f32_e32 v4, 0xada6e7cf, v4
	v_fma_f32 v3, v1, v4, -v3
	s_delay_alu instid0(VALU_DEP_1) | instskip(NEXT) | instid1(VALU_DEP_1)
	v_add_f32_e32 v3, 0xb019a653, v3
	v_fma_f32 v4, v1, v3, -v4
	s_delay_alu instid0(VALU_DEP_1) | instskip(NEXT) | instid1(VALU_DEP_1)
	v_add_f32_e32 v4, 0xb183c85d, v4
	v_fma_f32 v3, v1, v4, -v3
	s_delay_alu instid0(VALU_DEP_1) | instskip(NEXT) | instid1(VALU_DEP_1)
	v_add_f32_e32 v3, 0xb2e20a9d, v3
	v_fma_f32 v4, v1, v3, -v4
	s_delay_alu instid0(VALU_DEP_1) | instskip(NEXT) | instid1(VALU_DEP_1)
	v_add_f32_e32 v4, 0xb486dfe9, v4
	v_fma_f32 v3, v1, v4, -v3
	s_delay_alu instid0(VALU_DEP_1) | instskip(NEXT) | instid1(VALU_DEP_1)
	v_add_f32_e32 v3, 0xb68246fa, v3
	v_fma_f32 v4, v1, v3, -v4
	s_delay_alu instid0(VALU_DEP_1) | instskip(NEXT) | instid1(VALU_DEP_1)
	v_add_f32_e32 v4, 0xb8e7ebfc, v4
	v_fma_f32 v3, v1, v4, -v3
	s_delay_alu instid0(VALU_DEP_1) | instskip(NEXT) | instid1(VALU_DEP_1)
	v_add_f32_e32 v3, 0xbc1fed03, v3
	v_fma_f32 v1, v1, v3, -v4
	v_ldexp_f32 v3, v6, v10
	v_cndmask_b32_e64 v6, v11, v13, s0
	v_cmp_ngt_f32_e64 s0, 0xc2ce8ed0, v2
	s_delay_alu instid0(VALU_DEP_4) | instskip(NEXT) | instid1(VALU_DEP_3)
	v_add_f32_e32 v1, 0x3f4750c6, v1
	v_mul_f32_e32 v10, 0x37800000, v6
	s_delay_alu instid0(VALU_DEP_3) | instskip(SKIP_1) | instid1(VALU_DEP_4)
	v_cndmask_b32_e64 v3, 0, v3, s0
	v_cmp_nlt_f32_e64 s0, 0x42b17218, v2
	v_sub_f32_e32 v4, v1, v4
	s_delay_alu instid0(VALU_DEP_2) | instskip(NEXT) | instid1(VALU_DEP_2)
	v_cndmask_b32_e64 v1, 0x7f800000, v3, s0
	v_dual_cndmask_b32 v3, v6, v10 :: v_dual_mul_f32 v4, 0.5, v4
	v_cmp_class_f32_e64 vcc_lo, v5, 0x260
	s_delay_alu instid0(VALU_DEP_2) | instskip(NEXT) | instid1(VALU_DEP_1)
	v_dual_mul_f32 v4, v1, v4 :: v_dual_cndmask_b32 v3, v3, v5
	v_div_scale_f32 v5, null, v3, v3, v4
	s_delay_alu instid0(VALU_DEP_1) | instskip(SKIP_2) | instid1(VALU_DEP_1)
	v_rcp_f32_e32 v6, v5
	s_waitcnt_depctr 0xfff
	v_fma_f32 v10, -v5, v6, 1.0
	v_fmac_f32_e32 v6, v10, v6
	v_div_scale_f32 v10, vcc_lo, v4, v3, v4
	s_delay_alu instid0(VALU_DEP_1) | instskip(NEXT) | instid1(VALU_DEP_1)
	v_mul_f32_e32 v11, v10, v6
	v_fma_f32 v12, -v5, v11, v10
	s_delay_alu instid0(VALU_DEP_1) | instskip(NEXT) | instid1(VALU_DEP_1)
	v_fmac_f32_e32 v11, v12, v6
	v_fma_f32 v5, -v5, v11, v10
	s_delay_alu instid0(VALU_DEP_1) | instskip(NEXT) | instid1(VALU_DEP_1)
	v_div_fmas_f32 v5, v5, v6, v11
	v_div_fixup_f32 v3, v5, v3, v4
.LBB20_677:
	s_or_b32 exec_lo, exec_lo, s1
	v_fma_f32 v4, v2, v2, -2.0
	s_mov_b32 s0, 0xa3019142
	v_cmp_gt_f32_e32 vcc_lo, 0x800000, v0
	s_delay_alu instid0(VALU_DEP_2) | instskip(NEXT) | instid1(VALU_DEP_1)
	v_fmaak_f32 v5, s0, v4, 0xa72eea8c
	v_fmaak_f32 v6, v4, v5, 0x23019142
	s_delay_alu instid0(VALU_DEP_1) | instskip(NEXT) | instid1(VALU_DEP_1)
	v_add_f32_e32 v6, 0xab3ba817, v6
	v_fma_f32 v5, v4, v6, -v5
	s_delay_alu instid0(VALU_DEP_1) | instskip(NEXT) | instid1(VALU_DEP_1)
	v_add_f32_e32 v5, 0xaf1b31de, v5
	v_fma_f32 v6, v4, v5, -v6
	;; [unrolled: 3-line block ×8, first 2 shown]
	s_delay_alu instid0(VALU_DEP_1) | instskip(NEXT) | instid1(VALU_DEP_1)
	v_add_f32_e32 v4, 0x3fc33d0a, v4
	v_sub_f32_e32 v4, v4, v6
	v_cndmask_b32_e64 v6, 1.0, 0x4f800000, vcc_lo
	s_delay_alu instid0(VALU_DEP_2) | instskip(NEXT) | instid1(VALU_DEP_2)
	v_mul_f32_e32 v4, 0.5, v4
	v_mul_f32_e32 v0, v0, v6
	s_delay_alu instid0(VALU_DEP_2) | instskip(NEXT) | instid1(VALU_DEP_2)
	v_div_scale_f32 v5, null, v2, v2, v4
	v_log_f32_e32 v0, v0
	v_div_scale_f32 v11, s0, v4, v2, v4
	s_delay_alu instid0(VALU_DEP_2) | instskip(SKIP_3) | instid1(VALU_DEP_1)
	v_rcp_f32_e32 v10, v5
	s_waitcnt_depctr 0xfff
	v_cmp_gt_f32_e64 s1, 0x7f800000, |v0|
	v_fma_f32 v6, -v5, v10, 1.0
	v_fmac_f32_e32 v10, v6, v10
	v_mul_f32_e32 v6, 0x3f317217, v0
	s_delay_alu instid0(VALU_DEP_2) | instskip(NEXT) | instid1(VALU_DEP_2)
	v_mul_f32_e32 v12, v11, v10
	v_fma_f32 v13, 0x3f317217, v0, -v6
	s_delay_alu instid0(VALU_DEP_2) | instskip(NEXT) | instid1(VALU_DEP_1)
	v_fma_f32 v14, -v5, v12, v11
	v_dual_fmamk_f32 v13, v0, 0x3377d1cf, v13 :: v_dual_fmac_f32 v12, v14, v10
	s_delay_alu instid0(VALU_DEP_1) | instskip(NEXT) | instid1(VALU_DEP_2)
	v_add_f32_e32 v6, v6, v13
	v_fma_f32 v5, -v5, v12, v11
	s_delay_alu instid0(VALU_DEP_2) | instskip(SKIP_2) | instid1(VALU_DEP_3)
	v_cndmask_b32_e64 v0, v0, v6, s1
	v_cndmask_b32_e64 v6, 0, 0x41b17218, vcc_lo
	s_mov_b32 vcc_lo, s0
	v_div_fmas_f32 v5, v5, v10, v12
	s_delay_alu instid0(VALU_DEP_2) | instskip(NEXT) | instid1(VALU_DEP_2)
	v_sub_f32_e32 v0, v0, v6
	v_div_fixup_f32 v2, v5, v2, v4
	s_delay_alu instid0(VALU_DEP_1) | instskip(NEXT) | instid1(VALU_DEP_1)
	v_fmac_f32_e32 v2, v0, v3
	v_mul_f32_e32 v0, v1, v2
                                        ; implicit-def: $vgpr2
.LBB20_678:
	s_and_not1_saveexec_b32 s1, s21
	s_cbranch_execz .LBB20_680
; %bb.679:
	v_div_scale_f32 v0, null, v2, v2, 0x41000000
	v_div_scale_f32 v4, vcc_lo, 0x41000000, v2, 0x41000000
	s_mov_b32 s0, 0xa2d462ea
	s_delay_alu instid0(VALU_DEP_2) | instskip(SKIP_2) | instid1(VALU_DEP_1)
	v_rcp_f32_e32 v1, v0
	s_waitcnt_depctr 0xfff
	v_fma_f32 v3, -v0, v1, 1.0
	v_fmac_f32_e32 v1, v3, v1
	s_delay_alu instid0(VALU_DEP_1) | instskip(NEXT) | instid1(VALU_DEP_1)
	v_mul_f32_e32 v3, v4, v1
	v_fma_f32 v5, -v0, v3, v4
	s_delay_alu instid0(VALU_DEP_1) | instskip(NEXT) | instid1(VALU_DEP_1)
	v_fmac_f32_e32 v3, v5, v1
	v_fma_f32 v0, -v0, v3, v4
	v_mul_f32_e32 v4, 0x4f800000, v2
	s_delay_alu instid0(VALU_DEP_2) | instskip(SKIP_1) | instid1(VALU_DEP_2)
	v_div_fmas_f32 v0, v0, v1, v3
	v_cmp_gt_f32_e32 vcc_lo, 0xf800000, v2
	v_div_fixup_f32 v0, v0, v2, 0x41000000
	s_delay_alu instid0(VALU_DEP_4) | instskip(NEXT) | instid1(VALU_DEP_2)
	v_cndmask_b32_e32 v2, v2, v4, vcc_lo
	v_add_f32_e32 v0, -2.0, v0
	s_delay_alu instid0(VALU_DEP_2) | instskip(NEXT) | instid1(VALU_DEP_1)
	v_sqrt_f32_e32 v4, v2
	v_fmaak_f32 v1, s0, v0, 0x23a578d4
	s_waitcnt_depctr 0xfff
	v_dual_fmaak_f32 v3, v0, v1, 0x22d462ea :: v_dual_add_nc_u32 v6, 1, v4
	v_add_nc_u32_e32 v5, -1, v4
	s_delay_alu instid0(VALU_DEP_2) | instskip(NEXT) | instid1(VALU_DEP_3)
	v_add_f32_e32 v3, 0xa48330a9, v3
	v_fma_f32 v11, -v6, v4, v2
	s_delay_alu instid0(VALU_DEP_3) | instskip(NEXT) | instid1(VALU_DEP_3)
	v_fma_f32 v10, -v5, v4, v2
	v_fma_f32 v1, v0, v3, -v1
	s_delay_alu instid0(VALU_DEP_2) | instskip(NEXT) | instid1(VALU_DEP_2)
	v_cmp_ge_f32_e64 s0, 0, v10
	v_add_f32_e32 v1, 0x2553eaf2, v1
	s_delay_alu instid0(VALU_DEP_2) | instskip(SKIP_1) | instid1(VALU_DEP_3)
	v_cndmask_b32_e64 v4, v4, v5, s0
	v_cmp_lt_f32_e64 s0, 0, v11
	v_fma_f32 v3, v0, v1, -v3
	s_delay_alu instid0(VALU_DEP_2) | instskip(NEXT) | instid1(VALU_DEP_2)
	v_cndmask_b32_e64 v4, v4, v6, s0
	v_add_f32_e32 v3, 0xa62e951f, v3
	s_delay_alu instid0(VALU_DEP_1) | instskip(NEXT) | instid1(VALU_DEP_1)
	v_fma_f32 v1, v0, v3, -v1
	v_add_f32_e32 v1, 0x2712e76f, v1
	s_delay_alu instid0(VALU_DEP_1) | instskip(NEXT) | instid1(VALU_DEP_1)
	v_fma_f32 v3, v0, v1, -v3
	v_add_f32_e32 v3, 0xa7fcea92, v3
	s_delay_alu instid0(VALU_DEP_1) | instskip(NEXT) | instid1(VALU_DEP_1)
	v_fma_f32 v1, v0, v3, -v1
	v_add_f32_e32 v1, 0x28df1f4b, v1
	s_delay_alu instid0(VALU_DEP_1) | instskip(NEXT) | instid1(VALU_DEP_1)
	v_fma_f32 v3, v0, v1, -v3
	v_add_f32_e32 v3, 0xa9ca232f, v3
	s_delay_alu instid0(VALU_DEP_1) | instskip(NEXT) | instid1(VALU_DEP_1)
	v_fma_f32 v1, v0, v3, -v1
	v_add_f32_e32 v1, 0x2abc7fd0, v1
	s_delay_alu instid0(VALU_DEP_1) | instskip(NEXT) | instid1(VALU_DEP_1)
	v_fma_f32 v3, v0, v1, -v3
	v_add_f32_e32 v3, 0xabb56f63, v3
	s_delay_alu instid0(VALU_DEP_1) | instskip(NEXT) | instid1(VALU_DEP_1)
	v_fma_f32 v1, v0, v3, -v1
	v_add_f32_e32 v1, 0x2cb4d5c2, v1
	s_delay_alu instid0(VALU_DEP_1) | instskip(NEXT) | instid1(VALU_DEP_1)
	v_fma_f32 v3, v0, v1, -v3
	v_add_f32_e32 v3, 0xadbb5a9d, v3
	s_delay_alu instid0(VALU_DEP_1) | instskip(NEXT) | instid1(VALU_DEP_1)
	v_fma_f32 v1, v0, v3, -v1
	v_add_f32_e32 v1, 0x2ecab680, v1
	s_delay_alu instid0(VALU_DEP_1) | instskip(NEXT) | instid1(VALU_DEP_1)
	v_fma_f32 v3, v0, v1, -v3
	v_add_f32_e32 v3, 0xafe65e00, v3
	s_delay_alu instid0(VALU_DEP_1) | instskip(NEXT) | instid1(VALU_DEP_1)
	v_fma_f32 v1, v0, v3, -v1
	v_add_f32_e32 v1, 0x310a7921, v1
	s_delay_alu instid0(VALU_DEP_1) | instskip(NEXT) | instid1(VALU_DEP_1)
	v_fma_f32 v3, v0, v1, -v3
	v_add_f32_e32 v3, 0xb231bd25, v3
	s_delay_alu instid0(VALU_DEP_1) | instskip(NEXT) | instid1(VALU_DEP_1)
	v_fma_f32 v1, v0, v3, -v1
	v_add_f32_e32 v1, 0x337693e3, v1
	s_delay_alu instid0(VALU_DEP_1) | instskip(NEXT) | instid1(VALU_DEP_1)
	v_fma_f32 v3, v0, v1, -v3
	v_add_f32_e32 v3, 0xb4bc0294, v3
	s_delay_alu instid0(VALU_DEP_1) | instskip(NEXT) | instid1(VALU_DEP_1)
	v_fma_f32 v1, v0, v3, -v1
	v_add_f32_e32 v1, 0x36217f19, v1
	s_delay_alu instid0(VALU_DEP_1) | instskip(NEXT) | instid1(VALU_DEP_1)
	v_fma_f32 v3, v0, v1, -v3
	v_add_f32_e32 v3, 0xb7a26b89, v3
	s_delay_alu instid0(VALU_DEP_1) | instskip(NEXT) | instid1(VALU_DEP_1)
	v_fma_f32 v1, v0, v3, -v1
	v_add_f32_e32 v1, 0x394cb2c4, v1
	s_delay_alu instid0(VALU_DEP_1) | instskip(NEXT) | instid1(VALU_DEP_1)
	v_fma_f32 v3, v0, v1, -v3
	v_add_f32_e32 v3, 0xbb3b4a36, v3
	s_delay_alu instid0(VALU_DEP_1) | instskip(NEXT) | instid1(VALU_DEP_1)
	v_fma_f32 v1, v0, v3, -v1
	v_add_f32_e32 v1, 0x3dd4d5f8, v1
	s_delay_alu instid0(VALU_DEP_1) | instskip(SKIP_1) | instid1(VALU_DEP_1)
	v_fma_f32 v0, v0, v1, -v3
	v_mul_f32_e32 v1, 0x37800000, v4
	v_dual_add_f32 v0, 0x402e1ebd, v0 :: v_dual_cndmask_b32 v1, v4, v1
	v_cmp_class_f32_e64 vcc_lo, v2, 0x260
	s_delay_alu instid0(VALU_DEP_2) | instskip(NEXT) | instid1(VALU_DEP_1)
	v_dual_sub_f32 v0, v0, v3 :: v_dual_cndmask_b32 v1, v1, v2
	v_mul_f32_e32 v0, 0.5, v0
	s_delay_alu instid0(VALU_DEP_1) | instskip(NEXT) | instid1(VALU_DEP_1)
	v_div_scale_f32 v2, null, v1, v1, v0
	v_rcp_f32_e32 v3, v2
	s_waitcnt_depctr 0xfff
	v_fma_f32 v4, -v2, v3, 1.0
	s_delay_alu instid0(VALU_DEP_1) | instskip(SKIP_1) | instid1(VALU_DEP_1)
	v_fmac_f32_e32 v3, v4, v3
	v_div_scale_f32 v4, vcc_lo, v0, v1, v0
	v_mul_f32_e32 v5, v4, v3
	s_delay_alu instid0(VALU_DEP_1) | instskip(NEXT) | instid1(VALU_DEP_1)
	v_fma_f32 v6, -v2, v5, v4
	v_fmac_f32_e32 v5, v6, v3
	s_delay_alu instid0(VALU_DEP_1) | instskip(NEXT) | instid1(VALU_DEP_1)
	v_fma_f32 v2, -v2, v5, v4
	v_div_fmas_f32 v2, v2, v3, v5
	s_delay_alu instid0(VALU_DEP_1)
	v_div_fixup_f32 v0, v2, v1, v0
.LBB20_680:
	s_or_b32 exec_lo, exec_lo, s1
.LBB20_681:
	s_delay_alu instid0(SALU_CYCLE_1)
	s_or_b32 exec_lo, exec_lo, s20
.LBB20_682:
	s_delay_alu instid0(SALU_CYCLE_1) | instskip(SKIP_2) | instid1(VALU_DEP_1)
	s_or_b32 exec_lo, exec_lo, s19
	v_mul_lo_u32 v1, v8, s2
	v_and_b32_e32 v4, 0xff, v7
	v_cmp_gt_i16_e32 vcc_lo, 11, v4
	s_delay_alu instid0(VALU_DEP_3) | instskip(SKIP_1) | instid1(VALU_DEP_1)
	v_ashrrev_i32_e32 v3, 31, v1
	v_add_co_u32 v2, s0, s4, v1
	v_add_co_ci_u32_e64 v3, s0, s5, v3, s0
	s_cbranch_vccnz .LBB20_690
; %bb.683:
	v_cmp_lt_i16_e32 vcc_lo, 25, v4
	s_cbranch_vccz .LBB20_691
; %bb.684:
	v_cmp_lt_i16_e32 vcc_lo, 28, v4
	s_cbranch_vccz .LBB20_692
	;; [unrolled: 3-line block ×4, first 2 shown]
; %bb.687:
	v_cmp_eq_u16_e32 vcc_lo, 46, v4
	s_mov_b32 s19, 0
	s_mov_b32 s0, -1
	s_mov_b32 s1, 0
	s_cbranch_vccz .LBB20_695
; %bb.688:
	v_bfe_u32 v1, v0, 16, 1
	v_cmp_o_f32_e32 vcc_lo, v0, v0
	s_mov_b32 s1, -1
	s_mov_b32 s0, 0
	s_delay_alu instid0(VALU_DEP_2) | instskip(NEXT) | instid1(VALU_DEP_1)
	v_add3_u32 v1, v0, v1, 0x7fff
	v_lshrrev_b32_e32 v1, 16, v1
	s_delay_alu instid0(VALU_DEP_1)
	v_cndmask_b32_e32 v1, 0x7fc0, v1, vcc_lo
	global_store_b32 v[2:3], v1, off
	s_branch .LBB20_695
.LBB20_689:
	s_mov_b32 s19, 0
	s_mov_b32 s0, s15
	s_branch .LBB20_806
.LBB20_690:
	s_mov_b32 s19, -1
	s_mov_b32 s1, 0
	s_mov_b32 s0, s15
	s_branch .LBB20_764
.LBB20_691:
	s_mov_b32 s19, -1
	s_mov_b32 s1, 0
	s_mov_b32 s0, s15
	s_branch .LBB20_722
.LBB20_692:
	s_mov_b32 s19, -1
	s_mov_b32 s1, 0
	s_mov_b32 s0, s15
	s_branch .LBB20_705
.LBB20_693:
	s_mov_b32 s19, -1
	s_mov_b32 s1, 0
	s_mov_b32 s0, s15
	s_branch .LBB20_701
.LBB20_694:
	s_mov_b32 s19, -1
	s_mov_b32 s1, 0
	s_mov_b32 s0, s15
.LBB20_695:
	s_and_b32 vcc_lo, exec_lo, s19
	s_cbranch_vccz .LBB20_700
; %bb.696:
	v_cmp_eq_u16_e32 vcc_lo, 44, v4
	s_mov_b32 s0, -1
	s_cbranch_vccz .LBB20_700
; %bb.697:
	v_bfe_u32 v5, v0, 23, 8
	v_mov_b32_e32 v1, 0xff
	s_mov_b32 s1, exec_lo
	s_delay_alu instid0(VALU_DEP_2)
	v_cmpx_ne_u32_e32 0xff, v5
; %bb.698:
	v_and_b32_e32 v1, 0x400000, v0
	v_and_or_b32 v5, 0x3fffff, v0, v5
	s_delay_alu instid0(VALU_DEP_2) | instskip(NEXT) | instid1(VALU_DEP_2)
	v_cmp_ne_u32_e32 vcc_lo, 0, v1
	v_cmp_ne_u32_e64 s0, 0, v5
	v_lshrrev_b32_e32 v1, 23, v0
	s_delay_alu instid0(VALU_DEP_2) | instskip(NEXT) | instid1(SALU_CYCLE_1)
	s_and_b32 s0, vcc_lo, s0
	v_cndmask_b32_e64 v5, 0, 1, s0
	s_delay_alu instid0(VALU_DEP_1)
	v_add_nc_u32_e32 v1, v1, v5
; %bb.699:
	s_or_b32 exec_lo, exec_lo, s1
	s_mov_b32 s1, -1
	s_mov_b32 s0, 0
	global_store_b8 v[2:3], v1, off
.LBB20_700:
	s_mov_b32 s19, 0
.LBB20_701:
	s_delay_alu instid0(SALU_CYCLE_1)
	s_and_b32 vcc_lo, exec_lo, s19
	s_cbranch_vccz .LBB20_704
; %bb.702:
	v_cmp_eq_u16_e32 vcc_lo, 29, v4
	s_mov_b32 s0, -1
	s_cbranch_vccz .LBB20_704
; %bb.703:
	v_trunc_f32_e32 v1, v0
	s_mov_b32 s1, -1
	s_mov_b32 s0, 0
	s_mov_b32 s19, 0
	s_delay_alu instid0(VALU_DEP_1) | instskip(NEXT) | instid1(VALU_DEP_1)
	v_mul_f32_e32 v5, 0x2f800000, v1
	v_floor_f32_e32 v5, v5
	s_delay_alu instid0(VALU_DEP_1) | instskip(SKIP_1) | instid1(VALU_DEP_2)
	v_fmamk_f32 v1, v5, 0xcf800000, v1
	v_cvt_u32_f32_e32 v6, v5
	v_cvt_u32_f32_e32 v5, v1
	global_store_b64 v[2:3], v[5:6], off
	s_branch .LBB20_705
.LBB20_704:
	s_mov_b32 s19, 0
.LBB20_705:
	s_delay_alu instid0(SALU_CYCLE_1)
	s_and_b32 vcc_lo, exec_lo, s19
	s_cbranch_vccz .LBB20_721
; %bb.706:
	v_cmp_gt_i16_e32 vcc_lo, 27, v4
	s_mov_b32 s1, -1
	s_cbranch_vccnz .LBB20_712
; %bb.707:
	v_cmp_lt_i16_e32 vcc_lo, 27, v4
	s_cbranch_vccz .LBB20_709
; %bb.708:
	v_cvt_u32_f32_e32 v1, v0
	s_mov_b32 s1, 0
	global_store_b32 v[2:3], v1, off
.LBB20_709:
	s_and_not1_b32 vcc_lo, exec_lo, s1
	s_cbranch_vccnz .LBB20_711
; %bb.710:
	v_cvt_u32_f32_e32 v1, v0
	global_store_b16 v[2:3], v1, off
.LBB20_711:
	s_mov_b32 s1, 0
.LBB20_712:
	s_delay_alu instid0(SALU_CYCLE_1)
	s_and_not1_b32 vcc_lo, exec_lo, s1
	s_cbranch_vccnz .LBB20_720
; %bb.713:
	v_and_b32_e32 v1, 0x7fffffff, v0
	v_mov_b32_e32 v5, 0x80
	s_mov_b32 s1, exec_lo
	s_delay_alu instid0(VALU_DEP_2)
	v_cmpx_gt_u32_e32 0x43800000, v1
	s_cbranch_execz .LBB20_719
; %bb.714:
	v_cmp_lt_u32_e32 vcc_lo, 0x3bffffff, v1
	s_mov_b32 s19, 0
                                        ; implicit-def: $vgpr1
	s_and_saveexec_b32 s20, vcc_lo
	s_delay_alu instid0(SALU_CYCLE_1)
	s_xor_b32 s20, exec_lo, s20
	s_cbranch_execz .LBB20_821
; %bb.715:
	v_bfe_u32 v1, v0, 20, 1
	s_mov_b32 s19, exec_lo
	s_delay_alu instid0(VALU_DEP_1) | instskip(NEXT) | instid1(VALU_DEP_1)
	v_add3_u32 v1, v0, v1, 0x487ffff
	v_lshrrev_b32_e32 v1, 20, v1
	s_or_saveexec_b32 s20, s20
                                        ; implicit-def: $sgpr21
	s_delay_alu instid0(SALU_CYCLE_1)
	s_xor_b32 exec_lo, exec_lo, s20
	s_cbranch_execnz .LBB20_822
.LBB20_716:
	s_or_b32 exec_lo, exec_lo, s20
	v_mov_b32_e32 v5, s21
	s_and_saveexec_b32 s20, s19
.LBB20_717:
	v_lshrrev_b32_e32 v5, 24, v0
	s_delay_alu instid0(VALU_DEP_1)
	v_and_or_b32 v5, 0x80, v5, v1
.LBB20_718:
	s_or_b32 exec_lo, exec_lo, s20
.LBB20_719:
	s_delay_alu instid0(SALU_CYCLE_1)
	s_or_b32 exec_lo, exec_lo, s1
	global_store_b8 v[2:3], v5, off
.LBB20_720:
	s_mov_b32 s1, -1
.LBB20_721:
	s_mov_b32 s19, 0
.LBB20_722:
	s_delay_alu instid0(SALU_CYCLE_1)
	s_and_b32 vcc_lo, exec_lo, s19
	s_cbranch_vccz .LBB20_763
; %bb.723:
	v_cmp_lt_i16_e32 vcc_lo, 22, v4
	s_mov_b32 s19, -1
	s_cbranch_vccz .LBB20_755
; %bb.724:
	v_cmp_gt_i16_e32 vcc_lo, 24, v4
	s_mov_b32 s1, -1
	s_cbranch_vccnz .LBB20_744
; %bb.725:
	v_cmp_lt_i16_e32 vcc_lo, 24, v4
	s_cbranch_vccz .LBB20_733
; %bb.726:
	v_and_b32_e32 v1, 0x7fffffff, v0
	v_mov_b32_e32 v5, 0x80
	s_mov_b32 s1, exec_lo
	s_delay_alu instid0(VALU_DEP_2)
	v_cmpx_gt_u32_e32 0x47800000, v1
	s_cbranch_execz .LBB20_732
; %bb.727:
	v_cmp_lt_u32_e32 vcc_lo, 0x37ffffff, v1
	s_mov_b32 s19, 0
                                        ; implicit-def: $vgpr1
	s_and_saveexec_b32 s20, vcc_lo
	s_delay_alu instid0(SALU_CYCLE_1)
	s_xor_b32 s20, exec_lo, s20
	s_cbranch_execz .LBB20_824
; %bb.728:
	v_bfe_u32 v1, v0, 21, 1
	s_mov_b32 s19, exec_lo
	s_delay_alu instid0(VALU_DEP_1) | instskip(NEXT) | instid1(VALU_DEP_1)
	v_add3_u32 v1, v0, v1, 0x88fffff
	v_lshrrev_b32_e32 v1, 21, v1
	s_or_saveexec_b32 s20, s20
                                        ; implicit-def: $sgpr21
	s_delay_alu instid0(SALU_CYCLE_1)
	s_xor_b32 exec_lo, exec_lo, s20
	s_cbranch_execnz .LBB20_825
.LBB20_729:
	s_or_b32 exec_lo, exec_lo, s20
	v_mov_b32_e32 v5, s21
	s_and_saveexec_b32 s20, s19
.LBB20_730:
	v_lshrrev_b32_e32 v5, 24, v0
	s_delay_alu instid0(VALU_DEP_1)
	v_and_or_b32 v5, 0x80, v5, v1
.LBB20_731:
	s_or_b32 exec_lo, exec_lo, s20
.LBB20_732:
	s_delay_alu instid0(SALU_CYCLE_1)
	s_or_b32 exec_lo, exec_lo, s1
	s_mov_b32 s1, 0
	global_store_b8 v[2:3], v5, off
.LBB20_733:
	s_and_b32 vcc_lo, exec_lo, s1
	s_cbranch_vccz .LBB20_743
; %bb.734:
	v_and_b32_e32 v5, 0x7fffffff, v0
	s_mov_b32 s1, exec_lo
                                        ; implicit-def: $vgpr1
	s_delay_alu instid0(VALU_DEP_1)
	v_cmpx_gt_u32_e32 0x43f00000, v5
	s_xor_b32 s1, exec_lo, s1
	s_cbranch_execz .LBB20_740
; %bb.735:
	s_mov_b32 s19, exec_lo
                                        ; implicit-def: $vgpr1
	v_cmpx_lt_u32_e32 0x3c7fffff, v5
	s_xor_b32 s19, exec_lo, s19
; %bb.736:
	v_bfe_u32 v1, v0, 20, 1
	s_delay_alu instid0(VALU_DEP_1) | instskip(NEXT) | instid1(VALU_DEP_1)
	v_add3_u32 v1, v0, v1, 0x407ffff
	v_and_b32_e32 v5, 0xff00000, v1
	v_lshrrev_b32_e32 v1, 20, v1
	s_delay_alu instid0(VALU_DEP_2) | instskip(NEXT) | instid1(VALU_DEP_2)
	v_cmp_ne_u32_e32 vcc_lo, 0x7f00000, v5
	v_cndmask_b32_e32 v1, 0x7e, v1, vcc_lo
; %bb.737:
	s_and_not1_saveexec_b32 s19, s19
; %bb.738:
	v_add_f32_e64 v1, 0x46800000, |v0|
; %bb.739:
	s_or_b32 exec_lo, exec_lo, s19
                                        ; implicit-def: $vgpr5
.LBB20_740:
	s_and_not1_saveexec_b32 s1, s1
; %bb.741:
	v_mov_b32_e32 v1, 0x7f
	v_cmp_lt_u32_e32 vcc_lo, 0x7f800000, v5
	s_delay_alu instid0(VALU_DEP_2)
	v_cndmask_b32_e32 v1, 0x7e, v1, vcc_lo
; %bb.742:
	s_or_b32 exec_lo, exec_lo, s1
	v_lshrrev_b32_e32 v5, 24, v0
	s_delay_alu instid0(VALU_DEP_1)
	v_and_or_b32 v1, 0x80, v5, v1
	global_store_b8 v[2:3], v1, off
.LBB20_743:
	s_mov_b32 s1, 0
.LBB20_744:
	s_delay_alu instid0(SALU_CYCLE_1)
	s_and_not1_b32 vcc_lo, exec_lo, s1
	s_cbranch_vccnz .LBB20_754
; %bb.745:
	v_and_b32_e32 v5, 0x7fffffff, v0
	s_mov_b32 s1, exec_lo
                                        ; implicit-def: $vgpr1
	s_delay_alu instid0(VALU_DEP_1)
	v_cmpx_gt_u32_e32 0x47800000, v5
	s_xor_b32 s1, exec_lo, s1
	s_cbranch_execz .LBB20_751
; %bb.746:
	s_mov_b32 s19, exec_lo
                                        ; implicit-def: $vgpr1
	v_cmpx_lt_u32_e32 0x387fffff, v5
	s_xor_b32 s19, exec_lo, s19
; %bb.747:
	v_bfe_u32 v1, v0, 21, 1
	s_delay_alu instid0(VALU_DEP_1) | instskip(NEXT) | instid1(VALU_DEP_1)
	v_add3_u32 v1, v0, v1, 0x80fffff
	v_lshrrev_b32_e32 v1, 21, v1
; %bb.748:
	s_and_not1_saveexec_b32 s19, s19
; %bb.749:
	v_add_f32_e64 v1, 0x43000000, |v0|
; %bb.750:
	s_or_b32 exec_lo, exec_lo, s19
                                        ; implicit-def: $vgpr5
.LBB20_751:
	s_and_not1_saveexec_b32 s1, s1
; %bb.752:
	v_mov_b32_e32 v1, 0x7f
	v_cmp_lt_u32_e32 vcc_lo, 0x7f800000, v5
	s_delay_alu instid0(VALU_DEP_2)
	v_cndmask_b32_e32 v1, 0x7c, v1, vcc_lo
; %bb.753:
	s_or_b32 exec_lo, exec_lo, s1
	v_lshrrev_b32_e32 v5, 24, v0
	s_delay_alu instid0(VALU_DEP_1)
	v_and_or_b32 v1, 0x80, v5, v1
	global_store_b8 v[2:3], v1, off
.LBB20_754:
	s_mov_b32 s19, 0
	s_mov_b32 s1, -1
.LBB20_755:
	s_and_not1_b32 vcc_lo, exec_lo, s19
	s_cbranch_vccnz .LBB20_763
; %bb.756:
	v_cmp_lt_i16_e32 vcc_lo, 14, v4
	s_mov_b32 s19, -1
	s_cbranch_vccz .LBB20_760
; %bb.757:
	v_cmp_eq_u16_e32 vcc_lo, 15, v4
	s_mov_b32 s0, -1
	s_cbranch_vccz .LBB20_759
; %bb.758:
	v_bfe_u32 v1, v0, 16, 1
	v_cmp_o_f32_e32 vcc_lo, v0, v0
	s_mov_b32 s1, -1
	s_mov_b32 s0, 0
	s_delay_alu instid0(VALU_DEP_2) | instskip(NEXT) | instid1(VALU_DEP_1)
	v_add3_u32 v1, v0, v1, 0x7fff
	v_lshrrev_b32_e32 v1, 16, v1
	s_delay_alu instid0(VALU_DEP_1)
	v_cndmask_b32_e32 v1, 0x7fc0, v1, vcc_lo
	global_store_b16 v[2:3], v1, off
.LBB20_759:
	s_mov_b32 s19, 0
.LBB20_760:
	s_delay_alu instid0(SALU_CYCLE_1)
	s_and_b32 vcc_lo, exec_lo, s19
	s_cbranch_vccz .LBB20_763
; %bb.761:
	v_cmp_eq_u16_e32 vcc_lo, 11, v4
	s_mov_b32 s0, -1
	s_cbranch_vccz .LBB20_763
; %bb.762:
	v_cmp_neq_f32_e32 vcc_lo, 0, v0
	s_mov_b32 s0, 0
	s_mov_b32 s1, -1
	v_cndmask_b32_e64 v1, 0, 1, vcc_lo
	global_store_b8 v[2:3], v1, off
.LBB20_763:
	s_mov_b32 s19, 0
.LBB20_764:
	s_delay_alu instid0(SALU_CYCLE_1)
	s_and_b32 vcc_lo, exec_lo, s19
	s_cbranch_vccz .LBB20_803
; %bb.765:
	v_cmp_gt_i16_e32 vcc_lo, 5, v4
	s_mov_b32 s1, -1
	s_cbranch_vccnz .LBB20_786
; %bb.766:
	v_cmp_gt_i16_e32 vcc_lo, 8, v4
	s_cbranch_vccnz .LBB20_776
; %bb.767:
	v_cmp_gt_i16_e32 vcc_lo, 9, v4
	s_cbranch_vccnz .LBB20_773
; %bb.768:
	v_cmp_lt_i16_e32 vcc_lo, 9, v4
	s_cbranch_vccz .LBB20_770
; %bb.769:
	v_cvt_f64_f32_e32 v[10:11], v0
	v_mov_b32_e32 v12, 0
	s_mov_b32 s1, 0
	s_delay_alu instid0(VALU_DEP_1)
	v_mov_b32_e32 v13, v12
	global_store_b128 v[2:3], v[10:13], off
.LBB20_770:
	s_and_not1_b32 vcc_lo, exec_lo, s1
	s_cbranch_vccnz .LBB20_772
; %bb.771:
	v_mov_b32_e32 v1, 0
	global_store_b64 v[2:3], v[0:1], off
.LBB20_772:
	s_mov_b32 s1, 0
.LBB20_773:
	s_delay_alu instid0(SALU_CYCLE_1)
	s_and_not1_b32 vcc_lo, exec_lo, s1
	s_cbranch_vccnz .LBB20_775
; %bb.774:
	v_cvt_f16_f32_e32 v1, v0
	s_delay_alu instid0(VALU_DEP_1)
	v_and_b32_e32 v1, 0xffff, v1
	global_store_b32 v[2:3], v1, off
.LBB20_775:
	s_mov_b32 s1, 0
.LBB20_776:
	s_delay_alu instid0(SALU_CYCLE_1)
	s_and_not1_b32 vcc_lo, exec_lo, s1
	s_cbranch_vccnz .LBB20_785
; %bb.777:
	v_cmp_gt_i16_e32 vcc_lo, 6, v4
	s_mov_b32 s1, -1
	s_cbranch_vccnz .LBB20_783
; %bb.778:
	v_cmp_lt_i16_e32 vcc_lo, 6, v4
	s_cbranch_vccz .LBB20_780
; %bb.779:
	v_cvt_f64_f32_e32 v[5:6], v0
	s_mov_b32 s1, 0
	global_store_b64 v[2:3], v[5:6], off
.LBB20_780:
	s_and_not1_b32 vcc_lo, exec_lo, s1
	s_cbranch_vccnz .LBB20_782
; %bb.781:
	global_store_b32 v[2:3], v0, off
.LBB20_782:
	s_mov_b32 s1, 0
.LBB20_783:
	s_delay_alu instid0(SALU_CYCLE_1)
	s_and_not1_b32 vcc_lo, exec_lo, s1
	s_cbranch_vccnz .LBB20_785
; %bb.784:
	v_cvt_f16_f32_e32 v1, v0
	global_store_b16 v[2:3], v1, off
.LBB20_785:
	s_mov_b32 s1, 0
.LBB20_786:
	s_delay_alu instid0(SALU_CYCLE_1)
	s_and_not1_b32 vcc_lo, exec_lo, s1
	s_cbranch_vccnz .LBB20_802
; %bb.787:
	v_cmp_gt_i16_e32 vcc_lo, 2, v4
	s_mov_b32 s1, -1
	s_cbranch_vccnz .LBB20_797
; %bb.788:
	v_cmp_gt_i16_e32 vcc_lo, 3, v4
	s_cbranch_vccnz .LBB20_794
; %bb.789:
	v_cmp_lt_i16_e32 vcc_lo, 3, v4
	s_cbranch_vccz .LBB20_791
; %bb.790:
	v_trunc_f32_e32 v1, v0
	s_mov_b32 s1, 0
	s_delay_alu instid0(VALU_DEP_1) | instskip(NEXT) | instid1(VALU_DEP_1)
	v_mul_f32_e64 v5, 0x2f800000, |v1|
	v_floor_f32_e32 v5, v5
	s_delay_alu instid0(VALU_DEP_1) | instskip(SKIP_2) | instid1(VALU_DEP_3)
	v_fma_f32 v6, 0xcf800000, v5, |v1|
	v_ashrrev_i32_e32 v1, 31, v1
	v_cvt_u32_f32_e32 v5, v5
	v_cvt_u32_f32_e32 v6, v6
	s_delay_alu instid0(VALU_DEP_2) | instskip(NEXT) | instid1(VALU_DEP_2)
	v_xor_b32_e32 v10, v5, v1
	v_xor_b32_e32 v6, v6, v1
	s_delay_alu instid0(VALU_DEP_1) | instskip(NEXT) | instid1(VALU_DEP_3)
	v_sub_co_u32 v5, vcc_lo, v6, v1
	v_sub_co_ci_u32_e32 v6, vcc_lo, v10, v1, vcc_lo
	global_store_b64 v[2:3], v[5:6], off
.LBB20_791:
	s_and_not1_b32 vcc_lo, exec_lo, s1
	s_cbranch_vccnz .LBB20_793
; %bb.792:
	v_cvt_i32_f32_e32 v1, v0
	global_store_b32 v[2:3], v1, off
.LBB20_793:
	s_mov_b32 s1, 0
.LBB20_794:
	s_delay_alu instid0(SALU_CYCLE_1)
	s_and_not1_b32 vcc_lo, exec_lo, s1
	s_cbranch_vccnz .LBB20_796
; %bb.795:
	v_cvt_i32_f32_e32 v1, v0
	global_store_b16 v[2:3], v1, off
.LBB20_796:
	s_mov_b32 s1, 0
.LBB20_797:
	s_delay_alu instid0(SALU_CYCLE_1)
	s_and_not1_b32 vcc_lo, exec_lo, s1
	s_cbranch_vccnz .LBB20_802
; %bb.798:
	v_cmp_lt_i16_e32 vcc_lo, 0, v4
	s_mov_b32 s1, -1
	s_cbranch_vccz .LBB20_800
; %bb.799:
	v_cvt_i32_f32_e32 v1, v0
	s_mov_b32 s1, 0
	global_store_b8 v[2:3], v1, off
.LBB20_800:
	s_and_not1_b32 vcc_lo, exec_lo, s1
	s_cbranch_vccnz .LBB20_802
; %bb.801:
	v_trunc_f32_e32 v0, v0
	s_delay_alu instid0(VALU_DEP_1) | instskip(NEXT) | instid1(VALU_DEP_1)
	v_mul_f32_e64 v1, 0x2f800000, |v0|
	v_floor_f32_e32 v1, v1
	s_delay_alu instid0(VALU_DEP_1) | instskip(SKIP_1) | instid1(VALU_DEP_2)
	v_fma_f32 v1, 0xcf800000, v1, |v0|
	v_ashrrev_i32_e32 v0, 31, v0
	v_cvt_u32_f32_e32 v1, v1
	s_delay_alu instid0(VALU_DEP_1) | instskip(NEXT) | instid1(VALU_DEP_1)
	v_xor_b32_e32 v1, v1, v0
	v_sub_nc_u32_e32 v0, v1, v0
	global_store_b8 v[2:3], v0, off
.LBB20_802:
	s_mov_b32 s1, -1
.LBB20_803:
	s_delay_alu instid0(SALU_CYCLE_1)
	s_and_not1_b32 vcc_lo, exec_lo, s1
	s_cbranch_vccnz .LBB20_805
; %bb.804:
	v_add_nc_u32_e32 v8, 0x80, v8
	s_mov_b32 s19, -1
	s_branch .LBB20_807
.LBB20_805:
	s_mov_b32 s19, 0
.LBB20_806:
                                        ; implicit-def: $vgpr8
.LBB20_807:
	s_and_not1_b32 s1, s15, exec_lo
	s_and_b32 s0, s0, exec_lo
	s_and_not1_b32 s20, s14, exec_lo
	s_and_b32 s21, s18, exec_lo
	s_or_b32 s18, s1, s0
	s_or_b32 s1, s20, s21
	s_or_not1_b32 s0, s19, exec_lo
.LBB20_808:
	s_or_b32 exec_lo, exec_lo, s17
	s_mov_b32 s19, 0
	s_mov_b32 s20, 0
	;; [unrolled: 1-line block ×3, first 2 shown]
                                        ; implicit-def: $vgpr0_vgpr1
                                        ; implicit-def: $vgpr4
	s_and_saveexec_b32 s17, s0
	s_cbranch_execz .LBB20_893
; %bb.809:
	v_cmp_gt_i32_e32 vcc_lo, s11, v8
	s_mov_b32 s0, 0
	s_mov_b32 s19, s1
                                        ; implicit-def: $vgpr0_vgpr1
                                        ; implicit-def: $vgpr4
	s_and_saveexec_b32 s11, vcc_lo
	s_cbranch_execz .LBB20_892
; %bb.810:
	v_mul_lo_u32 v0, v8, s3
	v_cmp_gt_i16_e32 vcc_lo, 11, v9
	s_delay_alu instid0(VALU_DEP_2) | instskip(SKIP_1) | instid1(VALU_DEP_1)
	v_ashrrev_i32_e32 v1, 31, v0
	v_add_co_u32 v0, s0, s6, v0
	v_add_co_ci_u32_e64 v1, s0, s7, v1, s0
	s_cbranch_vccnz .LBB20_817
; %bb.811:
	v_cmp_lt_i16_e32 vcc_lo, 25, v9
	s_mov_b32 s19, 0
	s_cbranch_vccz .LBB20_818
; %bb.812:
	v_cmp_lt_i16_e32 vcc_lo, 28, v9
	s_cbranch_vccz .LBB20_819
; %bb.813:
	v_cmp_lt_i16_e32 vcc_lo, 43, v9
	;; [unrolled: 3-line block ×3, first 2 shown]
	s_cbranch_vccz .LBB20_823
; %bb.815:
	v_cmp_eq_u16_e32 vcc_lo, 46, v9
	s_cbranch_vccz .LBB20_826
; %bb.816:
	global_load_b32 v2, v[0:1], off
	s_mov_b32 s0, 0
	s_mov_b32 s20, -1
	s_waitcnt vmcnt(0)
	v_lshlrev_b32_e32 v4, 16, v2
	s_branch .LBB20_828
.LBB20_817:
	s_mov_b32 s22, -1
	s_mov_b32 s19, 0
	s_mov_b32 s0, s1
                                        ; implicit-def: $vgpr4
	s_branch .LBB20_891
.LBB20_818:
	s_mov_b32 s21, -1
	s_mov_b32 s0, s1
                                        ; implicit-def: $vgpr4
	s_branch .LBB20_857
.LBB20_819:
	s_mov_b32 s21, -1
	s_mov_b32 s0, s1
                                        ; implicit-def: $vgpr4
	s_branch .LBB20_838
.LBB20_820:
	s_mov_b32 s21, -1
	s_mov_b32 s0, s1
                                        ; implicit-def: $vgpr4
	s_branch .LBB20_833
.LBB20_821:
	s_or_saveexec_b32 s20, s20
                                        ; implicit-def: $sgpr21
	s_delay_alu instid0(SALU_CYCLE_1)
	s_xor_b32 exec_lo, exec_lo, s20
	s_cbranch_execz .LBB20_716
.LBB20_822:
	v_add_f32_e64 v1, 0x46000000, |v0|
	s_and_not1_b32 s19, s19, exec_lo
	s_mov_b32 s21, 0
	s_delay_alu instid0(VALU_DEP_1) | instskip(NEXT) | instid1(VALU_DEP_1)
	v_and_b32_e32 v1, 0xff, v1
	v_cmp_ne_u32_e32 vcc_lo, 0, v1
	s_and_b32 s22, vcc_lo, exec_lo
	s_delay_alu instid0(SALU_CYCLE_1)
	s_or_b32 s19, s19, s22
	s_or_b32 exec_lo, exec_lo, s20
	v_mov_b32_e32 v5, s21
	s_and_saveexec_b32 s20, s19
	s_cbranch_execnz .LBB20_717
	s_branch .LBB20_718
.LBB20_823:
	s_mov_b32 s21, -1
	s_mov_b32 s0, s1
	s_branch .LBB20_827
.LBB20_824:
	s_or_saveexec_b32 s20, s20
                                        ; implicit-def: $sgpr21
	s_delay_alu instid0(SALU_CYCLE_1)
	s_xor_b32 exec_lo, exec_lo, s20
	s_cbranch_execz .LBB20_729
.LBB20_825:
	v_add_f32_e64 v1, 0x42800000, |v0|
	s_and_not1_b32 s19, s19, exec_lo
	s_mov_b32 s21, 0
	s_delay_alu instid0(VALU_DEP_1) | instskip(NEXT) | instid1(VALU_DEP_1)
	v_and_b32_e32 v1, 0xff, v1
	v_cmp_ne_u32_e32 vcc_lo, 0, v1
	s_and_b32 s22, vcc_lo, exec_lo
	s_delay_alu instid0(SALU_CYCLE_1)
	s_or_b32 s19, s19, s22
	s_or_b32 exec_lo, exec_lo, s20
	v_mov_b32_e32 v5, s21
	s_and_saveexec_b32 s20, s19
	s_cbranch_execnz .LBB20_730
	s_branch .LBB20_731
.LBB20_826:
	s_mov_b32 s0, -1
.LBB20_827:
                                        ; implicit-def: $vgpr4
.LBB20_828:
	s_and_b32 vcc_lo, exec_lo, s21
	s_cbranch_vccz .LBB20_832
; %bb.829:
	v_cmp_eq_u16_e32 vcc_lo, 44, v9
	s_cbranch_vccz .LBB20_831
; %bb.830:
	global_load_u8 v2, v[0:1], off
	s_mov_b32 s0, 0
	s_mov_b32 s20, -1
	s_waitcnt vmcnt(0)
	v_lshlrev_b32_e32 v3, 23, v2
	v_cmp_ne_u32_e32 vcc_lo, 0xff, v2
	s_delay_alu instid0(VALU_DEP_2) | instskip(SKIP_1) | instid1(VALU_DEP_2)
	v_cndmask_b32_e32 v3, 0x7f800001, v3, vcc_lo
	v_cmp_ne_u32_e32 vcc_lo, 0, v2
	v_cndmask_b32_e32 v4, 0x400000, v3, vcc_lo
	s_branch .LBB20_832
.LBB20_831:
	s_mov_b32 s0, -1
                                        ; implicit-def: $vgpr4
.LBB20_832:
	s_mov_b32 s21, 0
.LBB20_833:
	s_delay_alu instid0(SALU_CYCLE_1)
	s_and_b32 vcc_lo, exec_lo, s21
	s_cbranch_vccz .LBB20_837
; %bb.834:
	v_cmp_eq_u16_e32 vcc_lo, 29, v9
	s_cbranch_vccz .LBB20_836
; %bb.835:
	global_load_b64 v[2:3], v[0:1], off
	s_mov_b32 s0, 0
	s_mov_b32 s20, -1
	s_mov_b32 s21, 0
	s_waitcnt vmcnt(0)
	v_clz_i32_u32_e32 v4, v3
	s_delay_alu instid0(VALU_DEP_1) | instskip(NEXT) | instid1(VALU_DEP_1)
	v_min_u32_e32 v4, 32, v4
	v_lshlrev_b64 v[2:3], v4, v[2:3]
	s_delay_alu instid0(VALU_DEP_1) | instskip(NEXT) | instid1(VALU_DEP_1)
	v_min_u32_e32 v2, 1, v2
	v_or_b32_e32 v2, v3, v2
	v_sub_nc_u32_e32 v3, 32, v4
	s_delay_alu instid0(VALU_DEP_2) | instskip(NEXT) | instid1(VALU_DEP_1)
	v_cvt_f32_u32_e32 v2, v2
	v_ldexp_f32 v4, v2, v3
	s_branch .LBB20_838
.LBB20_836:
	s_mov_b32 s0, -1
                                        ; implicit-def: $vgpr4
.LBB20_837:
	s_mov_b32 s21, 0
.LBB20_838:
	s_delay_alu instid0(SALU_CYCLE_1)
	s_and_b32 vcc_lo, exec_lo, s21
	s_cbranch_vccz .LBB20_856
; %bb.839:
	v_cmp_gt_i16_e32 vcc_lo, 27, v9
	s_cbranch_vccnz .LBB20_842
; %bb.840:
	v_cmp_lt_i16_e32 vcc_lo, 27, v9
	s_cbranch_vccz .LBB20_843
; %bb.841:
	global_load_b32 v2, v[0:1], off
	s_mov_b32 s20, 0
	s_waitcnt vmcnt(0)
	v_cvt_f32_u32_e32 v4, v2
	s_branch .LBB20_844
.LBB20_842:
	s_mov_b32 s20, -1
                                        ; implicit-def: $vgpr4
	s_branch .LBB20_847
.LBB20_843:
	s_mov_b32 s20, -1
                                        ; implicit-def: $vgpr4
.LBB20_844:
	s_delay_alu instid0(SALU_CYCLE_1)
	s_and_not1_b32 vcc_lo, exec_lo, s20
	s_cbranch_vccnz .LBB20_846
; %bb.845:
	global_load_u16 v2, v[0:1], off
	s_waitcnt vmcnt(0)
	v_cvt_f32_u32_e32 v4, v2
.LBB20_846:
	s_mov_b32 s20, 0
.LBB20_847:
	s_delay_alu instid0(SALU_CYCLE_1)
	s_and_not1_b32 vcc_lo, exec_lo, s20
	s_cbranch_vccnz .LBB20_855
; %bb.848:
	global_load_u8 v2, v[0:1], off
	s_mov_b32 s20, 0
	s_mov_b32 s22, exec_lo
                                        ; implicit-def: $sgpr21
	s_waitcnt vmcnt(0)
	v_cmpx_lt_i16_e32 0x7f, v2
	s_xor_b32 s22, exec_lo, s22
	s_cbranch_execz .LBB20_869
; %bb.849:
	s_mov_b32 s20, -1
	s_mov_b32 s23, exec_lo
                                        ; implicit-def: $sgpr21
	v_cmpx_eq_u16_e32 0x80, v2
; %bb.850:
	s_mov_b32 s21, 0x7f800001
	s_xor_b32 s20, exec_lo, -1
; %bb.851:
	s_or_b32 exec_lo, exec_lo, s23
	s_delay_alu instid0(SALU_CYCLE_1)
	s_and_b32 s20, s20, exec_lo
	s_or_saveexec_b32 s22, s22
	v_mov_b32_e32 v4, s21
	s_xor_b32 exec_lo, exec_lo, s22
	s_cbranch_execnz .LBB20_870
.LBB20_852:
	s_or_b32 exec_lo, exec_lo, s22
	s_and_saveexec_b32 s21, s20
	s_cbranch_execz .LBB20_854
.LBB20_853:
	v_and_b32_e32 v3, 0xffff, v2
	v_lshlrev_b32_e32 v2, 24, v2
	s_delay_alu instid0(VALU_DEP_2) | instskip(NEXT) | instid1(VALU_DEP_2)
	v_and_b32_e32 v4, 7, v3
	v_and_b32_e32 v2, 0x80000000, v2
	s_delay_alu instid0(VALU_DEP_2) | instskip(NEXT) | instid1(VALU_DEP_1)
	v_clz_i32_u32_e32 v5, v4
	v_min_u32_e32 v5, 32, v5
	s_delay_alu instid0(VALU_DEP_1) | instskip(SKIP_1) | instid1(VALU_DEP_2)
	v_subrev_nc_u32_e32 v6, 28, v5
	v_sub_nc_u32_e32 v5, 29, v5
	v_lshlrev_b32_e32 v6, v6, v3
	v_bfe_u32 v3, v3, 3, 4
	s_delay_alu instid0(VALU_DEP_2) | instskip(NEXT) | instid1(VALU_DEP_2)
	v_and_b32_e32 v6, 7, v6
	v_cmp_eq_u32_e32 vcc_lo, 0, v3
	s_delay_alu instid0(VALU_DEP_2) | instskip(NEXT) | instid1(VALU_DEP_1)
	v_dual_cndmask_b32 v3, v3, v5 :: v_dual_cndmask_b32 v4, v4, v6
	v_lshl_add_u32 v3, v3, 23, 0x3b800000
	s_delay_alu instid0(VALU_DEP_2) | instskip(NEXT) | instid1(VALU_DEP_1)
	v_lshlrev_b32_e32 v4, 20, v4
	v_or3_b32 v4, v2, v3, v4
.LBB20_854:
	s_or_b32 exec_lo, exec_lo, s21
.LBB20_855:
	s_mov_b32 s20, -1
.LBB20_856:
	s_mov_b32 s21, 0
.LBB20_857:
	s_delay_alu instid0(SALU_CYCLE_1)
	s_and_b32 vcc_lo, exec_lo, s21
	s_cbranch_vccz .LBB20_890
; %bb.858:
	v_cmp_lt_i16_e32 vcc_lo, 22, v9
	s_cbranch_vccz .LBB20_868
; %bb.859:
	v_cmp_gt_i16_e32 vcc_lo, 24, v9
	s_cbranch_vccnz .LBB20_871
; %bb.860:
	v_cmp_lt_i16_e32 vcc_lo, 24, v9
	s_cbranch_vccz .LBB20_872
; %bb.861:
	global_load_u8 v2, v[0:1], off
	s_mov_b32 s21, exec_lo
                                        ; implicit-def: $sgpr20
	s_waitcnt vmcnt(0)
	v_cmpx_lt_i16_e32 0x7f, v2
	s_xor_b32 s21, exec_lo, s21
	s_cbranch_execz .LBB20_884
; %bb.862:
	s_mov_b32 s19, -1
	s_mov_b32 s22, exec_lo
                                        ; implicit-def: $sgpr20
	v_cmpx_eq_u16_e32 0x80, v2
; %bb.863:
	s_mov_b32 s20, 0x7f800001
	s_xor_b32 s19, exec_lo, -1
; %bb.864:
	s_or_b32 exec_lo, exec_lo, s22
	s_delay_alu instid0(SALU_CYCLE_1)
	s_and_b32 s19, s19, exec_lo
	s_or_saveexec_b32 s21, s21
	v_mov_b32_e32 v4, s20
	s_xor_b32 exec_lo, exec_lo, s21
	s_cbranch_execnz .LBB20_885
.LBB20_865:
	s_or_b32 exec_lo, exec_lo, s21
	s_and_saveexec_b32 s20, s19
	s_cbranch_execz .LBB20_867
.LBB20_866:
	v_and_b32_e32 v3, 0xffff, v2
	v_lshlrev_b32_e32 v2, 24, v2
	s_delay_alu instid0(VALU_DEP_2) | instskip(NEXT) | instid1(VALU_DEP_2)
	v_and_b32_e32 v4, 3, v3
	v_and_b32_e32 v2, 0x80000000, v2
	s_delay_alu instid0(VALU_DEP_2) | instskip(NEXT) | instid1(VALU_DEP_1)
	v_clz_i32_u32_e32 v5, v4
	v_min_u32_e32 v5, 32, v5
	s_delay_alu instid0(VALU_DEP_1) | instskip(SKIP_1) | instid1(VALU_DEP_2)
	v_subrev_nc_u32_e32 v6, 29, v5
	v_sub_nc_u32_e32 v5, 30, v5
	v_lshlrev_b32_e32 v6, v6, v3
	v_bfe_u32 v3, v3, 2, 5
	s_delay_alu instid0(VALU_DEP_2) | instskip(NEXT) | instid1(VALU_DEP_2)
	v_and_b32_e32 v6, 3, v6
	v_cmp_eq_u32_e32 vcc_lo, 0, v3
	s_delay_alu instid0(VALU_DEP_2) | instskip(NEXT) | instid1(VALU_DEP_1)
	v_dual_cndmask_b32 v3, v3, v5 :: v_dual_cndmask_b32 v4, v4, v6
	v_lshl_add_u32 v3, v3, 23, 0x37800000
	s_delay_alu instid0(VALU_DEP_2) | instskip(NEXT) | instid1(VALU_DEP_1)
	v_lshlrev_b32_e32 v4, 21, v4
	v_or3_b32 v4, v2, v3, v4
.LBB20_867:
	s_or_b32 exec_lo, exec_lo, s20
	s_mov_b32 s19, 0
	s_branch .LBB20_873
.LBB20_868:
	s_mov_b32 s19, -1
                                        ; implicit-def: $vgpr4
	s_branch .LBB20_879
.LBB20_869:
	s_or_saveexec_b32 s22, s22
	v_mov_b32_e32 v4, s21
	s_xor_b32 exec_lo, exec_lo, s22
	s_cbranch_execz .LBB20_852
.LBB20_870:
	v_cmp_ne_u16_e32 vcc_lo, 0, v2
	v_mov_b32_e32 v4, 0
	s_and_not1_b32 s20, s20, exec_lo
	s_and_b32 s21, vcc_lo, exec_lo
	s_delay_alu instid0(SALU_CYCLE_1)
	s_or_b32 s20, s20, s21
	s_or_b32 exec_lo, exec_lo, s22
	s_and_saveexec_b32 s21, s20
	s_cbranch_execnz .LBB20_853
	s_branch .LBB20_854
.LBB20_871:
	s_mov_b32 s19, -1
                                        ; implicit-def: $vgpr4
	s_branch .LBB20_876
.LBB20_872:
	s_mov_b32 s19, -1
                                        ; implicit-def: $vgpr4
.LBB20_873:
	s_delay_alu instid0(SALU_CYCLE_1)
	s_and_b32 vcc_lo, exec_lo, s19
	s_cbranch_vccz .LBB20_875
; %bb.874:
	global_load_u8 v2, v[0:1], off
	s_waitcnt vmcnt(0)
	v_lshlrev_b32_e32 v2, 24, v2
	s_delay_alu instid0(VALU_DEP_1) | instskip(NEXT) | instid1(VALU_DEP_1)
	v_and_b32_e32 v3, 0x7f000000, v2
	v_clz_i32_u32_e32 v4, v3
	v_add_nc_u32_e32 v6, 0x1000000, v3
	v_cmp_ne_u32_e32 vcc_lo, 0, v3
	s_delay_alu instid0(VALU_DEP_3) | instskip(NEXT) | instid1(VALU_DEP_1)
	v_min_u32_e32 v4, 32, v4
	v_sub_nc_u32_e64 v4, v4, 4 clamp
	s_delay_alu instid0(VALU_DEP_1) | instskip(SKIP_1) | instid1(VALU_DEP_2)
	v_lshlrev_b32_e32 v5, v4, v3
	v_lshlrev_b32_e32 v4, 23, v4
	v_lshrrev_b32_e32 v5, 4, v5
	s_delay_alu instid0(VALU_DEP_1) | instskip(SKIP_1) | instid1(VALU_DEP_2)
	v_sub_nc_u32_e32 v4, v5, v4
	v_ashrrev_i32_e32 v5, 8, v6
	v_add_nc_u32_e32 v4, 0x3c000000, v4
	s_delay_alu instid0(VALU_DEP_1) | instskip(NEXT) | instid1(VALU_DEP_1)
	v_and_or_b32 v4, 0x7f800000, v5, v4
	v_cndmask_b32_e32 v3, 0, v4, vcc_lo
	s_delay_alu instid0(VALU_DEP_1)
	v_and_or_b32 v4, 0x80000000, v2, v3
.LBB20_875:
	s_mov_b32 s19, 0
.LBB20_876:
	s_delay_alu instid0(SALU_CYCLE_1)
	s_and_not1_b32 vcc_lo, exec_lo, s19
	s_cbranch_vccnz .LBB20_878
; %bb.877:
	global_load_u8 v2, v[0:1], off
	s_waitcnt vmcnt(0)
	v_lshlrev_b32_e32 v3, 25, v2
	v_lshlrev_b16 v2, 8, v2
	s_delay_alu instid0(VALU_DEP_2) | instskip(NEXT) | instid1(VALU_DEP_2)
	v_lshrrev_b32_e32 v4, 4, v3
	v_and_or_b32 v5, 0x7f00, v2, 0.5
	v_bfe_i32 v2, v2, 0, 16
	s_delay_alu instid0(VALU_DEP_3) | instskip(NEXT) | instid1(VALU_DEP_1)
	v_or_b32_e32 v4, 0x70000000, v4
	v_dual_add_f32 v5, -0.5, v5 :: v_dual_mul_f32 v4, 0x7800000, v4
	v_cmp_gt_u32_e32 vcc_lo, 0x8000000, v3
	s_delay_alu instid0(VALU_DEP_2) | instskip(NEXT) | instid1(VALU_DEP_1)
	v_cndmask_b32_e32 v3, v4, v5, vcc_lo
	v_and_or_b32 v4, 0x80000000, v2, v3
.LBB20_878:
	s_mov_b32 s19, 0
	s_mov_b32 s20, -1
.LBB20_879:
	s_and_not1_b32 vcc_lo, exec_lo, s19
	s_mov_b32 s19, 0
	s_cbranch_vccnz .LBB20_890
; %bb.880:
	v_cmp_lt_i16_e32 vcc_lo, 14, v9
	s_cbranch_vccz .LBB20_883
; %bb.881:
	v_cmp_eq_u16_e32 vcc_lo, 15, v9
	s_cbranch_vccz .LBB20_886
; %bb.882:
	global_load_u16 v2, v[0:1], off
	s_mov_b32 s0, 0
	s_mov_b32 s20, -1
	s_waitcnt vmcnt(0)
	v_lshlrev_b32_e32 v4, 16, v2
	s_branch .LBB20_888
.LBB20_883:
	s_mov_b32 s19, -1
	s_branch .LBB20_887
.LBB20_884:
	s_or_saveexec_b32 s21, s21
	v_mov_b32_e32 v4, s20
	s_xor_b32 exec_lo, exec_lo, s21
	s_cbranch_execz .LBB20_865
.LBB20_885:
	v_cmp_ne_u16_e32 vcc_lo, 0, v2
	v_mov_b32_e32 v4, 0
	s_and_not1_b32 s19, s19, exec_lo
	s_and_b32 s20, vcc_lo, exec_lo
	s_delay_alu instid0(SALU_CYCLE_1)
	s_or_b32 s19, s19, s20
	s_or_b32 exec_lo, exec_lo, s21
	s_and_saveexec_b32 s20, s19
	s_cbranch_execnz .LBB20_866
	s_branch .LBB20_867
.LBB20_886:
	s_mov_b32 s0, -1
.LBB20_887:
                                        ; implicit-def: $vgpr4
.LBB20_888:
	s_and_b32 vcc_lo, exec_lo, s19
	s_mov_b32 s19, 0
	s_cbranch_vccz .LBB20_890
; %bb.889:
	v_cmp_ne_u16_e32 vcc_lo, 11, v9
	s_and_not1_b32 s0, s0, exec_lo
	s_mov_b32 s19, -1
                                        ; implicit-def: $vgpr4
	s_and_b32 s21, vcc_lo, exec_lo
	s_delay_alu instid0(SALU_CYCLE_1)
	s_or_b32 s0, s0, s21
.LBB20_890:
	s_mov_b32 s22, 0
.LBB20_891:
	s_and_b32 s21, s20, exec_lo
	s_and_b32 s20, s22, exec_lo
	s_and_not1_b32 s22, s1, exec_lo
	s_and_b32 s23, s0, exec_lo
	s_and_b32 s0, s19, exec_lo
	s_or_b32 s19, s22, s23
.LBB20_892:
	s_or_b32 exec_lo, exec_lo, s11
	s_delay_alu instid0(SALU_CYCLE_1)
	s_and_not1_b32 s1, s1, exec_lo
	s_and_b32 s11, s19, exec_lo
	s_and_b32 s21, s21, exec_lo
	;; [unrolled: 1-line block ×4, first 2 shown]
	s_or_b32 s1, s1, s11
.LBB20_893:
	s_or_b32 exec_lo, exec_lo, s17
	s_delay_alu instid0(SALU_CYCLE_1)
	s_and_not1_b32 s0, s15, exec_lo
	s_and_b32 s11, s18, exec_lo
	s_and_b32 s17, s20, exec_lo
	s_or_b32 s15, s0, s11
	s_and_not1_b32 s11, s14, exec_lo
	s_and_b32 s14, s1, exec_lo
	s_and_b32 s0, s21, exec_lo
	;; [unrolled: 1-line block ×3, first 2 shown]
	s_or_b32 s14, s11, s14
.LBB20_894:
	s_or_b32 exec_lo, exec_lo, s16
	s_delay_alu instid0(SALU_CYCLE_1)
	s_and_not1_b32 s10, s10, exec_lo
	s_and_b32 s11, s15, exec_lo
	s_and_b32 s0, s0, exec_lo
	s_or_b32 s10, s10, s11
	s_and_not1_b32 s11, s12, exec_lo
	s_and_b32 s12, s14, exec_lo
	s_and_b32 s15, s17, exec_lo
	;; [unrolled: 1-line block ×3, first 2 shown]
	s_or_b32 s12, s11, s12
.LBB20_895:
	s_or_b32 exec_lo, exec_lo, s13
	s_mov_b32 s11, 0
	s_and_saveexec_b32 s1, s12
	s_cbranch_execnz .LBB20_907
; %bb.896:
	s_or_b32 exec_lo, exec_lo, s1
	s_and_saveexec_b32 s1, s14
	s_delay_alu instid0(SALU_CYCLE_1)
	s_xor_b32 s1, exec_lo, s1
	s_cbranch_execz .LBB20_898
.LBB20_897:
	global_load_u8 v2, v[0:1], off
	s_or_b32 s0, s0, exec_lo
	s_waitcnt vmcnt(0)
	v_cmp_ne_u16_e32 vcc_lo, 0, v2
	v_cndmask_b32_e64 v4, 0, 1.0, vcc_lo
.LBB20_898:
	s_or_b32 exec_lo, exec_lo, s1
	s_and_saveexec_b32 s1, s15
	s_cbranch_execz .LBB20_946
; %bb.899:
	v_cmp_gt_i16_e32 vcc_lo, 5, v9
	s_cbranch_vccnz .LBB20_904
; %bb.900:
	v_cmp_gt_i16_e32 vcc_lo, 8, v9
	s_cbranch_vccnz .LBB20_905
	;; [unrolled: 3-line block ×3, first 2 shown]
; %bb.902:
	v_cmp_lt_i16_e32 vcc_lo, 9, v9
	s_cbranch_vccz .LBB20_909
; %bb.903:
	global_load_b64 v[2:3], v[0:1], off
	s_mov_b32 s12, 0
	s_waitcnt vmcnt(0)
	v_cvt_f32_f64_e32 v4, v[2:3]
	s_branch .LBB20_910
.LBB20_904:
                                        ; implicit-def: $vgpr4
	s_branch .LBB20_927
.LBB20_905:
                                        ; implicit-def: $vgpr4
	s_branch .LBB20_916
.LBB20_906:
	s_mov_b32 s12, -1
                                        ; implicit-def: $vgpr4
	s_branch .LBB20_913
.LBB20_907:
	s_cbranch_execnz .LBB20_967
; %bb.908:
	s_mov_b32 s11, exec_lo
	s_and_not1_b32 s14, s14, exec_lo
                                        ; implicit-def: $vgpr4
	s_or_b32 exec_lo, exec_lo, s1
	s_and_saveexec_b32 s1, s14
	s_delay_alu instid0(SALU_CYCLE_1)
	s_xor_b32 s1, exec_lo, s1
	s_cbranch_execnz .LBB20_897
	s_branch .LBB20_898
.LBB20_909:
	s_mov_b32 s12, -1
                                        ; implicit-def: $vgpr4
.LBB20_910:
	s_delay_alu instid0(SALU_CYCLE_1)
	s_and_not1_b32 vcc_lo, exec_lo, s12
	s_cbranch_vccnz .LBB20_912
; %bb.911:
	global_load_b32 v4, v[0:1], off
.LBB20_912:
	s_mov_b32 s12, 0
.LBB20_913:
	s_delay_alu instid0(SALU_CYCLE_1)
	s_and_not1_b32 vcc_lo, exec_lo, s12
	s_cbranch_vccnz .LBB20_915
; %bb.914:
	global_load_b32 v2, v[0:1], off
	s_waitcnt vmcnt(0)
	v_cvt_f32_f16_e32 v4, v2
.LBB20_915:
	s_cbranch_execnz .LBB20_926
.LBB20_916:
	v_cmp_gt_i16_e32 vcc_lo, 6, v9
	s_cbranch_vccnz .LBB20_919
; %bb.917:
	v_cmp_lt_i16_e32 vcc_lo, 6, v9
	s_cbranch_vccz .LBB20_920
; %bb.918:
	global_load_b64 v[2:3], v[0:1], off
	s_mov_b32 s12, 0
	s_waitcnt vmcnt(0)
	v_cvt_f32_f64_e32 v4, v[2:3]
	s_branch .LBB20_921
.LBB20_919:
	s_mov_b32 s12, -1
                                        ; implicit-def: $vgpr4
	s_branch .LBB20_924
.LBB20_920:
	s_mov_b32 s12, -1
                                        ; implicit-def: $vgpr4
.LBB20_921:
	s_delay_alu instid0(SALU_CYCLE_1)
	s_and_not1_b32 vcc_lo, exec_lo, s12
	s_cbranch_vccnz .LBB20_923
; %bb.922:
	global_load_b32 v4, v[0:1], off
.LBB20_923:
	s_mov_b32 s12, 0
.LBB20_924:
	s_delay_alu instid0(SALU_CYCLE_1)
	s_and_not1_b32 vcc_lo, exec_lo, s12
	s_cbranch_vccnz .LBB20_926
; %bb.925:
	global_load_u16 v2, v[0:1], off
	s_waitcnt vmcnt(0)
	v_cvt_f32_f16_e32 v4, v2
.LBB20_926:
	s_cbranch_execnz .LBB20_945
.LBB20_927:
	v_cmp_gt_i16_e32 vcc_lo, 2, v9
	s_cbranch_vccnz .LBB20_931
; %bb.928:
	v_cmp_gt_i16_e32 vcc_lo, 3, v9
	s_cbranch_vccnz .LBB20_932
; %bb.929:
	v_cmp_lt_i16_e32 vcc_lo, 3, v9
	s_cbranch_vccz .LBB20_933
; %bb.930:
	global_load_b64 v[2:3], v[0:1], off
	s_mov_b32 s12, 0
	s_waitcnt vmcnt(0)
	v_xor_b32_e32 v4, v2, v3
	v_cls_i32_e32 v5, v3
	s_delay_alu instid0(VALU_DEP_2) | instskip(NEXT) | instid1(VALU_DEP_2)
	v_ashrrev_i32_e32 v4, 31, v4
	v_add_nc_u32_e32 v5, -1, v5
	s_delay_alu instid0(VALU_DEP_2) | instskip(NEXT) | instid1(VALU_DEP_1)
	v_add_nc_u32_e32 v4, 32, v4
	v_min_u32_e32 v4, v5, v4
	s_delay_alu instid0(VALU_DEP_1) | instskip(NEXT) | instid1(VALU_DEP_1)
	v_lshlrev_b64 v[2:3], v4, v[2:3]
	v_min_u32_e32 v2, 1, v2
	s_delay_alu instid0(VALU_DEP_1) | instskip(SKIP_1) | instid1(VALU_DEP_2)
	v_or_b32_e32 v2, v3, v2
	v_sub_nc_u32_e32 v3, 32, v4
	v_cvt_f32_i32_e32 v2, v2
	s_delay_alu instid0(VALU_DEP_1)
	v_ldexp_f32 v4, v2, v3
	s_branch .LBB20_934
.LBB20_931:
                                        ; implicit-def: $vgpr4
	s_branch .LBB20_940
.LBB20_932:
	s_mov_b32 s12, -1
                                        ; implicit-def: $vgpr4
	s_branch .LBB20_937
.LBB20_933:
	s_mov_b32 s12, -1
                                        ; implicit-def: $vgpr4
.LBB20_934:
	s_delay_alu instid0(SALU_CYCLE_1)
	s_and_not1_b32 vcc_lo, exec_lo, s12
	s_cbranch_vccnz .LBB20_936
; %bb.935:
	global_load_b32 v2, v[0:1], off
	s_waitcnt vmcnt(0)
	v_cvt_f32_i32_e32 v4, v2
.LBB20_936:
	s_mov_b32 s12, 0
.LBB20_937:
	s_delay_alu instid0(SALU_CYCLE_1)
	s_and_not1_b32 vcc_lo, exec_lo, s12
	s_cbranch_vccnz .LBB20_939
; %bb.938:
	global_load_i16 v2, v[0:1], off
	s_waitcnt vmcnt(0)
	v_cvt_f32_i32_e32 v4, v2
.LBB20_939:
	s_cbranch_execnz .LBB20_945
.LBB20_940:
	v_cmp_lt_i16_e32 vcc_lo, 0, v9
	s_mov_b32 s12, 0
	s_cbranch_vccz .LBB20_942
; %bb.941:
	global_load_i8 v2, v[0:1], off
	s_waitcnt vmcnt(0)
	v_cvt_f32_i32_e32 v4, v2
	s_branch .LBB20_943
.LBB20_942:
	s_mov_b32 s12, -1
                                        ; implicit-def: $vgpr4
.LBB20_943:
	s_delay_alu instid0(SALU_CYCLE_1)
	s_and_not1_b32 vcc_lo, exec_lo, s12
	s_cbranch_vccnz .LBB20_945
; %bb.944:
	global_load_u8 v0, v[0:1], off
	s_waitcnt vmcnt(0)
	v_cvt_f32_ubyte0_e32 v4, v0
.LBB20_945:
	s_or_b32 s0, s0, exec_lo
.LBB20_946:
	s_or_b32 exec_lo, exec_lo, s1
	s_mov_b32 s13, 0
	s_mov_b32 s1, 0
                                        ; implicit-def: $vgpr5
                                        ; implicit-def: $vgpr2_vgpr3
                                        ; implicit-def: $vgpr0
	s_and_saveexec_b32 s12, s0
	s_cbranch_execz .LBB20_1038
; %bb.947:
	v_mov_b32_e32 v0, 0x7f800000
	s_mov_b32 s13, exec_lo
	s_waitcnt vmcnt(0)
	s_delay_alu instid0(VALU_DEP_2)
	v_cmpx_neq_f32_e32 0, v4
	s_cbranch_execz .LBB20_959
; %bb.948:
	v_mov_b32_e32 v0, 0x7fc00000
	s_mov_b32 s14, exec_lo
	v_cmpx_ngt_f32_e32 0, v4
	s_cbranch_execz .LBB20_958
; %bb.949:
                                        ; implicit-def: $vgpr0
	s_mov_b32 s0, exec_lo
	v_cmpx_ge_f32_e32 2.0, v4
	s_xor_b32 s15, exec_lo, s0
	s_cbranch_execz .LBB20_955
; %bb.950:
	v_mul_f32_e32 v0, 0.5, v4
	s_mov_b32 s0, exec_lo
                                        ; implicit-def: $vgpr2
                                        ; implicit-def: $vgpr1
	v_cmpx_ge_f32_e32 0x41000000, v4
	s_xor_b32 s0, exec_lo, s0
	s_cbranch_execz .LBB20_952
; %bb.951:
	v_add_f32_e32 v1, -2.0, v0
	v_mul_f32_e32 v5, 0x3fb8aa3b, v4
	s_mov_b32 s1, 0x224cf950
	v_cmp_ngt_f32_e32 vcc_lo, 0xc2ce8ed0, v4
	s_delay_alu instid0(VALU_DEP_2) | instskip(SKIP_2) | instid1(VALU_DEP_3)
	v_rndne_f32_e32 v6, v5
	v_fmaak_f32 v2, s1, v1, 0xa3c2be86
	v_fma_f32 v9, 0x3fb8aa3b, v4, -v5
	v_sub_f32_e32 v5, v5, v6
	s_delay_alu instid0(VALU_DEP_3) | instskip(NEXT) | instid1(VALU_DEP_3)
	v_fmaak_f32 v3, v1, v2, 0xa24cf950
	v_fmamk_f32 v9, v4, 0x32a5705f, v9
	s_delay_alu instid0(VALU_DEP_2) | instskip(NEXT) | instid1(VALU_DEP_2)
	v_add_f32_e32 v3, 0x25331f1f, v3
	v_add_f32_e32 v5, v5, v9
	s_delay_alu instid0(VALU_DEP_2) | instskip(NEXT) | instid1(VALU_DEP_1)
	v_fma_f32 v2, v1, v3, -v2
	v_add_f32_e32 v2, 0xa69f5554, v2
	s_delay_alu instid0(VALU_DEP_1) | instskip(NEXT) | instid1(VALU_DEP_1)
	v_fma_f32 v3, v1, v2, -v3
	v_add_f32_e32 v3, 0x2808ebf8, v3
	s_delay_alu instid0(VALU_DEP_1) | instskip(NEXT) | instid1(VALU_DEP_1)
	;; [unrolled: 3-line block ×24, first 2 shown]
	v_fma_f32 v2, v1, v3, -v2
	v_add_f32_e32 v2, 0xbe34a688, v2
	s_delay_alu instid0(VALU_DEP_1) | instskip(SKIP_2) | instid1(VALU_DEP_2)
	v_fma_f32 v1, v1, v2, -v3
	v_exp_f32_e32 v2, v5
	v_cvt_i32_f32_e32 v5, v6
	v_add_f32_e32 v1, 0x3e81531c, v1
	s_delay_alu instid0(VALU_DEP_1) | instskip(SKIP_2) | instid1(VALU_DEP_1)
	v_sub_f32_e32 v1, v1, v3
	s_waitcnt_depctr 0xfff
	v_ldexp_f32 v2, v2, v5
	v_dual_mul_f32 v1, 0.5, v1 :: v_dual_cndmask_b32 v2, 0, v2
	v_cmp_nlt_f32_e32 vcc_lo, 0x42b17218, v4
	s_delay_alu instid0(VALU_DEP_2) | instskip(NEXT) | instid1(VALU_DEP_3)
	v_mul_f32_e32 v3, v4, v1
	v_cndmask_b32_e32 v1, 0x7f800000, v2, vcc_lo
	s_delay_alu instid0(VALU_DEP_1)
	v_mul_f32_e32 v2, v1, v3
.LBB20_952:
	s_and_not1_saveexec_b32 s1, s0
	s_cbranch_execz .LBB20_954
; %bb.953:
	v_div_scale_f32 v1, null, v4, v4, 0x42000000
	v_div_scale_f32 v5, vcc_lo, 0x42000000, v4, 0x42000000
	s_mov_b32 s0, 0x230aab6e
	s_delay_alu instid0(VALU_DEP_2) | instskip(SKIP_2) | instid1(VALU_DEP_1)
	v_rcp_f32_e32 v2, v1
	s_waitcnt_depctr 0xfff
	v_fma_f32 v3, -v1, v2, 1.0
	v_fmac_f32_e32 v2, v3, v2
	s_delay_alu instid0(VALU_DEP_1) | instskip(NEXT) | instid1(VALU_DEP_1)
	v_mul_f32_e32 v3, v5, v2
	v_fma_f32 v6, -v1, v3, v5
	s_delay_alu instid0(VALU_DEP_1) | instskip(NEXT) | instid1(VALU_DEP_1)
	v_dual_fmac_f32 v3, v6, v2 :: v_dual_mul_f32 v6, 0x3fb8aa3b, v4
	v_fma_f32 v1, -v1, v3, v5
	s_delay_alu instid0(VALU_DEP_2) | instskip(SKIP_2) | instid1(VALU_DEP_4)
	v_rndne_f32_e32 v9, v6
	v_fma_f32 v10, 0x3fb8aa3b, v4, -v6
	v_mul_f32_e32 v5, 0x4f800000, v4
	v_div_fmas_f32 v1, v1, v2, v3
	v_cmp_gt_f32_e32 vcc_lo, 0xf800000, v4
	s_delay_alu instid0(VALU_DEP_4) | instskip(SKIP_3) | instid1(VALU_DEP_3)
	v_fmamk_f32 v10, v4, 0x32a5705f, v10
	v_sub_f32_e32 v6, v6, v9
	v_cvt_i32_f32_e32 v9, v9
	v_div_fixup_f32 v1, v1, v4, 0x42000000
	v_dual_cndmask_b32 v5, v4, v5 :: v_dual_add_f32 v6, v6, v10
	s_delay_alu instid0(VALU_DEP_2) | instskip(NEXT) | instid1(VALU_DEP_2)
	v_add_f32_e32 v1, -2.0, v1
	v_sqrt_f32_e32 v11, v5
	s_delay_alu instid0(VALU_DEP_2) | instskip(NEXT) | instid1(VALU_DEP_1)
	v_exp_f32_e32 v6, v6
	v_fmaak_f32 v2, s0, v1, 0x22a2dc57
	s_waitcnt_depctr 0xfff
	v_dual_fmaak_f32 v3, v1, v2, 0xa30aab6e :: v_dual_add_nc_u32 v10, -1, v11
	s_delay_alu instid0(VALU_DEP_1) | instskip(NEXT) | instid1(VALU_DEP_2)
	v_add_f32_e32 v3, 0xa456751e, v3
	v_fma_f32 v13, -v10, v11, v5
	s_delay_alu instid0(VALU_DEP_2) | instskip(NEXT) | instid1(VALU_DEP_2)
	v_fma_f32 v2, v1, v3, -v2
	v_cmp_ge_f32_e64 s0, 0, v13
	s_delay_alu instid0(VALU_DEP_2) | instskip(NEXT) | instid1(VALU_DEP_2)
	v_add_f32_e32 v2, 0xa4140365, v2
	v_cndmask_b32_e64 v10, v11, v10, s0
	s_delay_alu instid0(VALU_DEP_2) | instskip(NEXT) | instid1(VALU_DEP_1)
	v_fma_f32 v3, v1, v2, -v3
	v_add_f32_e32 v3, 0x25aac8b0, v3
	s_delay_alu instid0(VALU_DEP_1) | instskip(NEXT) | instid1(VALU_DEP_1)
	v_fma_f32 v2, v1, v3, -v2
	v_add_f32_e32 v2, 0x25beb473, v2
	s_delay_alu instid0(VALU_DEP_1) | instskip(NEXT) | instid1(VALU_DEP_1)
	;; [unrolled: 3-line block ×19, first 2 shown]
	v_fma_f32 v2, v1, v3, -v2
	v_add_f32_e32 v2, 0xbc1fed03, v2
	s_delay_alu instid0(VALU_DEP_1) | instskip(SKIP_2) | instid1(VALU_DEP_3)
	v_fma_f32 v1, v1, v2, -v3
	v_add_nc_u32_e32 v12, 1, v11
	v_ldexp_f32 v2, v6, v9
	v_add_f32_e32 v1, 0x3f4750c6, v1
	s_delay_alu instid0(VALU_DEP_3) | instskip(NEXT) | instid1(VALU_DEP_2)
	v_fma_f32 v14, -v12, v11, v5
	v_sub_f32_e32 v3, v1, v3
	s_delay_alu instid0(VALU_DEP_2) | instskip(NEXT) | instid1(VALU_DEP_2)
	v_cmp_lt_f32_e64 s0, 0, v14
	v_mul_f32_e32 v3, 0.5, v3
	s_delay_alu instid0(VALU_DEP_2) | instskip(SKIP_1) | instid1(VALU_DEP_2)
	v_cndmask_b32_e64 v6, v10, v12, s0
	v_cmp_ngt_f32_e64 s0, 0xc2ce8ed0, v4
	v_mul_f32_e32 v9, 0x37800000, v6
	s_delay_alu instid0(VALU_DEP_2) | instskip(SKIP_1) | instid1(VALU_DEP_1)
	v_cndmask_b32_e64 v2, 0, v2, s0
	v_cmp_nlt_f32_e64 s0, 0x42b17218, v4
	v_cndmask_b32_e64 v1, 0x7f800000, v2, s0
	s_delay_alu instid0(VALU_DEP_4) | instskip(SKIP_1) | instid1(VALU_DEP_2)
	v_cndmask_b32_e32 v2, v6, v9, vcc_lo
	v_cmp_class_f32_e64 vcc_lo, v5, 0x260
	v_dual_mul_f32 v3, v1, v3 :: v_dual_cndmask_b32 v2, v2, v5
	s_delay_alu instid0(VALU_DEP_1) | instskip(NEXT) | instid1(VALU_DEP_1)
	v_div_scale_f32 v5, null, v2, v2, v3
	v_rcp_f32_e32 v6, v5
	s_waitcnt_depctr 0xfff
	v_fma_f32 v9, -v5, v6, 1.0
	s_delay_alu instid0(VALU_DEP_1) | instskip(SKIP_1) | instid1(VALU_DEP_1)
	v_fmac_f32_e32 v6, v9, v6
	v_div_scale_f32 v9, vcc_lo, v3, v2, v3
	v_mul_f32_e32 v10, v9, v6
	s_delay_alu instid0(VALU_DEP_1) | instskip(NEXT) | instid1(VALU_DEP_1)
	v_fma_f32 v11, -v5, v10, v9
	v_fmac_f32_e32 v10, v11, v6
	s_delay_alu instid0(VALU_DEP_1) | instskip(NEXT) | instid1(VALU_DEP_1)
	v_fma_f32 v5, -v5, v10, v9
	v_div_fmas_f32 v5, v5, v6, v10
	s_delay_alu instid0(VALU_DEP_1)
	v_div_fixup_f32 v2, v5, v2, v3
.LBB20_954:
	s_or_b32 exec_lo, exec_lo, s1
	v_fma_f32 v3, v4, v4, -2.0
	s_mov_b32 s0, 0xa3019142
	v_cmp_gt_f32_e32 vcc_lo, 0x800000, v0
	s_delay_alu instid0(VALU_DEP_2) | instskip(NEXT) | instid1(VALU_DEP_1)
	v_fmaak_f32 v5, s0, v3, 0xa72eea8c
	v_fmaak_f32 v6, v3, v5, 0x23019142
	s_delay_alu instid0(VALU_DEP_1) | instskip(NEXT) | instid1(VALU_DEP_1)
	v_add_f32_e32 v6, 0xab3ba817, v6
	v_fma_f32 v5, v3, v6, -v5
	s_delay_alu instid0(VALU_DEP_1) | instskip(NEXT) | instid1(VALU_DEP_1)
	v_add_f32_e32 v5, 0xaf1b31de, v5
	v_fma_f32 v6, v3, v5, -v6
	;; [unrolled: 3-line block ×8, first 2 shown]
	s_delay_alu instid0(VALU_DEP_1) | instskip(NEXT) | instid1(VALU_DEP_1)
	v_add_f32_e32 v3, 0x3fc33d0a, v3
	v_sub_f32_e32 v3, v3, v6
	v_cndmask_b32_e64 v6, 1.0, 0x4f800000, vcc_lo
	s_delay_alu instid0(VALU_DEP_1) | instskip(NEXT) | instid1(VALU_DEP_1)
	v_dual_mul_f32 v3, 0.5, v3 :: v_dual_mul_f32 v0, v0, v6
	v_div_scale_f32 v5, null, v4, v4, v3
	s_delay_alu instid0(VALU_DEP_2) | instskip(SKIP_1) | instid1(VALU_DEP_2)
	v_log_f32_e32 v0, v0
	v_div_scale_f32 v10, s0, v3, v4, v3
	v_rcp_f32_e32 v9, v5
	s_waitcnt_depctr 0xfff
	v_cmp_gt_f32_e64 s1, 0x7f800000, |v0|
	v_fma_f32 v6, -v5, v9, 1.0
	s_delay_alu instid0(VALU_DEP_1) | instskip(NEXT) | instid1(VALU_DEP_1)
	v_dual_fmac_f32 v9, v6, v9 :: v_dual_mul_f32 v6, 0x3f317217, v0
	v_fma_f32 v12, 0x3f317217, v0, -v6
	s_delay_alu instid0(VALU_DEP_1) | instskip(NEXT) | instid1(VALU_DEP_1)
	v_dual_fmamk_f32 v12, v0, 0x3377d1cf, v12 :: v_dual_mul_f32 v11, v10, v9
	v_add_f32_e32 v6, v6, v12
	s_delay_alu instid0(VALU_DEP_2) | instskip(NEXT) | instid1(VALU_DEP_2)
	v_fma_f32 v13, -v5, v11, v10
	v_cndmask_b32_e64 v0, v0, v6, s1
	s_delay_alu instid0(VALU_DEP_2) | instskip(SKIP_2) | instid1(VALU_DEP_2)
	v_fmac_f32_e32 v11, v13, v9
	v_cndmask_b32_e64 v6, 0, 0x41b17218, vcc_lo
	s_mov_b32 vcc_lo, s0
	v_fma_f32 v5, -v5, v11, v10
	s_delay_alu instid0(VALU_DEP_2) | instskip(NEXT) | instid1(VALU_DEP_2)
	v_sub_f32_e32 v0, v0, v6
	v_div_fmas_f32 v5, v5, v9, v11
	s_delay_alu instid0(VALU_DEP_1) | instskip(NEXT) | instid1(VALU_DEP_1)
	v_div_fixup_f32 v3, v5, v4, v3
                                        ; implicit-def: $vgpr4
	v_fmac_f32_e32 v3, v0, v2
	s_delay_alu instid0(VALU_DEP_1)
	v_mul_f32_e32 v0, v1, v3
.LBB20_955:
	s_and_not1_saveexec_b32 s1, s15
	s_cbranch_execz .LBB20_957
; %bb.956:
	v_div_scale_f32 v0, null, v4, v4, 0x41000000
	v_div_scale_f32 v3, vcc_lo, 0x41000000, v4, 0x41000000
	s_mov_b32 s0, 0xa2d462ea
	s_delay_alu instid0(VALU_DEP_2) | instskip(SKIP_2) | instid1(VALU_DEP_1)
	v_rcp_f32_e32 v1, v0
	s_waitcnt_depctr 0xfff
	v_fma_f32 v2, -v0, v1, 1.0
	v_fmac_f32_e32 v1, v2, v1
	s_delay_alu instid0(VALU_DEP_1) | instskip(NEXT) | instid1(VALU_DEP_1)
	v_mul_f32_e32 v2, v3, v1
	v_fma_f32 v5, -v0, v2, v3
	s_delay_alu instid0(VALU_DEP_1) | instskip(NEXT) | instid1(VALU_DEP_1)
	v_fmac_f32_e32 v2, v5, v1
	v_fma_f32 v0, -v0, v2, v3
	v_mul_f32_e32 v3, 0x4f800000, v4
	s_delay_alu instid0(VALU_DEP_2) | instskip(SKIP_1) | instid1(VALU_DEP_2)
	v_div_fmas_f32 v0, v0, v1, v2
	v_cmp_gt_f32_e32 vcc_lo, 0xf800000, v4
	v_div_fixup_f32 v0, v0, v4, 0x41000000
	s_delay_alu instid0(VALU_DEP_1) | instskip(NEXT) | instid1(VALU_DEP_1)
	v_dual_cndmask_b32 v3, v4, v3 :: v_dual_add_f32 v0, -2.0, v0
	v_sqrt_f32_e32 v4, v3
	s_delay_alu instid0(VALU_DEP_1) | instskip(SKIP_3) | instid1(VALU_DEP_2)
	v_fmaak_f32 v1, s0, v0, 0x23a578d4
	s_waitcnt_depctr 0xfff
	v_dual_fmaak_f32 v2, v0, v1, 0x22d462ea :: v_dual_add_nc_u32 v5, -1, v4
	v_add_nc_u32_e32 v6, 1, v4
	v_fma_f32 v9, -v5, v4, v3
	s_delay_alu instid0(VALU_DEP_2) | instskip(NEXT) | instid1(VALU_DEP_2)
	v_fma_f32 v10, -v6, v4, v3
	v_cmp_ge_f32_e64 s0, 0, v9
	s_delay_alu instid0(VALU_DEP_1) | instskip(NEXT) | instid1(VALU_DEP_3)
	v_cndmask_b32_e64 v4, v4, v5, s0
	v_cmp_lt_f32_e64 s0, 0, v10
	s_delay_alu instid0(VALU_DEP_1) | instskip(SKIP_1) | instid1(VALU_DEP_1)
	v_cndmask_b32_e64 v4, v4, v6, s0
	v_add_f32_e32 v2, 0xa48330a9, v2
	v_fma_f32 v1, v0, v2, -v1
	s_delay_alu instid0(VALU_DEP_1) | instskip(NEXT) | instid1(VALU_DEP_1)
	v_add_f32_e32 v1, 0x2553eaf2, v1
	v_fma_f32 v2, v0, v1, -v2
	s_delay_alu instid0(VALU_DEP_1) | instskip(NEXT) | instid1(VALU_DEP_1)
	;; [unrolled: 3-line block ×21, first 2 shown]
	v_add_f32_e32 v1, 0x3dd4d5f8, v1
	v_fma_f32 v0, v0, v1, -v2
	v_mul_f32_e32 v1, 0x37800000, v4
	s_delay_alu instid0(VALU_DEP_1) | instskip(SKIP_1) | instid1(VALU_DEP_2)
	v_dual_add_f32 v0, 0x402e1ebd, v0 :: v_dual_cndmask_b32 v1, v4, v1
	v_cmp_class_f32_e64 vcc_lo, v3, 0x260
	v_dual_sub_f32 v0, v0, v2 :: v_dual_cndmask_b32 v1, v1, v3
	s_delay_alu instid0(VALU_DEP_1) | instskip(NEXT) | instid1(VALU_DEP_1)
	v_mul_f32_e32 v0, 0.5, v0
	v_div_scale_f32 v2, null, v1, v1, v0
	s_delay_alu instid0(VALU_DEP_1) | instskip(SKIP_2) | instid1(VALU_DEP_1)
	v_rcp_f32_e32 v3, v2
	s_waitcnt_depctr 0xfff
	v_fma_f32 v4, -v2, v3, 1.0
	v_fmac_f32_e32 v3, v4, v3
	v_div_scale_f32 v4, vcc_lo, v0, v1, v0
	s_delay_alu instid0(VALU_DEP_1) | instskip(NEXT) | instid1(VALU_DEP_1)
	v_mul_f32_e32 v5, v4, v3
	v_fma_f32 v6, -v2, v5, v4
	s_delay_alu instid0(VALU_DEP_1) | instskip(NEXT) | instid1(VALU_DEP_1)
	v_fmac_f32_e32 v5, v6, v3
	v_fma_f32 v2, -v2, v5, v4
	s_delay_alu instid0(VALU_DEP_1) | instskip(NEXT) | instid1(VALU_DEP_1)
	v_div_fmas_f32 v2, v2, v3, v5
	v_div_fixup_f32 v0, v2, v1, v0
.LBB20_957:
	s_or_b32 exec_lo, exec_lo, s1
.LBB20_958:
	s_delay_alu instid0(SALU_CYCLE_1)
	s_or_b32 exec_lo, exec_lo, s14
.LBB20_959:
	s_delay_alu instid0(SALU_CYCLE_1) | instskip(SKIP_2) | instid1(VALU_DEP_1)
	s_or_b32 exec_lo, exec_lo, s13
	v_mul_lo_u32 v1, v8, s2
	v_and_b32_e32 v5, 0xff, v7
	v_cmp_gt_i16_e32 vcc_lo, 11, v5
	s_delay_alu instid0(VALU_DEP_3) | instskip(SKIP_1) | instid1(VALU_DEP_1)
	v_ashrrev_i32_e32 v3, 31, v1
	v_add_co_u32 v2, s0, s4, v1
	v_add_co_ci_u32_e64 v3, s0, s5, v3, s0
	s_cbranch_vccnz .LBB20_966
; %bb.960:
	v_cmp_lt_i16_e32 vcc_lo, 25, v5
	s_mov_b32 s1, -1
	s_mov_b32 s0, s10
	s_cbranch_vccz .LBB20_996
; %bb.961:
	v_cmp_lt_i16_e32 vcc_lo, 28, v5
	s_mov_b32 s0, s10
	s_cbranch_vccz .LBB20_980
; %bb.962:
	v_cmp_lt_i16_e32 vcc_lo, 43, v5
	;; [unrolled: 4-line block ×3, first 2 shown]
	s_mov_b32 s0, s10
	s_cbranch_vccz .LBB20_970
; %bb.964:
	v_cmp_eq_u16_e32 vcc_lo, 46, v5
	s_mov_b32 s0, -1
	s_cbranch_vccz .LBB20_969
; %bb.965:
	v_bfe_u32 v1, v0, 16, 1
	v_cmp_o_f32_e32 vcc_lo, v0, v0
	s_mov_b32 s0, 0
	s_mov_b32 s1, 0
	s_delay_alu instid0(VALU_DEP_2) | instskip(NEXT) | instid1(VALU_DEP_1)
	v_add3_u32 v1, v0, v1, 0x7fff
	v_lshrrev_b32_e32 v1, 16, v1
	s_delay_alu instid0(VALU_DEP_1)
	v_cndmask_b32_e32 v1, 0x7fc0, v1, vcc_lo
	global_store_b32 v[2:3], v1, off
	s_branch .LBB20_970
.LBB20_966:
	s_mov_b32 s13, 0
	s_mov_b32 s1, -1
	s_mov_b32 s0, s10
	s_branch .LBB20_1037
.LBB20_967:
	s_trap 2
	s_sendmsg_rtn_b32 s0, sendmsg(MSG_RTN_GET_DOORBELL)
	s_mov_b32 ttmp2, m0
	s_waitcnt lgkmcnt(0)
	s_and_b32 s0, s0, 0x3ff
	s_delay_alu instid0(SALU_CYCLE_1) | instskip(NEXT) | instid1(SALU_CYCLE_1)
	s_bitset1_b32 s0, 10
	s_mov_b32 m0, s0
	s_sendmsg sendmsg(MSG_INTERRUPT)
	s_mov_b32 m0, ttmp2
.LBB20_968:                             ; =>This Inner Loop Header: Depth=1
	s_sethalt 5
	s_branch .LBB20_968
.LBB20_969:
	s_mov_b32 s1, 0
.LBB20_970:
	s_delay_alu instid0(SALU_CYCLE_1)
	s_and_b32 vcc_lo, exec_lo, s1
	s_cbranch_vccz .LBB20_975
; %bb.971:
	v_cmp_eq_u16_e32 vcc_lo, 44, v5
	s_mov_b32 s0, -1
	s_cbranch_vccz .LBB20_975
; %bb.972:
	v_bfe_u32 v4, v0, 23, 8
	v_mov_b32_e32 v1, 0xff
	s_mov_b32 s1, exec_lo
	s_delay_alu instid0(VALU_DEP_2)
	v_cmpx_ne_u32_e32 0xff, v4
; %bb.973:
	v_and_b32_e32 v1, 0x400000, v0
	v_and_or_b32 v4, 0x3fffff, v0, v4
	s_delay_alu instid0(VALU_DEP_2) | instskip(NEXT) | instid1(VALU_DEP_2)
	v_cmp_ne_u32_e32 vcc_lo, 0, v1
	v_cmp_ne_u32_e64 s0, 0, v4
	v_lshrrev_b32_e32 v1, 23, v0
	s_delay_alu instid0(VALU_DEP_2) | instskip(NEXT) | instid1(SALU_CYCLE_1)
	s_and_b32 s0, vcc_lo, s0
	v_cndmask_b32_e64 v4, 0, 1, s0
	s_delay_alu instid0(VALU_DEP_1)
	v_add_nc_u32_e32 v1, v1, v4
; %bb.974:
	s_or_b32 exec_lo, exec_lo, s1
	s_mov_b32 s0, 0
	global_store_b8 v[2:3], v1, off
.LBB20_975:
	s_mov_b32 s1, 0
.LBB20_976:
	s_delay_alu instid0(SALU_CYCLE_1)
	s_and_b32 vcc_lo, exec_lo, s1
	s_cbranch_vccz .LBB20_979
; %bb.977:
	v_cmp_eq_u16_e32 vcc_lo, 29, v5
	s_mov_b32 s0, -1
	s_cbranch_vccz .LBB20_979
; %bb.978:
	v_trunc_f32_e32 v1, v0
	s_mov_b32 s0, 0
	s_mov_b32 s1, 0
	s_delay_alu instid0(VALU_DEP_1) | instskip(NEXT) | instid1(VALU_DEP_1)
	v_mul_f32_e32 v4, 0x2f800000, v1
	v_floor_f32_e32 v4, v4
	s_delay_alu instid0(VALU_DEP_1) | instskip(SKIP_1) | instid1(VALU_DEP_2)
	v_fmamk_f32 v1, v4, 0xcf800000, v1
	v_cvt_u32_f32_e32 v7, v4
	v_cvt_u32_f32_e32 v6, v1
	global_store_b64 v[2:3], v[6:7], off
	s_branch .LBB20_980
.LBB20_979:
	s_mov_b32 s1, 0
.LBB20_980:
	s_delay_alu instid0(SALU_CYCLE_1)
	s_and_b32 vcc_lo, exec_lo, s1
	s_cbranch_vccz .LBB20_995
; %bb.981:
	v_cmp_gt_i16_e32 vcc_lo, 27, v5
	s_mov_b32 s1, -1
	s_cbranch_vccnz .LBB20_987
; %bb.982:
	v_cmp_lt_i16_e32 vcc_lo, 27, v5
	v_cvt_u32_f32_e32 v1, v0
	s_cbranch_vccz .LBB20_984
; %bb.983:
	s_mov_b32 s1, 0
	global_store_b32 v[2:3], v1, off
.LBB20_984:
	s_and_not1_b32 vcc_lo, exec_lo, s1
	s_cbranch_vccnz .LBB20_986
; %bb.985:
	global_store_b16 v[2:3], v1, off
.LBB20_986:
	s_mov_b32 s1, 0
.LBB20_987:
	s_delay_alu instid0(SALU_CYCLE_1)
	s_and_not1_b32 vcc_lo, exec_lo, s1
	s_cbranch_vccnz .LBB20_995
; %bb.988:
	v_and_b32_e32 v1, 0x7fffffff, v0
	v_mov_b32_e32 v4, 0x80
	s_mov_b32 s1, exec_lo
	s_delay_alu instid0(VALU_DEP_2)
	v_cmpx_gt_u32_e32 0x43800000, v1
	s_cbranch_execz .LBB20_994
; %bb.989:
	v_cmp_lt_u32_e32 vcc_lo, 0x3bffffff, v1
	s_mov_b32 s13, 0
                                        ; implicit-def: $vgpr1
	s_and_saveexec_b32 s14, vcc_lo
	s_delay_alu instid0(SALU_CYCLE_1)
	s_xor_b32 s14, exec_lo, s14
	s_cbranch_execz .LBB20_1241
; %bb.990:
	v_bfe_u32 v1, v0, 20, 1
	s_mov_b32 s13, exec_lo
	s_delay_alu instid0(VALU_DEP_1) | instskip(NEXT) | instid1(VALU_DEP_1)
	v_add3_u32 v1, v0, v1, 0x487ffff
	v_lshrrev_b32_e32 v1, 20, v1
	s_or_saveexec_b32 s14, s14
                                        ; implicit-def: $sgpr15
	s_delay_alu instid0(SALU_CYCLE_1)
	s_xor_b32 exec_lo, exec_lo, s14
	s_cbranch_execnz .LBB20_1242
.LBB20_991:
	s_or_b32 exec_lo, exec_lo, s14
	v_mov_b32_e32 v4, s15
	s_and_saveexec_b32 s14, s13
.LBB20_992:
	v_lshrrev_b32_e32 v4, 24, v0
	s_delay_alu instid0(VALU_DEP_1)
	v_and_or_b32 v4, 0x80, v4, v1
.LBB20_993:
	s_or_b32 exec_lo, exec_lo, s14
.LBB20_994:
	s_delay_alu instid0(SALU_CYCLE_1)
	s_or_b32 exec_lo, exec_lo, s1
	global_store_b8 v[2:3], v4, off
.LBB20_995:
	s_mov_b32 s1, 0
.LBB20_996:
	s_delay_alu instid0(SALU_CYCLE_1)
	s_and_b32 vcc_lo, exec_lo, s1
	s_mov_b32 s1, 0
	s_cbranch_vccz .LBB20_1036
; %bb.997:
	v_cmp_lt_i16_e32 vcc_lo, 22, v5
	s_mov_b32 s13, -1
	s_cbranch_vccz .LBB20_1029
; %bb.998:
	v_cmp_gt_i16_e32 vcc_lo, 24, v5
	s_cbranch_vccnz .LBB20_1018
; %bb.999:
	v_cmp_lt_i16_e32 vcc_lo, 24, v5
	s_cbranch_vccz .LBB20_1007
; %bb.1000:
	v_and_b32_e32 v1, 0x7fffffff, v0
	v_mov_b32_e32 v4, 0x80
	s_mov_b32 s13, exec_lo
	s_delay_alu instid0(VALU_DEP_2)
	v_cmpx_gt_u32_e32 0x47800000, v1
	s_cbranch_execz .LBB20_1006
; %bb.1001:
	v_cmp_lt_u32_e32 vcc_lo, 0x37ffffff, v1
	s_mov_b32 s14, 0
                                        ; implicit-def: $vgpr1
	s_and_saveexec_b32 s15, vcc_lo
	s_delay_alu instid0(SALU_CYCLE_1)
	s_xor_b32 s15, exec_lo, s15
	s_cbranch_execz .LBB20_1285
; %bb.1002:
	v_bfe_u32 v1, v0, 21, 1
	s_mov_b32 s14, exec_lo
	s_delay_alu instid0(VALU_DEP_1) | instskip(NEXT) | instid1(VALU_DEP_1)
	v_add3_u32 v1, v0, v1, 0x88fffff
	v_lshrrev_b32_e32 v1, 21, v1
	s_or_saveexec_b32 s15, s15
                                        ; implicit-def: $sgpr16
	s_delay_alu instid0(SALU_CYCLE_1)
	s_xor_b32 exec_lo, exec_lo, s15
	s_cbranch_execnz .LBB20_1286
.LBB20_1003:
	s_or_b32 exec_lo, exec_lo, s15
	v_mov_b32_e32 v4, s16
	s_and_saveexec_b32 s15, s14
.LBB20_1004:
	v_lshrrev_b32_e32 v4, 24, v0
	s_delay_alu instid0(VALU_DEP_1)
	v_and_or_b32 v4, 0x80, v4, v1
.LBB20_1005:
	s_or_b32 exec_lo, exec_lo, s15
.LBB20_1006:
	s_delay_alu instid0(SALU_CYCLE_1)
	s_or_b32 exec_lo, exec_lo, s13
	s_mov_b32 s13, 0
	global_store_b8 v[2:3], v4, off
.LBB20_1007:
	s_and_b32 vcc_lo, exec_lo, s13
	s_cbranch_vccz .LBB20_1017
; %bb.1008:
	v_and_b32_e32 v4, 0x7fffffff, v0
	s_mov_b32 s13, exec_lo
                                        ; implicit-def: $vgpr1
	s_delay_alu instid0(VALU_DEP_1)
	v_cmpx_gt_u32_e32 0x43f00000, v4
	s_xor_b32 s13, exec_lo, s13
	s_cbranch_execz .LBB20_1014
; %bb.1009:
	s_mov_b32 s14, exec_lo
                                        ; implicit-def: $vgpr1
	v_cmpx_lt_u32_e32 0x3c7fffff, v4
	s_xor_b32 s14, exec_lo, s14
; %bb.1010:
	v_bfe_u32 v1, v0, 20, 1
	s_delay_alu instid0(VALU_DEP_1) | instskip(NEXT) | instid1(VALU_DEP_1)
	v_add3_u32 v1, v0, v1, 0x407ffff
	v_and_b32_e32 v4, 0xff00000, v1
	v_lshrrev_b32_e32 v1, 20, v1
	s_delay_alu instid0(VALU_DEP_2) | instskip(NEXT) | instid1(VALU_DEP_2)
	v_cmp_ne_u32_e32 vcc_lo, 0x7f00000, v4
	v_cndmask_b32_e32 v1, 0x7e, v1, vcc_lo
; %bb.1011:
	s_and_not1_saveexec_b32 s14, s14
; %bb.1012:
	v_add_f32_e64 v1, 0x46800000, |v0|
; %bb.1013:
	s_or_b32 exec_lo, exec_lo, s14
                                        ; implicit-def: $vgpr4
.LBB20_1014:
	s_and_not1_saveexec_b32 s13, s13
; %bb.1015:
	v_mov_b32_e32 v1, 0x7f
	v_cmp_lt_u32_e32 vcc_lo, 0x7f800000, v4
	s_delay_alu instid0(VALU_DEP_2)
	v_cndmask_b32_e32 v1, 0x7e, v1, vcc_lo
; %bb.1016:
	s_or_b32 exec_lo, exec_lo, s13
	v_lshrrev_b32_e32 v4, 24, v0
	s_delay_alu instid0(VALU_DEP_1)
	v_and_or_b32 v1, 0x80, v4, v1
	global_store_b8 v[2:3], v1, off
.LBB20_1017:
	s_mov_b32 s13, 0
.LBB20_1018:
	s_delay_alu instid0(SALU_CYCLE_1)
	s_and_not1_b32 vcc_lo, exec_lo, s13
	s_cbranch_vccnz .LBB20_1028
; %bb.1019:
	v_and_b32_e32 v4, 0x7fffffff, v0
	s_mov_b32 s13, exec_lo
                                        ; implicit-def: $vgpr1
	s_delay_alu instid0(VALU_DEP_1)
	v_cmpx_gt_u32_e32 0x47800000, v4
	s_xor_b32 s13, exec_lo, s13
	s_cbranch_execz .LBB20_1025
; %bb.1020:
	s_mov_b32 s14, exec_lo
                                        ; implicit-def: $vgpr1
	v_cmpx_lt_u32_e32 0x387fffff, v4
	s_xor_b32 s14, exec_lo, s14
; %bb.1021:
	v_bfe_u32 v1, v0, 21, 1
	s_delay_alu instid0(VALU_DEP_1) | instskip(NEXT) | instid1(VALU_DEP_1)
	v_add3_u32 v1, v0, v1, 0x80fffff
	v_lshrrev_b32_e32 v1, 21, v1
; %bb.1022:
	s_and_not1_saveexec_b32 s14, s14
; %bb.1023:
	v_add_f32_e64 v1, 0x43000000, |v0|
; %bb.1024:
	s_or_b32 exec_lo, exec_lo, s14
                                        ; implicit-def: $vgpr4
.LBB20_1025:
	s_and_not1_saveexec_b32 s13, s13
; %bb.1026:
	v_mov_b32_e32 v1, 0x7f
	v_cmp_lt_u32_e32 vcc_lo, 0x7f800000, v4
	s_delay_alu instid0(VALU_DEP_2)
	v_cndmask_b32_e32 v1, 0x7c, v1, vcc_lo
; %bb.1027:
	s_or_b32 exec_lo, exec_lo, s13
	v_lshrrev_b32_e32 v4, 24, v0
	s_delay_alu instid0(VALU_DEP_1)
	v_and_or_b32 v1, 0x80, v4, v1
	global_store_b8 v[2:3], v1, off
.LBB20_1028:
	s_mov_b32 s13, 0
.LBB20_1029:
	s_delay_alu instid0(SALU_CYCLE_1)
	s_and_not1_b32 vcc_lo, exec_lo, s13
	s_mov_b32 s13, 0
	s_cbranch_vccnz .LBB20_1037
; %bb.1030:
	v_cmp_lt_i16_e32 vcc_lo, 14, v5
	s_mov_b32 s13, -1
	s_cbranch_vccz .LBB20_1034
; %bb.1031:
	v_cmp_eq_u16_e32 vcc_lo, 15, v5
	s_mov_b32 s0, -1
	s_cbranch_vccz .LBB20_1033
; %bb.1032:
	v_bfe_u32 v1, v0, 16, 1
	v_cmp_o_f32_e32 vcc_lo, v0, v0
	s_mov_b32 s0, 0
	s_delay_alu instid0(VALU_DEP_2) | instskip(NEXT) | instid1(VALU_DEP_1)
	v_add3_u32 v1, v0, v1, 0x7fff
	v_lshrrev_b32_e32 v1, 16, v1
	s_delay_alu instid0(VALU_DEP_1)
	v_cndmask_b32_e32 v1, 0x7fc0, v1, vcc_lo
	global_store_b16 v[2:3], v1, off
.LBB20_1033:
	s_mov_b32 s13, 0
.LBB20_1034:
	s_delay_alu instid0(SALU_CYCLE_1)
	s_and_b32 vcc_lo, exec_lo, s13
	s_mov_b32 s13, 0
	s_cbranch_vccz .LBB20_1037
; %bb.1035:
	v_cmp_ne_u16_e32 vcc_lo, 11, v5
	s_and_not1_b32 s0, s0, exec_lo
	s_mov_b32 s13, -1
	s_and_b32 s14, vcc_lo, exec_lo
	s_delay_alu instid0(SALU_CYCLE_1)
	s_or_b32 s0, s0, s14
	s_branch .LBB20_1037
.LBB20_1036:
	s_mov_b32 s13, 0
.LBB20_1037:
	s_and_not1_b32 s10, s10, exec_lo
	s_and_b32 s0, s0, exec_lo
	s_and_b32 s1, s1, exec_lo
	;; [unrolled: 1-line block ×3, first 2 shown]
	s_or_b32 s10, s10, s0
.LBB20_1038:
	s_or_b32 exec_lo, exec_lo, s12
	s_and_saveexec_b32 s0, s10
	s_cbranch_execnz .LBB20_1100
; %bb.1039:
	s_or_b32 exec_lo, exec_lo, s0
	s_and_saveexec_b32 s0, s13
	s_delay_alu instid0(SALU_CYCLE_1)
	s_xor_b32 s0, exec_lo, s0
	s_cbranch_execz .LBB20_1041
.LBB20_1040:
	v_cmp_neq_f32_e32 vcc_lo, 0, v0
	v_cndmask_b32_e64 v1, 0, 1, vcc_lo
	s_waitcnt vmcnt(0)
	global_store_b8 v[2:3], v1, off
.LBB20_1041:
	s_or_b32 exec_lo, exec_lo, s0
	s_and_saveexec_b32 s0, s1
	s_delay_alu instid0(SALU_CYCLE_1)
	s_xor_b32 s0, exec_lo, s0
	s_cbranch_execz .LBB20_1079
; %bb.1042:
	v_cmp_gt_i16_e32 vcc_lo, 5, v5
	s_mov_b32 s1, -1
	s_cbranch_vccnz .LBB20_1063
; %bb.1043:
	v_cmp_gt_i16_e32 vcc_lo, 8, v5
	s_cbranch_vccnz .LBB20_1053
; %bb.1044:
	v_cmp_gt_i16_e32 vcc_lo, 9, v5
	s_cbranch_vccnz .LBB20_1050
; %bb.1045:
	v_cmp_lt_i16_e32 vcc_lo, 9, v5
	s_cbranch_vccz .LBB20_1047
; %bb.1046:
	v_cvt_f64_f32_e32 v[6:7], v0
	v_mov_b32_e32 v8, 0
	s_mov_b32 s1, 0
	s_delay_alu instid0(VALU_DEP_1)
	v_mov_b32_e32 v9, v8
	s_waitcnt vmcnt(0)
	global_store_b128 v[2:3], v[6:9], off
.LBB20_1047:
	s_and_not1_b32 vcc_lo, exec_lo, s1
	s_cbranch_vccnz .LBB20_1049
; %bb.1048:
	v_mov_b32_e32 v1, 0
	s_waitcnt vmcnt(0)
	global_store_b64 v[2:3], v[0:1], off
.LBB20_1049:
	s_mov_b32 s1, 0
.LBB20_1050:
	s_delay_alu instid0(SALU_CYCLE_1)
	s_and_not1_b32 vcc_lo, exec_lo, s1
	s_cbranch_vccnz .LBB20_1052
; %bb.1051:
	v_cvt_f16_f32_e32 v1, v0
	s_delay_alu instid0(VALU_DEP_1)
	v_and_b32_e32 v1, 0xffff, v1
	s_waitcnt vmcnt(0)
	global_store_b32 v[2:3], v1, off
.LBB20_1052:
	s_mov_b32 s1, 0
.LBB20_1053:
	s_delay_alu instid0(SALU_CYCLE_1)
	s_and_not1_b32 vcc_lo, exec_lo, s1
	s_cbranch_vccnz .LBB20_1062
; %bb.1054:
	v_cmp_gt_i16_e32 vcc_lo, 6, v5
	s_mov_b32 s1, -1
	s_cbranch_vccnz .LBB20_1060
; %bb.1055:
	v_cmp_lt_i16_e32 vcc_lo, 6, v5
	s_cbranch_vccz .LBB20_1057
; %bb.1056:
	v_cvt_f64_f32_e32 v[6:7], v0
	s_mov_b32 s1, 0
	s_waitcnt vmcnt(0)
	global_store_b64 v[2:3], v[6:7], off
.LBB20_1057:
	s_and_not1_b32 vcc_lo, exec_lo, s1
	s_cbranch_vccnz .LBB20_1059
; %bb.1058:
	s_waitcnt vmcnt(0)
	global_store_b32 v[2:3], v0, off
.LBB20_1059:
	s_mov_b32 s1, 0
.LBB20_1060:
	s_delay_alu instid0(SALU_CYCLE_1)
	s_and_not1_b32 vcc_lo, exec_lo, s1
	s_cbranch_vccnz .LBB20_1062
; %bb.1061:
	v_cvt_f16_f32_e32 v1, v0
	s_waitcnt vmcnt(0)
	global_store_b16 v[2:3], v1, off
.LBB20_1062:
	s_mov_b32 s1, 0
.LBB20_1063:
	s_delay_alu instid0(SALU_CYCLE_1)
	s_and_not1_b32 vcc_lo, exec_lo, s1
	s_cbranch_vccnz .LBB20_1079
; %bb.1064:
	v_cmp_gt_i16_e32 vcc_lo, 2, v5
	s_mov_b32 s1, -1
	s_cbranch_vccnz .LBB20_1074
; %bb.1065:
	v_cmp_gt_i16_e32 vcc_lo, 3, v5
	s_cbranch_vccnz .LBB20_1071
; %bb.1066:
	v_cmp_lt_i16_e32 vcc_lo, 3, v5
	s_cbranch_vccz .LBB20_1068
; %bb.1067:
	v_trunc_f32_e32 v1, v0
	s_mov_b32 s1, 0
	s_waitcnt vmcnt(0)
	s_delay_alu instid0(VALU_DEP_1) | instskip(NEXT) | instid1(VALU_DEP_1)
	v_mul_f32_e64 v4, 0x2f800000, |v1|
	v_floor_f32_e32 v4, v4
	s_delay_alu instid0(VALU_DEP_1) | instskip(SKIP_2) | instid1(VALU_DEP_3)
	v_fma_f32 v6, 0xcf800000, v4, |v1|
	v_ashrrev_i32_e32 v1, 31, v1
	v_cvt_u32_f32_e32 v4, v4
	v_cvt_u32_f32_e32 v6, v6
	s_delay_alu instid0(VALU_DEP_2) | instskip(NEXT) | instid1(VALU_DEP_2)
	v_xor_b32_e32 v4, v4, v1
	v_xor_b32_e32 v6, v6, v1
	s_delay_alu instid0(VALU_DEP_1) | instskip(NEXT) | instid1(VALU_DEP_3)
	v_sub_co_u32 v6, vcc_lo, v6, v1
	v_sub_co_ci_u32_e32 v7, vcc_lo, v4, v1, vcc_lo
	global_store_b64 v[2:3], v[6:7], off
.LBB20_1068:
	s_and_not1_b32 vcc_lo, exec_lo, s1
	s_cbranch_vccnz .LBB20_1070
; %bb.1069:
	v_cvt_i32_f32_e32 v1, v0
	s_waitcnt vmcnt(0)
	global_store_b32 v[2:3], v1, off
.LBB20_1070:
	s_mov_b32 s1, 0
.LBB20_1071:
	s_delay_alu instid0(SALU_CYCLE_1)
	s_and_not1_b32 vcc_lo, exec_lo, s1
	s_cbranch_vccnz .LBB20_1073
; %bb.1072:
	v_cvt_i32_f32_e32 v1, v0
	s_waitcnt vmcnt(0)
	global_store_b16 v[2:3], v1, off
.LBB20_1073:
	s_mov_b32 s1, 0
.LBB20_1074:
	s_delay_alu instid0(SALU_CYCLE_1)
	s_and_not1_b32 vcc_lo, exec_lo, s1
	s_cbranch_vccnz .LBB20_1079
; %bb.1075:
	v_cmp_lt_i16_e32 vcc_lo, 0, v5
	s_mov_b32 s1, -1
	s_cbranch_vccz .LBB20_1077
; %bb.1076:
	v_cvt_i32_f32_e32 v1, v0
	s_mov_b32 s1, 0
	s_waitcnt vmcnt(0)
	global_store_b8 v[2:3], v1, off
.LBB20_1077:
	s_and_not1_b32 vcc_lo, exec_lo, s1
	s_cbranch_vccnz .LBB20_1079
; %bb.1078:
	v_trunc_f32_e32 v0, v0
	s_delay_alu instid0(VALU_DEP_1) | instskip(NEXT) | instid1(VALU_DEP_1)
	v_mul_f32_e64 v1, 0x2f800000, |v0|
	v_floor_f32_e32 v1, v1
	s_delay_alu instid0(VALU_DEP_1) | instskip(SKIP_1) | instid1(VALU_DEP_2)
	v_fma_f32 v1, 0xcf800000, v1, |v0|
	v_ashrrev_i32_e32 v0, 31, v0
	v_cvt_u32_f32_e32 v1, v1
	s_delay_alu instid0(VALU_DEP_1) | instskip(NEXT) | instid1(VALU_DEP_1)
	v_xor_b32_e32 v1, v1, v0
	v_sub_nc_u32_e32 v0, v1, v0
	s_waitcnt vmcnt(0)
	global_store_b8 v[2:3], v0, off
.LBB20_1079:
	s_or_b32 exec_lo, exec_lo, s0
	s_delay_alu instid0(SALU_CYCLE_1)
	s_and_b32 s10, s11, exec_lo
                                        ; implicit-def: $vgpr8
                                        ; implicit-def: $vgpr9
                                        ; implicit-def: $vgpr7
.LBB20_1080:
	s_or_saveexec_b32 s9, s9
	s_mov_b32 s0, 0
                                        ; implicit-def: $vgpr10
                                        ; implicit-def: $vgpr0_vgpr1
                                        ; implicit-def: $vgpr6
	s_xor_b32 exec_lo, exec_lo, s9
	s_cbranch_execz .LBB20_1738
; %bb.1081:
	s_waitcnt vmcnt(0)
	v_mul_lo_u32 v2, s3, v8
	v_cmp_gt_i16_e32 vcc_lo, 11, v9
	s_delay_alu instid0(VALU_DEP_2) | instskip(SKIP_1) | instid1(VALU_DEP_1)
	v_ashrrev_i32_e32 v1, 31, v2
	v_add_co_u32 v0, s0, s6, v2
	v_add_co_ci_u32_e64 v1, s0, s7, v1, s0
	s_cbranch_vccnz .LBB20_1088
; %bb.1082:
	v_cmp_lt_i16_e32 vcc_lo, 25, v9
	s_mov_b32 s1, 0
	s_cbranch_vccz .LBB20_1094
; %bb.1083:
	v_cmp_lt_i16_e32 vcc_lo, 28, v9
	s_cbranch_vccz .LBB20_1096
; %bb.1084:
	v_cmp_lt_i16_e32 vcc_lo, 43, v9
	s_cbranch_vccz .LBB20_1098
; %bb.1085:
	v_cmp_lt_i16_e32 vcc_lo, 45, v9
	s_cbranch_vccz .LBB20_1102
; %bb.1086:
	v_cmp_eq_u16_e32 vcc_lo, 46, v9
	s_cbranch_vccz .LBB20_1142
; %bb.1087:
	global_load_b32 v3, v[0:1], off
	s_mov_b32 s0, 0
	s_mov_b32 s11, -1
	s_waitcnt vmcnt(0)
	v_lshlrev_b32_e32 v3, 16, v3
	s_branch .LBB20_1144
.LBB20_1088:
	s_mov_b32 s11, 0
	s_mov_b32 s8, s10
                                        ; implicit-def: $vgpr3
	s_cbranch_execz .LBB20_1207
; %bb.1089:
	v_cmp_gt_i16_e32 vcc_lo, 5, v9
	s_cbranch_vccnz .LBB20_1095
; %bb.1090:
	v_cmp_gt_i16_e32 vcc_lo, 8, v9
	s_cbranch_vccnz .LBB20_1097
	;; [unrolled: 3-line block ×3, first 2 shown]
; %bb.1092:
	v_cmp_lt_i16_e32 vcc_lo, 9, v9
	s_cbranch_vccz .LBB20_1103
; %bb.1093:
	global_load_b64 v[3:4], v[0:1], off
	s_mov_b32 s0, 0
	s_waitcnt vmcnt(0)
	v_cvt_f32_f64_e32 v3, v[3:4]
	s_branch .LBB20_1104
.LBB20_1094:
	s_mov_b32 s11, 0
	s_mov_b32 s0, 0
                                        ; implicit-def: $vgpr3
	s_cbranch_execnz .LBB20_1172
	s_branch .LBB20_1203
.LBB20_1095:
                                        ; implicit-def: $vgpr3
	s_branch .LBB20_1121
.LBB20_1096:
	s_mov_b32 s8, -1
	s_mov_b32 s11, 0
	s_mov_b32 s0, 0
                                        ; implicit-def: $vgpr3
	s_branch .LBB20_1153
.LBB20_1097:
                                        ; implicit-def: $vgpr3
	s_branch .LBB20_1110
.LBB20_1098:
	s_mov_b32 s11, 0
	s_mov_b32 s0, 0
                                        ; implicit-def: $vgpr3
	s_cbranch_execnz .LBB20_1149
	s_branch .LBB20_1152
.LBB20_1099:
	s_mov_b32 s0, -1
                                        ; implicit-def: $vgpr3
	s_branch .LBB20_1107
.LBB20_1100:
	s_cbranch_execnz .LBB20_1140
; %bb.1101:
	s_or_b32 s11, s11, exec_lo
	s_and_not1_b32 s13, s13, exec_lo
	s_or_b32 exec_lo, exec_lo, s0
	s_and_saveexec_b32 s0, s13
	s_delay_alu instid0(SALU_CYCLE_1)
	s_xor_b32 s0, exec_lo, s0
	s_cbranch_execnz .LBB20_1040
	s_branch .LBB20_1041
.LBB20_1102:
	s_mov_b32 s8, -1
	s_mov_b32 s11, 0
	s_mov_b32 s0, 0
	s_branch .LBB20_1143
.LBB20_1103:
	s_mov_b32 s0, -1
                                        ; implicit-def: $vgpr3
.LBB20_1104:
	s_delay_alu instid0(SALU_CYCLE_1)
	s_and_not1_b32 vcc_lo, exec_lo, s0
	s_cbranch_vccnz .LBB20_1106
; %bb.1105:
	global_load_b32 v3, v[0:1], off
.LBB20_1106:
	s_mov_b32 s0, 0
.LBB20_1107:
	s_delay_alu instid0(SALU_CYCLE_1)
	s_and_not1_b32 vcc_lo, exec_lo, s0
	s_cbranch_vccnz .LBB20_1109
; %bb.1108:
	global_load_b32 v3, v[0:1], off
	s_waitcnt vmcnt(0)
	v_cvt_f32_f16_e32 v3, v3
.LBB20_1109:
	s_cbranch_execnz .LBB20_1120
.LBB20_1110:
	v_cmp_gt_i16_e32 vcc_lo, 6, v9
	s_cbranch_vccnz .LBB20_1113
; %bb.1111:
	v_cmp_lt_i16_e32 vcc_lo, 6, v9
	s_cbranch_vccz .LBB20_1114
; %bb.1112:
	global_load_b64 v[3:4], v[0:1], off
	s_mov_b32 s0, 0
	s_waitcnt vmcnt(0)
	v_cvt_f32_f64_e32 v3, v[3:4]
	s_branch .LBB20_1115
.LBB20_1113:
	s_mov_b32 s0, -1
                                        ; implicit-def: $vgpr3
	s_branch .LBB20_1118
.LBB20_1114:
	s_mov_b32 s0, -1
                                        ; implicit-def: $vgpr3
.LBB20_1115:
	s_delay_alu instid0(SALU_CYCLE_1)
	s_and_not1_b32 vcc_lo, exec_lo, s0
	s_cbranch_vccnz .LBB20_1117
; %bb.1116:
	global_load_b32 v3, v[0:1], off
.LBB20_1117:
	s_mov_b32 s0, 0
.LBB20_1118:
	s_delay_alu instid0(SALU_CYCLE_1)
	s_and_not1_b32 vcc_lo, exec_lo, s0
	s_cbranch_vccnz .LBB20_1120
; %bb.1119:
	global_load_u16 v3, v[0:1], off
	s_waitcnt vmcnt(0)
	v_cvt_f32_f16_e32 v3, v3
.LBB20_1120:
	s_cbranch_execnz .LBB20_1139
.LBB20_1121:
	v_cmp_gt_i16_e32 vcc_lo, 2, v9
	s_cbranch_vccnz .LBB20_1125
; %bb.1122:
	v_cmp_gt_i16_e32 vcc_lo, 3, v9
	s_cbranch_vccnz .LBB20_1126
; %bb.1123:
	v_cmp_lt_i16_e32 vcc_lo, 3, v9
	s_cbranch_vccz .LBB20_1127
; %bb.1124:
	global_load_b64 v[3:4], v[0:1], off
	s_mov_b32 s0, 0
	s_waitcnt vmcnt(0)
	v_xor_b32_e32 v5, v3, v4
	v_cls_i32_e32 v6, v4
	s_delay_alu instid0(VALU_DEP_2) | instskip(NEXT) | instid1(VALU_DEP_2)
	v_ashrrev_i32_e32 v5, 31, v5
	v_add_nc_u32_e32 v6, -1, v6
	s_delay_alu instid0(VALU_DEP_2) | instskip(NEXT) | instid1(VALU_DEP_1)
	v_add_nc_u32_e32 v5, 32, v5
	v_min_u32_e32 v5, v6, v5
	s_delay_alu instid0(VALU_DEP_1) | instskip(NEXT) | instid1(VALU_DEP_1)
	v_lshlrev_b64 v[3:4], v5, v[3:4]
	v_min_u32_e32 v3, 1, v3
	s_delay_alu instid0(VALU_DEP_1) | instskip(SKIP_1) | instid1(VALU_DEP_2)
	v_or_b32_e32 v3, v4, v3
	v_sub_nc_u32_e32 v4, 32, v5
	v_cvt_f32_i32_e32 v3, v3
	s_delay_alu instid0(VALU_DEP_1)
	v_ldexp_f32 v3, v3, v4
	s_branch .LBB20_1128
.LBB20_1125:
                                        ; implicit-def: $vgpr3
	s_branch .LBB20_1134
.LBB20_1126:
	s_mov_b32 s0, -1
                                        ; implicit-def: $vgpr3
	s_branch .LBB20_1131
.LBB20_1127:
	s_mov_b32 s0, -1
                                        ; implicit-def: $vgpr3
.LBB20_1128:
	s_delay_alu instid0(SALU_CYCLE_1)
	s_and_not1_b32 vcc_lo, exec_lo, s0
	s_cbranch_vccnz .LBB20_1130
; %bb.1129:
	global_load_b32 v3, v[0:1], off
	s_waitcnt vmcnt(0)
	v_cvt_f32_i32_e32 v3, v3
.LBB20_1130:
	s_mov_b32 s0, 0
.LBB20_1131:
	s_delay_alu instid0(SALU_CYCLE_1)
	s_and_not1_b32 vcc_lo, exec_lo, s0
	s_cbranch_vccnz .LBB20_1133
; %bb.1132:
	global_load_i16 v3, v[0:1], off
	s_waitcnt vmcnt(0)
	v_cvt_f32_i32_e32 v3, v3
.LBB20_1133:
	s_cbranch_execnz .LBB20_1139
.LBB20_1134:
	v_cmp_lt_i16_e32 vcc_lo, 0, v9
	s_mov_b32 s0, 0
	s_cbranch_vccz .LBB20_1136
; %bb.1135:
	global_load_i8 v3, v[0:1], off
	s_waitcnt vmcnt(0)
	v_cvt_f32_i32_e32 v3, v3
	s_branch .LBB20_1137
.LBB20_1136:
	s_mov_b32 s0, -1
                                        ; implicit-def: $vgpr3
.LBB20_1137:
	s_delay_alu instid0(SALU_CYCLE_1)
	s_and_not1_b32 vcc_lo, exec_lo, s0
	s_cbranch_vccnz .LBB20_1139
; %bb.1138:
	global_load_u8 v0, v[0:1], off
	s_waitcnt vmcnt(0)
	v_cvt_f32_ubyte0_e32 v3, v0
.LBB20_1139:
	s_branch .LBB20_1208
.LBB20_1140:
	s_trap 2
	s_sendmsg_rtn_b32 s0, sendmsg(MSG_RTN_GET_DOORBELL)
	s_mov_b32 ttmp2, m0
	s_waitcnt lgkmcnt(0)
	s_and_b32 s0, s0, 0x3ff
	s_delay_alu instid0(SALU_CYCLE_1) | instskip(NEXT) | instid1(SALU_CYCLE_1)
	s_bitset1_b32 s0, 10
	s_mov_b32 m0, s0
	s_sendmsg sendmsg(MSG_INTERRUPT)
	s_mov_b32 m0, ttmp2
.LBB20_1141:                            ; =>This Inner Loop Header: Depth=1
	s_sethalt 5
	s_branch .LBB20_1141
.LBB20_1142:
	s_mov_b32 s0, -1
	s_mov_b32 s11, 0
.LBB20_1143:
                                        ; implicit-def: $vgpr3
.LBB20_1144:
	s_and_b32 vcc_lo, exec_lo, s8
	s_cbranch_vccz .LBB20_1147
; %bb.1145:
	v_cmp_eq_u16_e32 vcc_lo, 44, v9
	s_cbranch_vccz .LBB20_1148
; %bb.1146:
	global_load_u8 v3, v[0:1], off
	s_mov_b32 s0, 0
	s_mov_b32 s11, -1
	s_waitcnt vmcnt(0)
	v_lshlrev_b32_e32 v4, 23, v3
	v_cmp_ne_u32_e32 vcc_lo, 0xff, v3
	s_delay_alu instid0(VALU_DEP_2) | instskip(SKIP_1) | instid1(VALU_DEP_2)
	v_cndmask_b32_e32 v4, 0x7f800001, v4, vcc_lo
	v_cmp_ne_u32_e32 vcc_lo, 0, v3
	v_cndmask_b32_e32 v3, 0x400000, v4, vcc_lo
.LBB20_1147:
	s_branch .LBB20_1152
.LBB20_1148:
	s_mov_b32 s0, -1
                                        ; implicit-def: $vgpr3
	s_branch .LBB20_1152
.LBB20_1149:
	v_cmp_eq_u16_e32 vcc_lo, 29, v9
	s_cbranch_vccz .LBB20_1151
; %bb.1150:
	global_load_b64 v[3:4], v[0:1], off
	s_mov_b32 s0, 0
	s_mov_b32 s11, -1
	s_mov_b32 s8, 0
	s_waitcnt vmcnt(0)
	v_clz_i32_u32_e32 v5, v4
	s_delay_alu instid0(VALU_DEP_1) | instskip(NEXT) | instid1(VALU_DEP_1)
	v_min_u32_e32 v5, 32, v5
	v_lshlrev_b64 v[3:4], v5, v[3:4]
	s_delay_alu instid0(VALU_DEP_1) | instskip(NEXT) | instid1(VALU_DEP_1)
	v_min_u32_e32 v3, 1, v3
	v_or_b32_e32 v3, v4, v3
	v_sub_nc_u32_e32 v4, 32, v5
	s_delay_alu instid0(VALU_DEP_2) | instskip(NEXT) | instid1(VALU_DEP_1)
	v_cvt_f32_u32_e32 v3, v3
	v_ldexp_f32 v3, v3, v4
	s_branch .LBB20_1153
.LBB20_1151:
	s_mov_b32 s0, -1
                                        ; implicit-def: $vgpr3
.LBB20_1152:
	s_mov_b32 s8, 0
.LBB20_1153:
	s_delay_alu instid0(SALU_CYCLE_1)
	s_and_b32 vcc_lo, exec_lo, s8
	s_cbranch_vccz .LBB20_1171
; %bb.1154:
	v_cmp_gt_i16_e32 vcc_lo, 27, v9
	s_cbranch_vccnz .LBB20_1157
; %bb.1155:
	v_cmp_lt_i16_e32 vcc_lo, 27, v9
	s_cbranch_vccz .LBB20_1158
; %bb.1156:
	global_load_b32 v3, v[0:1], off
	s_mov_b32 s8, 0
	s_waitcnt vmcnt(0)
	v_cvt_f32_u32_e32 v3, v3
	s_branch .LBB20_1159
.LBB20_1157:
	s_mov_b32 s8, -1
                                        ; implicit-def: $vgpr3
	s_branch .LBB20_1162
.LBB20_1158:
	s_mov_b32 s8, -1
                                        ; implicit-def: $vgpr3
.LBB20_1159:
	s_delay_alu instid0(SALU_CYCLE_1)
	s_and_not1_b32 vcc_lo, exec_lo, s8
	s_cbranch_vccnz .LBB20_1161
; %bb.1160:
	global_load_u16 v3, v[0:1], off
	s_waitcnt vmcnt(0)
	v_cvt_f32_u32_e32 v3, v3
.LBB20_1161:
	s_mov_b32 s8, 0
.LBB20_1162:
	s_delay_alu instid0(SALU_CYCLE_1)
	s_and_not1_b32 vcc_lo, exec_lo, s8
	s_cbranch_vccnz .LBB20_1170
; %bb.1163:
	global_load_u8 v4, v[0:1], off
	s_mov_b32 s8, 0
	s_mov_b32 s12, exec_lo
                                        ; implicit-def: $sgpr11
	s_waitcnt vmcnt(0)
	v_cmpx_lt_i16_e32 0x7f, v4
	s_xor_b32 s12, exec_lo, s12
	s_cbranch_execz .LBB20_1183
; %bb.1164:
	s_mov_b32 s8, -1
	s_mov_b32 s13, exec_lo
                                        ; implicit-def: $sgpr11
	v_cmpx_eq_u16_e32 0x80, v4
; %bb.1165:
	s_mov_b32 s11, 0x7f800001
	s_xor_b32 s8, exec_lo, -1
; %bb.1166:
	s_or_b32 exec_lo, exec_lo, s13
	s_delay_alu instid0(SALU_CYCLE_1)
	s_and_b32 s8, s8, exec_lo
	s_or_saveexec_b32 s12, s12
	v_mov_b32_e32 v3, s11
	s_xor_b32 exec_lo, exec_lo, s12
	s_cbranch_execnz .LBB20_1184
.LBB20_1167:
	s_or_b32 exec_lo, exec_lo, s12
	s_and_saveexec_b32 s11, s8
	s_cbranch_execz .LBB20_1169
.LBB20_1168:
	v_and_b32_e32 v3, 0xffff, v4
	s_delay_alu instid0(VALU_DEP_1) | instskip(NEXT) | instid1(VALU_DEP_1)
	v_and_b32_e32 v5, 7, v3
	v_clz_i32_u32_e32 v6, v5
	s_delay_alu instid0(VALU_DEP_1) | instskip(NEXT) | instid1(VALU_DEP_1)
	v_min_u32_e32 v6, 32, v6
	v_subrev_nc_u32_e32 v10, 28, v6
	v_sub_nc_u32_e32 v6, 29, v6
	s_delay_alu instid0(VALU_DEP_2) | instskip(SKIP_1) | instid1(VALU_DEP_1)
	v_lshlrev_b32_e32 v10, v10, v3
	v_bfe_u32 v3, v3, 3, 4
	v_cmp_eq_u32_e32 vcc_lo, 0, v3
	s_delay_alu instid0(VALU_DEP_4) | instskip(NEXT) | instid1(VALU_DEP_4)
	v_cndmask_b32_e32 v3, v3, v6, vcc_lo
	v_and_b32_e32 v10, 7, v10
	v_lshlrev_b32_e32 v4, 24, v4
	s_delay_alu instid0(VALU_DEP_3) | instskip(NEXT) | instid1(VALU_DEP_2)
	v_lshl_add_u32 v3, v3, 23, 0x3b800000
	v_dual_cndmask_b32 v5, v5, v10 :: v_dual_and_b32 v4, 0x80000000, v4
	s_delay_alu instid0(VALU_DEP_1) | instskip(NEXT) | instid1(VALU_DEP_1)
	v_lshlrev_b32_e32 v5, 20, v5
	v_or3_b32 v3, v4, v3, v5
.LBB20_1169:
	s_or_b32 exec_lo, exec_lo, s11
.LBB20_1170:
	s_mov_b32 s11, -1
.LBB20_1171:
	s_branch .LBB20_1203
.LBB20_1172:
	v_cmp_lt_i16_e32 vcc_lo, 22, v9
	s_cbranch_vccz .LBB20_1182
; %bb.1173:
	v_cmp_gt_i16_e32 vcc_lo, 24, v9
	s_cbranch_vccnz .LBB20_1185
; %bb.1174:
	v_cmp_lt_i16_e32 vcc_lo, 24, v9
	s_cbranch_vccz .LBB20_1186
; %bb.1175:
	global_load_u8 v4, v[0:1], off
	s_mov_b32 s11, exec_lo
                                        ; implicit-def: $sgpr8
	s_waitcnt vmcnt(0)
	v_cmpx_lt_i16_e32 0x7f, v4
	s_xor_b32 s11, exec_lo, s11
	s_cbranch_execz .LBB20_1197
; %bb.1176:
	s_mov_b32 s1, -1
	s_mov_b32 s12, exec_lo
                                        ; implicit-def: $sgpr8
	v_cmpx_eq_u16_e32 0x80, v4
; %bb.1177:
	s_mov_b32 s8, 0x7f800001
	s_xor_b32 s1, exec_lo, -1
; %bb.1178:
	s_or_b32 exec_lo, exec_lo, s12
	s_delay_alu instid0(SALU_CYCLE_1)
	s_and_b32 s1, s1, exec_lo
	s_or_saveexec_b32 s11, s11
	v_mov_b32_e32 v3, s8
	s_xor_b32 exec_lo, exec_lo, s11
	s_cbranch_execnz .LBB20_1198
.LBB20_1179:
	s_or_b32 exec_lo, exec_lo, s11
	s_and_saveexec_b32 s8, s1
	s_cbranch_execz .LBB20_1181
.LBB20_1180:
	v_and_b32_e32 v3, 0xffff, v4
	s_delay_alu instid0(VALU_DEP_1) | instskip(NEXT) | instid1(VALU_DEP_1)
	v_and_b32_e32 v5, 3, v3
	v_clz_i32_u32_e32 v6, v5
	s_delay_alu instid0(VALU_DEP_1) | instskip(NEXT) | instid1(VALU_DEP_1)
	v_min_u32_e32 v6, 32, v6
	v_subrev_nc_u32_e32 v10, 29, v6
	v_sub_nc_u32_e32 v6, 30, v6
	s_delay_alu instid0(VALU_DEP_2) | instskip(SKIP_1) | instid1(VALU_DEP_1)
	v_lshlrev_b32_e32 v10, v10, v3
	v_bfe_u32 v3, v3, 2, 5
	v_cmp_eq_u32_e32 vcc_lo, 0, v3
	s_delay_alu instid0(VALU_DEP_4) | instskip(NEXT) | instid1(VALU_DEP_4)
	v_cndmask_b32_e32 v3, v3, v6, vcc_lo
	v_and_b32_e32 v10, 3, v10
	v_lshlrev_b32_e32 v4, 24, v4
	s_delay_alu instid0(VALU_DEP_3) | instskip(NEXT) | instid1(VALU_DEP_2)
	v_lshl_add_u32 v3, v3, 23, 0x37800000
	v_dual_cndmask_b32 v5, v5, v10 :: v_dual_and_b32 v4, 0x80000000, v4
	s_delay_alu instid0(VALU_DEP_1) | instskip(NEXT) | instid1(VALU_DEP_1)
	v_lshlrev_b32_e32 v5, 21, v5
	v_or3_b32 v3, v4, v3, v5
.LBB20_1181:
	s_or_b32 exec_lo, exec_lo, s8
	s_mov_b32 s1, 0
	s_branch .LBB20_1187
.LBB20_1182:
                                        ; implicit-def: $vgpr3
	s_mov_b32 s1, 0
	s_branch .LBB20_1193
.LBB20_1183:
	s_or_saveexec_b32 s12, s12
	v_mov_b32_e32 v3, s11
	s_xor_b32 exec_lo, exec_lo, s12
	s_cbranch_execz .LBB20_1167
.LBB20_1184:
	v_cmp_ne_u16_e32 vcc_lo, 0, v4
	v_mov_b32_e32 v3, 0
	s_and_not1_b32 s8, s8, exec_lo
	s_and_b32 s11, vcc_lo, exec_lo
	s_delay_alu instid0(SALU_CYCLE_1)
	s_or_b32 s8, s8, s11
	s_or_b32 exec_lo, exec_lo, s12
	s_and_saveexec_b32 s11, s8
	s_cbranch_execnz .LBB20_1168
	s_branch .LBB20_1169
.LBB20_1185:
	s_mov_b32 s1, -1
                                        ; implicit-def: $vgpr3
	s_branch .LBB20_1190
.LBB20_1186:
	s_mov_b32 s1, -1
                                        ; implicit-def: $vgpr3
.LBB20_1187:
	s_delay_alu instid0(SALU_CYCLE_1)
	s_and_b32 vcc_lo, exec_lo, s1
	s_cbranch_vccz .LBB20_1189
; %bb.1188:
	global_load_u8 v3, v[0:1], off
	s_waitcnt vmcnt(0)
	v_lshlrev_b32_e32 v3, 24, v3
	s_delay_alu instid0(VALU_DEP_1) | instskip(NEXT) | instid1(VALU_DEP_1)
	v_and_b32_e32 v4, 0x7f000000, v3
	v_clz_i32_u32_e32 v5, v4
	v_add_nc_u32_e32 v10, 0x1000000, v4
	v_cmp_ne_u32_e32 vcc_lo, 0, v4
	s_delay_alu instid0(VALU_DEP_3) | instskip(NEXT) | instid1(VALU_DEP_1)
	v_min_u32_e32 v5, 32, v5
	v_sub_nc_u32_e64 v5, v5, 4 clamp
	s_delay_alu instid0(VALU_DEP_1) | instskip(SKIP_1) | instid1(VALU_DEP_2)
	v_lshlrev_b32_e32 v6, v5, v4
	v_lshlrev_b32_e32 v5, 23, v5
	v_lshrrev_b32_e32 v6, 4, v6
	s_delay_alu instid0(VALU_DEP_1) | instskip(SKIP_1) | instid1(VALU_DEP_2)
	v_sub_nc_u32_e32 v5, v6, v5
	v_ashrrev_i32_e32 v6, 8, v10
	v_add_nc_u32_e32 v5, 0x3c000000, v5
	s_delay_alu instid0(VALU_DEP_1) | instskip(NEXT) | instid1(VALU_DEP_1)
	v_and_or_b32 v5, 0x7f800000, v6, v5
	v_cndmask_b32_e32 v4, 0, v5, vcc_lo
	s_delay_alu instid0(VALU_DEP_1)
	v_and_or_b32 v3, 0x80000000, v3, v4
.LBB20_1189:
	s_mov_b32 s1, 0
.LBB20_1190:
	s_delay_alu instid0(SALU_CYCLE_1)
	s_and_not1_b32 vcc_lo, exec_lo, s1
	s_cbranch_vccnz .LBB20_1192
; %bb.1191:
	global_load_u8 v3, v[0:1], off
	s_waitcnt vmcnt(0)
	v_lshlrev_b32_e32 v4, 25, v3
	v_lshlrev_b16 v3, 8, v3
	s_delay_alu instid0(VALU_DEP_2) | instskip(NEXT) | instid1(VALU_DEP_2)
	v_lshrrev_b32_e32 v5, 4, v4
	v_and_or_b32 v6, 0x7f00, v3, 0.5
	v_bfe_i32 v3, v3, 0, 16
	s_delay_alu instid0(VALU_DEP_3) | instskip(NEXT) | instid1(VALU_DEP_1)
	v_or_b32_e32 v5, 0x70000000, v5
	v_dual_add_f32 v6, -0.5, v6 :: v_dual_mul_f32 v5, 0x7800000, v5
	v_cmp_gt_u32_e32 vcc_lo, 0x8000000, v4
	s_delay_alu instid0(VALU_DEP_2) | instskip(NEXT) | instid1(VALU_DEP_1)
	v_cndmask_b32_e32 v4, v5, v6, vcc_lo
	v_and_or_b32 v3, 0x80000000, v3, v4
.LBB20_1192:
	s_mov_b32 s11, -1
	s_mov_b32 s1, 0
	s_cbranch_execnz .LBB20_1203
.LBB20_1193:
	v_cmp_lt_i16_e32 vcc_lo, 14, v9
	s_cbranch_vccz .LBB20_1196
; %bb.1194:
	v_cmp_eq_u16_e32 vcc_lo, 15, v9
	s_cbranch_vccz .LBB20_1199
; %bb.1195:
	global_load_u16 v3, v[0:1], off
	s_mov_b32 s0, 0
	s_mov_b32 s11, -1
	s_waitcnt vmcnt(0)
	v_lshlrev_b32_e32 v3, 16, v3
	s_branch .LBB20_1201
.LBB20_1196:
	s_mov_b32 s1, -1
	s_branch .LBB20_1200
.LBB20_1197:
	s_or_saveexec_b32 s11, s11
	v_mov_b32_e32 v3, s8
	s_xor_b32 exec_lo, exec_lo, s11
	s_cbranch_execz .LBB20_1179
.LBB20_1198:
	v_cmp_ne_u16_e32 vcc_lo, 0, v4
	v_mov_b32_e32 v3, 0
	s_and_not1_b32 s1, s1, exec_lo
	s_and_b32 s8, vcc_lo, exec_lo
	s_delay_alu instid0(SALU_CYCLE_1)
	s_or_b32 s1, s1, s8
	s_or_b32 exec_lo, exec_lo, s11
	s_and_saveexec_b32 s8, s1
	s_cbranch_execnz .LBB20_1180
	s_branch .LBB20_1181
.LBB20_1199:
	s_mov_b32 s0, -1
.LBB20_1200:
                                        ; implicit-def: $vgpr3
.LBB20_1201:
	s_and_b32 vcc_lo, exec_lo, s1
	s_mov_b32 s1, 0
	s_cbranch_vccz .LBB20_1203
; %bb.1202:
	v_cmp_ne_u16_e64 s0, 11, v9
	s_mov_b32 s1, -1
                                        ; implicit-def: $vgpr3
.LBB20_1203:
	s_delay_alu instid0(VALU_DEP_1)
	s_and_b32 vcc_lo, exec_lo, s0
	s_mov_b32 s8, s10
	s_cbranch_vccnz .LBB20_1239
; %bb.1204:
	s_and_not1_b32 vcc_lo, exec_lo, s1
	s_cbranch_vccnz .LBB20_1206
.LBB20_1205:
	global_load_u8 v3, v[0:1], off
	s_mov_b32 s11, -1
	s_waitcnt vmcnt(0)
	v_cmp_ne_u16_e32 vcc_lo, 0, v3
	v_cndmask_b32_e64 v3, 0, 1.0, vcc_lo
.LBB20_1206:
.LBB20_1207:
	s_and_not1_b32 vcc_lo, exec_lo, s11
	s_cbranch_vccnz .LBB20_1736
.LBB20_1208:
	v_mov_b32_e32 v0, 0x7f800000
	s_mov_b32 s11, exec_lo
	s_waitcnt vmcnt(0)
	s_delay_alu instid0(VALU_DEP_2)
	v_cmpx_neq_f32_e32 0, v3
	s_cbranch_execz .LBB20_1220
; %bb.1209:
	v_mov_b32_e32 v0, 0x7fc00000
	s_mov_b32 s12, exec_lo
	v_cmpx_ngt_f32_e32 0, v3
	s_cbranch_execz .LBB20_1219
; %bb.1210:
                                        ; implicit-def: $vgpr0
	s_mov_b32 s0, exec_lo
	v_cmpx_ge_f32_e32 2.0, v3
	s_xor_b32 s13, exec_lo, s0
	s_cbranch_execz .LBB20_1216
; %bb.1211:
	v_mul_f32_e32 v0, 0.5, v3
	v_mul_f32_e32 v1, 0x3fb8aa3b, v3
	s_mov_b32 s0, exec_lo
                                        ; implicit-def: $vgpr5
                                        ; implicit-def: $vgpr4
	v_cmpx_ge_f32_e32 0x41000000, v3
	s_xor_b32 s0, exec_lo, s0
	s_cbranch_execz .LBB20_1213
; %bb.1212:
	v_add_f32_e32 v4, -2.0, v0
	s_mov_b32 s1, 0x224cf950
	v_rndne_f32_e32 v10, v1
	v_fma_f32 v11, 0x3fb8aa3b, v3, -v1
	v_cmp_ngt_f32_e32 vcc_lo, 0xc2ce8ed0, v3
	v_fmaak_f32 v5, s1, v4, 0xa3c2be86
	s_delay_alu instid0(VALU_DEP_4) | instskip(NEXT) | instid1(VALU_DEP_4)
	v_sub_f32_e32 v1, v1, v10
	v_fmamk_f32 v11, v3, 0x32a5705f, v11
	s_delay_alu instid0(VALU_DEP_1) | instskip(NEXT) | instid1(VALU_DEP_1)
	v_dual_fmaak_f32 v6, v4, v5, 0xa24cf950 :: v_dual_add_f32 v1, v1, v11
	v_add_f32_e32 v6, 0x25331f1f, v6
	s_delay_alu instid0(VALU_DEP_2) | instskip(NEXT) | instid1(VALU_DEP_1)
	v_exp_f32_e32 v1, v1
	v_fma_f32 v5, v4, v6, -v5
	s_delay_alu instid0(VALU_DEP_1) | instskip(NEXT) | instid1(VALU_DEP_1)
	v_add_f32_e32 v5, 0xa69f5554, v5
	v_fma_f32 v6, v4, v5, -v6
	s_delay_alu instid0(VALU_DEP_1) | instskip(NEXT) | instid1(VALU_DEP_1)
	v_add_f32_e32 v6, 0x2808ebf8, v6
	;; [unrolled: 3-line block ×25, first 2 shown]
	v_fma_f32 v4, v4, v5, -v6
	v_cvt_i32_f32_e32 v5, v10
	s_delay_alu instid0(VALU_DEP_2) | instskip(NEXT) | instid1(VALU_DEP_2)
	v_add_f32_e32 v4, 0x3e81531c, v4
	v_ldexp_f32 v1, v1, v5
	s_delay_alu instid0(VALU_DEP_1) | instskip(SKIP_1) | instid1(VALU_DEP_2)
	v_dual_sub_f32 v4, v4, v6 :: v_dual_cndmask_b32 v1, 0, v1
	v_cmp_nlt_f32_e32 vcc_lo, 0x42b17218, v3
	v_mul_f32_e32 v4, 0.5, v4
	s_delay_alu instid0(VALU_DEP_1) | instskip(NEXT) | instid1(VALU_DEP_1)
	v_dual_mul_f32 v5, v3, v4 :: v_dual_cndmask_b32 v4, 0x7f800000, v1
                                        ; implicit-def: $vgpr1
	v_mul_f32_e32 v5, v4, v5
.LBB20_1213:
	s_and_not1_saveexec_b32 s1, s0
	s_cbranch_execz .LBB20_1215
; %bb.1214:
	v_div_scale_f32 v4, null, v3, v3, 0x42000000
	v_div_scale_f32 v10, vcc_lo, 0x42000000, v3, 0x42000000
	s_mov_b32 s0, 0x230aab6e
	s_delay_alu instid0(VALU_DEP_2) | instskip(SKIP_1) | instid1(VALU_DEP_1)
	v_rcp_f32_e32 v5, v4
	v_fma_f32 v12, 0x3fb8aa3b, v3, -v1
	v_fmamk_f32 v12, v3, 0x32a5705f, v12
	s_waitcnt_depctr 0xfff
	v_fma_f32 v6, -v4, v5, 1.0
	s_delay_alu instid0(VALU_DEP_1) | instskip(NEXT) | instid1(VALU_DEP_1)
	v_fmac_f32_e32 v5, v6, v5
	v_mul_f32_e32 v6, v10, v5
	s_delay_alu instid0(VALU_DEP_1) | instskip(NEXT) | instid1(VALU_DEP_1)
	v_fma_f32 v11, -v4, v6, v10
	v_fmac_f32_e32 v6, v11, v5
	v_rndne_f32_e32 v11, v1
	s_delay_alu instid0(VALU_DEP_1) | instskip(NEXT) | instid1(VALU_DEP_3)
	v_sub_f32_e32 v1, v1, v11
	v_fma_f32 v4, -v4, v6, v10
	v_mul_f32_e32 v10, 0x4f800000, v3
	v_cvt_i32_f32_e32 v11, v11
	s_delay_alu instid0(VALU_DEP_4) | instskip(NEXT) | instid1(VALU_DEP_4)
	v_add_f32_e32 v1, v1, v12
	v_div_fmas_f32 v4, v4, v5, v6
	v_cmp_gt_f32_e32 vcc_lo, 0xf800000, v3
	s_delay_alu instid0(VALU_DEP_3) | instskip(NEXT) | instid1(VALU_DEP_2)
	v_exp_f32_e32 v1, v1
	v_div_fixup_f32 v4, v4, v3, 0x42000000
	v_cndmask_b32_e32 v10, v3, v10, vcc_lo
	s_delay_alu instid0(VALU_DEP_2) | instskip(NEXT) | instid1(VALU_DEP_2)
	v_add_f32_e32 v4, -2.0, v4
	v_sqrt_f32_e32 v13, v10
	s_waitcnt_depctr 0xfff
	v_ldexp_f32 v1, v1, v11
	v_fmaak_f32 v5, s0, v4, 0x22a2dc57
	s_delay_alu instid0(VALU_DEP_1) | instskip(SKIP_2) | instid1(VALU_DEP_3)
	v_fmaak_f32 v6, v4, v5, 0xa30aab6e
	v_add_nc_u32_e32 v12, -1, v13
	v_add_nc_u32_e32 v14, 1, v13
	v_add_f32_e32 v6, 0xa456751e, v6
	s_delay_alu instid0(VALU_DEP_3) | instskip(NEXT) | instid1(VALU_DEP_3)
	v_fma_f32 v15, -v12, v13, v10
	v_fma_f32 v16, -v14, v13, v10
	s_delay_alu instid0(VALU_DEP_3) | instskip(NEXT) | instid1(VALU_DEP_3)
	v_fma_f32 v5, v4, v6, -v5
	v_cmp_ge_f32_e64 s0, 0, v15
	s_delay_alu instid0(VALU_DEP_2) | instskip(NEXT) | instid1(VALU_DEP_2)
	v_add_f32_e32 v5, 0xa4140365, v5
	v_cndmask_b32_e64 v12, v13, v12, s0
	v_cmp_lt_f32_e64 s0, 0, v16
	s_delay_alu instid0(VALU_DEP_3) | instskip(NEXT) | instid1(VALU_DEP_1)
	v_fma_f32 v6, v4, v5, -v6
	v_add_f32_e32 v6, 0x25aac8b0, v6
	s_delay_alu instid0(VALU_DEP_1) | instskip(NEXT) | instid1(VALU_DEP_1)
	v_fma_f32 v5, v4, v6, -v5
	v_add_f32_e32 v5, 0x25beb473, v5
	s_delay_alu instid0(VALU_DEP_1) | instskip(NEXT) | instid1(VALU_DEP_1)
	;; [unrolled: 3-line block ×19, first 2 shown]
	v_fma_f32 v5, v4, v6, -v5
	v_add_f32_e32 v5, 0xbc1fed03, v5
	s_delay_alu instid0(VALU_DEP_1) | instskip(SKIP_2) | instid1(VALU_DEP_3)
	v_fma_f32 v4, v4, v5, -v6
	v_cndmask_b32_e64 v5, v12, v14, s0
	v_cmp_ngt_f32_e64 s0, 0xc2ce8ed0, v3
	v_add_f32_e32 v4, 0x3f4750c6, v4
	s_delay_alu instid0(VALU_DEP_3) | instskip(NEXT) | instid1(VALU_DEP_3)
	v_mul_f32_e32 v11, 0x37800000, v5
	v_cndmask_b32_e64 v1, 0, v1, s0
	v_cmp_nlt_f32_e64 s0, 0x42b17218, v3
	s_delay_alu instid0(VALU_DEP_4) | instskip(NEXT) | instid1(VALU_DEP_2)
	v_sub_f32_e32 v6, v4, v6
	v_cndmask_b32_e64 v4, 0x7f800000, v1, s0
	v_cndmask_b32_e32 v1, v5, v11, vcc_lo
	s_delay_alu instid0(VALU_DEP_3) | instskip(SKIP_1) | instid1(VALU_DEP_2)
	v_mul_f32_e32 v5, 0.5, v6
	v_cmp_class_f32_e64 vcc_lo, v10, 0x260
	v_mul_f32_e32 v5, v4, v5
	s_delay_alu instid0(VALU_DEP_4) | instskip(NEXT) | instid1(VALU_DEP_1)
	v_cndmask_b32_e32 v1, v1, v10, vcc_lo
	v_div_scale_f32 v6, null, v1, v1, v5
	s_delay_alu instid0(VALU_DEP_1) | instskip(SKIP_2) | instid1(VALU_DEP_1)
	v_rcp_f32_e32 v10, v6
	s_waitcnt_depctr 0xfff
	v_fma_f32 v11, -v6, v10, 1.0
	v_fmac_f32_e32 v10, v11, v10
	v_div_scale_f32 v11, vcc_lo, v5, v1, v5
	s_delay_alu instid0(VALU_DEP_1) | instskip(NEXT) | instid1(VALU_DEP_1)
	v_mul_f32_e32 v12, v11, v10
	v_fma_f32 v13, -v6, v12, v11
	s_delay_alu instid0(VALU_DEP_1) | instskip(NEXT) | instid1(VALU_DEP_1)
	v_fmac_f32_e32 v12, v13, v10
	v_fma_f32 v6, -v6, v12, v11
	s_delay_alu instid0(VALU_DEP_1) | instskip(NEXT) | instid1(VALU_DEP_1)
	v_div_fmas_f32 v6, v6, v10, v12
	v_div_fixup_f32 v5, v6, v1, v5
.LBB20_1215:
	s_or_b32 exec_lo, exec_lo, s1
	v_fma_f32 v1, v3, v3, -2.0
	s_mov_b32 s0, 0xa3019142
	v_cmp_gt_f32_e32 vcc_lo, 0x800000, v0
	s_delay_alu instid0(VALU_DEP_2) | instskip(NEXT) | instid1(VALU_DEP_1)
	v_fmaak_f32 v6, s0, v1, 0xa72eea8c
	v_fmaak_f32 v10, v1, v6, 0x23019142
	s_delay_alu instid0(VALU_DEP_1) | instskip(NEXT) | instid1(VALU_DEP_1)
	v_add_f32_e32 v10, 0xab3ba817, v10
	v_fma_f32 v6, v1, v10, -v6
	s_delay_alu instid0(VALU_DEP_1) | instskip(NEXT) | instid1(VALU_DEP_1)
	v_add_f32_e32 v6, 0xaf1b31de, v6
	v_fma_f32 v10, v1, v6, -v10
	;; [unrolled: 3-line block ×8, first 2 shown]
	s_delay_alu instid0(VALU_DEP_1) | instskip(NEXT) | instid1(VALU_DEP_1)
	v_add_f32_e32 v1, 0x3fc33d0a, v1
	v_sub_f32_e32 v1, v1, v10
	v_cndmask_b32_e64 v10, 1.0, 0x4f800000, vcc_lo
	s_delay_alu instid0(VALU_DEP_1) | instskip(NEXT) | instid1(VALU_DEP_1)
	v_dual_mul_f32 v1, 0.5, v1 :: v_dual_mul_f32 v0, v0, v10
	v_div_scale_f32 v6, null, v3, v3, v1
	s_delay_alu instid0(VALU_DEP_2) | instskip(SKIP_1) | instid1(VALU_DEP_2)
	v_log_f32_e32 v0, v0
	v_div_scale_f32 v12, s0, v1, v3, v1
	v_rcp_f32_e32 v11, v6
	s_waitcnt_depctr 0xfff
	v_cmp_gt_f32_e64 s1, 0x7f800000, |v0|
	v_fma_f32 v10, -v6, v11, 1.0
	s_delay_alu instid0(VALU_DEP_1) | instskip(NEXT) | instid1(VALU_DEP_1)
	v_dual_fmac_f32 v11, v10, v11 :: v_dual_mul_f32 v10, 0x3f317217, v0
	v_mul_f32_e32 v13, v12, v11
	s_delay_alu instid0(VALU_DEP_2) | instskip(NEXT) | instid1(VALU_DEP_2)
	v_fma_f32 v14, 0x3f317217, v0, -v10
	v_fma_f32 v15, -v6, v13, v12
	s_delay_alu instid0(VALU_DEP_1) | instskip(NEXT) | instid1(VALU_DEP_1)
	v_dual_fmamk_f32 v14, v0, 0x3377d1cf, v14 :: v_dual_fmac_f32 v13, v15, v11
	v_add_f32_e32 v10, v10, v14
	s_delay_alu instid0(VALU_DEP_2) | instskip(NEXT) | instid1(VALU_DEP_2)
	v_fma_f32 v6, -v6, v13, v12
	v_cndmask_b32_e64 v0, v0, v10, s1
	v_cndmask_b32_e64 v10, 0, 0x41b17218, vcc_lo
	s_mov_b32 vcc_lo, s0
	s_delay_alu instid0(VALU_DEP_3) | instskip(NEXT) | instid1(VALU_DEP_2)
	v_div_fmas_f32 v6, v6, v11, v13
	v_sub_f32_e32 v0, v0, v10
	s_delay_alu instid0(VALU_DEP_2) | instskip(NEXT) | instid1(VALU_DEP_1)
	v_div_fixup_f32 v1, v6, v3, v1
                                        ; implicit-def: $vgpr3
	v_fmac_f32_e32 v1, v0, v5
	s_delay_alu instid0(VALU_DEP_1)
	v_mul_f32_e32 v0, v4, v1
.LBB20_1216:
	s_and_not1_saveexec_b32 s1, s13
	s_cbranch_execz .LBB20_1218
; %bb.1217:
	v_div_scale_f32 v0, null, v3, v3, 0x41000000
	v_div_scale_f32 v5, vcc_lo, 0x41000000, v3, 0x41000000
	s_mov_b32 s0, 0xa2d462ea
	s_delay_alu instid0(VALU_DEP_2) | instskip(SKIP_2) | instid1(VALU_DEP_1)
	v_rcp_f32_e32 v1, v0
	s_waitcnt_depctr 0xfff
	v_fma_f32 v4, -v0, v1, 1.0
	v_fmac_f32_e32 v1, v4, v1
	s_delay_alu instid0(VALU_DEP_1) | instskip(NEXT) | instid1(VALU_DEP_1)
	v_mul_f32_e32 v4, v5, v1
	v_fma_f32 v6, -v0, v4, v5
	s_delay_alu instid0(VALU_DEP_1) | instskip(NEXT) | instid1(VALU_DEP_1)
	v_fmac_f32_e32 v4, v6, v1
	v_fma_f32 v0, -v0, v4, v5
	v_mul_f32_e32 v5, 0x4f800000, v3
	s_delay_alu instid0(VALU_DEP_2) | instskip(SKIP_1) | instid1(VALU_DEP_2)
	v_div_fmas_f32 v0, v0, v1, v4
	v_cmp_gt_f32_e32 vcc_lo, 0xf800000, v3
	v_div_fixup_f32 v0, v0, v3, 0x41000000
	s_delay_alu instid0(VALU_DEP_1) | instskip(NEXT) | instid1(VALU_DEP_1)
	v_dual_cndmask_b32 v3, v3, v5 :: v_dual_add_f32 v0, -2.0, v0
	v_sqrt_f32_e32 v5, v3
	s_delay_alu instid0(VALU_DEP_1) | instskip(NEXT) | instid1(VALU_DEP_1)
	v_fmaak_f32 v1, s0, v0, 0x23a578d4
	v_fmaak_f32 v4, v0, v1, 0x22d462ea
	s_waitcnt_depctr 0xfff
	v_add_nc_u32_e32 v6, -1, v5
	v_add_nc_u32_e32 v10, 1, v5
	s_delay_alu instid0(VALU_DEP_2) | instskip(NEXT) | instid1(VALU_DEP_2)
	v_fma_f32 v11, -v6, v5, v3
	v_fma_f32 v12, -v10, v5, v3
	s_delay_alu instid0(VALU_DEP_2) | instskip(NEXT) | instid1(VALU_DEP_1)
	v_cmp_ge_f32_e64 s0, 0, v11
	v_cndmask_b32_e64 v5, v5, v6, s0
	s_delay_alu instid0(VALU_DEP_3) | instskip(NEXT) | instid1(VALU_DEP_1)
	v_cmp_lt_f32_e64 s0, 0, v12
	v_cndmask_b32_e64 v5, v5, v10, s0
	v_add_f32_e32 v4, 0xa48330a9, v4
	s_delay_alu instid0(VALU_DEP_1) | instskip(NEXT) | instid1(VALU_DEP_1)
	v_fma_f32 v1, v0, v4, -v1
	v_add_f32_e32 v1, 0x2553eaf2, v1
	s_delay_alu instid0(VALU_DEP_1) | instskip(NEXT) | instid1(VALU_DEP_1)
	v_fma_f32 v4, v0, v1, -v4
	;; [unrolled: 3-line block ×21, first 2 shown]
	v_add_f32_e32 v1, 0x3dd4d5f8, v1
	s_delay_alu instid0(VALU_DEP_1) | instskip(SKIP_1) | instid1(VALU_DEP_1)
	v_fma_f32 v0, v0, v1, -v4
	v_mul_f32_e32 v1, 0x37800000, v5
	v_dual_add_f32 v0, 0x402e1ebd, v0 :: v_dual_cndmask_b32 v1, v5, v1
	v_cmp_class_f32_e64 vcc_lo, v3, 0x260
	s_delay_alu instid0(VALU_DEP_2) | instskip(NEXT) | instid1(VALU_DEP_1)
	v_dual_sub_f32 v0, v0, v4 :: v_dual_cndmask_b32 v1, v1, v3
	v_mul_f32_e32 v0, 0.5, v0
	s_delay_alu instid0(VALU_DEP_1) | instskip(NEXT) | instid1(VALU_DEP_1)
	v_div_scale_f32 v3, null, v1, v1, v0
	v_rcp_f32_e32 v4, v3
	s_waitcnt_depctr 0xfff
	v_fma_f32 v5, -v3, v4, 1.0
	s_delay_alu instid0(VALU_DEP_1) | instskip(SKIP_1) | instid1(VALU_DEP_1)
	v_fmac_f32_e32 v4, v5, v4
	v_div_scale_f32 v5, vcc_lo, v0, v1, v0
	v_mul_f32_e32 v6, v5, v4
	s_delay_alu instid0(VALU_DEP_1) | instskip(NEXT) | instid1(VALU_DEP_1)
	v_fma_f32 v10, -v3, v6, v5
	v_fmac_f32_e32 v6, v10, v4
	s_delay_alu instid0(VALU_DEP_1) | instskip(NEXT) | instid1(VALU_DEP_1)
	v_fma_f32 v3, -v3, v6, v5
	v_div_fmas_f32 v3, v3, v4, v6
	s_delay_alu instid0(VALU_DEP_1)
	v_div_fixup_f32 v0, v3, v1, v0
.LBB20_1218:
	s_or_b32 exec_lo, exec_lo, s1
.LBB20_1219:
	s_delay_alu instid0(SALU_CYCLE_1)
	s_or_b32 exec_lo, exec_lo, s12
.LBB20_1220:
	s_delay_alu instid0(SALU_CYCLE_1) | instskip(SKIP_3) | instid1(VALU_DEP_1)
	s_or_b32 exec_lo, exec_lo, s11
	s_lshl_b32 s3, s3, 7
	v_cmp_gt_i16_e32 vcc_lo, 11, v9
	v_add_nc_u32_e32 v3, s3, v2
	v_ashrrev_i32_e32 v2, 31, v3
	v_add_co_u32 v1, s0, s6, v3
	s_delay_alu instid0(VALU_DEP_1)
	v_add_co_ci_u32_e64 v2, s0, s7, v2, s0
	s_cbranch_vccnz .LBB20_1227
; %bb.1221:
	v_cmp_lt_i16_e32 vcc_lo, 25, v9
	s_mov_b32 s1, 0
	s_cbranch_vccz .LBB20_1233
; %bb.1222:
	v_cmp_lt_i16_e32 vcc_lo, 28, v9
	s_cbranch_vccz .LBB20_1235
; %bb.1223:
	v_cmp_lt_i16_e32 vcc_lo, 43, v9
	;; [unrolled: 3-line block ×3, first 2 shown]
	s_cbranch_vccz .LBB20_1243
; %bb.1225:
	v_cmp_eq_u16_e32 vcc_lo, 46, v9
	s_mov_b32 s12, 0
	s_cbranch_vccz .LBB20_1287
; %bb.1226:
	global_load_b32 v4, v[1:2], off
	s_mov_b32 s0, 0
	s_mov_b32 s11, -1
	s_waitcnt vmcnt(0)
	v_lshlrev_b32_e32 v4, 16, v4
	s_branch .LBB20_1289
.LBB20_1227:
	s_mov_b32 s11, 0
                                        ; implicit-def: $vgpr4
	s_cbranch_execz .LBB20_1354
; %bb.1228:
	v_cmp_gt_i16_e32 vcc_lo, 5, v9
	s_cbranch_vccnz .LBB20_1234
; %bb.1229:
	v_cmp_gt_i16_e32 vcc_lo, 8, v9
	s_cbranch_vccnz .LBB20_1236
	;; [unrolled: 3-line block ×3, first 2 shown]
; %bb.1231:
	v_cmp_lt_i16_e32 vcc_lo, 9, v9
	s_cbranch_vccz .LBB20_1244
; %bb.1232:
	global_load_b64 v[4:5], v[1:2], off
	s_mov_b32 s0, 0
	s_waitcnt vmcnt(0)
	v_cvt_f32_f64_e32 v4, v[4:5]
	s_branch .LBB20_1245
.LBB20_1233:
	s_mov_b32 s11, 0
	s_mov_b32 s0, 0
                                        ; implicit-def: $vgpr4
	s_cbranch_execnz .LBB20_1318
	s_branch .LBB20_1350
.LBB20_1234:
                                        ; implicit-def: $vgpr4
	s_branch .LBB20_1263
.LBB20_1235:
	s_mov_b32 s12, -1
	s_mov_b32 s11, 0
	s_mov_b32 s0, 0
                                        ; implicit-def: $vgpr4
	s_branch .LBB20_1299
.LBB20_1236:
	s_mov_b32 s0, -1
                                        ; implicit-def: $vgpr4
	s_branch .LBB20_1251
.LBB20_1237:
	s_mov_b32 s12, -1
	s_mov_b32 s11, 0
	s_mov_b32 s0, 0
                                        ; implicit-def: $vgpr4
	s_branch .LBB20_1294
.LBB20_1238:
	s_mov_b32 s0, -1
                                        ; implicit-def: $vgpr4
	s_branch .LBB20_1248
.LBB20_1239:
	s_cbranch_execnz .LBB20_1283
; %bb.1240:
	s_or_b32 s8, s10, exec_lo
                                        ; implicit-def: $vgpr3
	s_cbranch_execz .LBB20_1205
	s_branch .LBB20_1206
.LBB20_1241:
	s_or_saveexec_b32 s14, s14
                                        ; implicit-def: $sgpr15
	s_delay_alu instid0(SALU_CYCLE_1)
	s_xor_b32 exec_lo, exec_lo, s14
	s_cbranch_execz .LBB20_991
.LBB20_1242:
	v_add_f32_e64 v1, 0x46000000, |v0|
	s_and_not1_b32 s13, s13, exec_lo
	s_mov_b32 s15, 0
	s_delay_alu instid0(VALU_DEP_1) | instskip(NEXT) | instid1(VALU_DEP_1)
	v_and_b32_e32 v1, 0xff, v1
	v_cmp_ne_u32_e32 vcc_lo, 0, v1
	s_and_b32 s16, vcc_lo, exec_lo
	s_delay_alu instid0(SALU_CYCLE_1)
	s_or_b32 s13, s13, s16
	s_or_b32 exec_lo, exec_lo, s14
	v_mov_b32_e32 v4, s15
	s_and_saveexec_b32 s14, s13
	s_cbranch_execnz .LBB20_992
	s_branch .LBB20_993
.LBB20_1243:
	s_mov_b32 s12, -1
	s_mov_b32 s11, 0
	s_mov_b32 s0, 0
	s_branch .LBB20_1288
.LBB20_1244:
	s_mov_b32 s0, -1
                                        ; implicit-def: $vgpr4
.LBB20_1245:
	s_delay_alu instid0(SALU_CYCLE_1)
	s_and_not1_b32 vcc_lo, exec_lo, s0
	s_cbranch_vccnz .LBB20_1247
; %bb.1246:
	global_load_b32 v4, v[1:2], off
.LBB20_1247:
	s_mov_b32 s0, 0
.LBB20_1248:
	s_delay_alu instid0(SALU_CYCLE_1)
	s_and_not1_b32 vcc_lo, exec_lo, s0
	s_cbranch_vccnz .LBB20_1250
; %bb.1249:
	global_load_b32 v4, v[1:2], off
	s_waitcnt vmcnt(0)
	v_cvt_f32_f16_e32 v4, v4
.LBB20_1250:
	s_mov_b32 s0, 0
.LBB20_1251:
	s_delay_alu instid0(SALU_CYCLE_1)
	s_and_not1_b32 vcc_lo, exec_lo, s0
	s_cbranch_vccnz .LBB20_1262
; %bb.1252:
	v_cmp_gt_i16_e32 vcc_lo, 6, v9
	s_cbranch_vccnz .LBB20_1255
; %bb.1253:
	v_cmp_lt_i16_e32 vcc_lo, 6, v9
	s_cbranch_vccz .LBB20_1256
; %bb.1254:
	global_load_b64 v[4:5], v[1:2], off
	s_mov_b32 s0, 0
	s_waitcnt vmcnt(0)
	v_cvt_f32_f64_e32 v4, v[4:5]
	s_branch .LBB20_1257
.LBB20_1255:
	s_mov_b32 s0, -1
                                        ; implicit-def: $vgpr4
	s_branch .LBB20_1260
.LBB20_1256:
	s_mov_b32 s0, -1
                                        ; implicit-def: $vgpr4
.LBB20_1257:
	s_delay_alu instid0(SALU_CYCLE_1)
	s_and_not1_b32 vcc_lo, exec_lo, s0
	s_cbranch_vccnz .LBB20_1259
; %bb.1258:
	global_load_b32 v4, v[1:2], off
.LBB20_1259:
	s_mov_b32 s0, 0
.LBB20_1260:
	s_delay_alu instid0(SALU_CYCLE_1)
	s_and_not1_b32 vcc_lo, exec_lo, s0
	s_cbranch_vccnz .LBB20_1262
; %bb.1261:
	global_load_u16 v4, v[1:2], off
	s_waitcnt vmcnt(0)
	v_cvt_f32_f16_e32 v4, v4
.LBB20_1262:
	s_cbranch_execnz .LBB20_1282
.LBB20_1263:
	v_cmp_gt_i16_e32 vcc_lo, 2, v9
	s_cbranch_vccnz .LBB20_1267
; %bb.1264:
	v_cmp_gt_i16_e32 vcc_lo, 3, v9
	s_cbranch_vccnz .LBB20_1268
; %bb.1265:
	v_cmp_lt_i16_e32 vcc_lo, 3, v9
	s_cbranch_vccz .LBB20_1269
; %bb.1266:
	global_load_b64 v[4:5], v[1:2], off
	s_mov_b32 s0, 0
	s_waitcnt vmcnt(0)
	v_xor_b32_e32 v6, v4, v5
	v_cls_i32_e32 v10, v5
	s_delay_alu instid0(VALU_DEP_2) | instskip(NEXT) | instid1(VALU_DEP_2)
	v_ashrrev_i32_e32 v6, 31, v6
	v_add_nc_u32_e32 v10, -1, v10
	s_delay_alu instid0(VALU_DEP_2) | instskip(NEXT) | instid1(VALU_DEP_1)
	v_add_nc_u32_e32 v6, 32, v6
	v_min_u32_e32 v6, v10, v6
	s_delay_alu instid0(VALU_DEP_1) | instskip(NEXT) | instid1(VALU_DEP_1)
	v_lshlrev_b64 v[4:5], v6, v[4:5]
	v_min_u32_e32 v4, 1, v4
	s_delay_alu instid0(VALU_DEP_1) | instskip(SKIP_1) | instid1(VALU_DEP_2)
	v_or_b32_e32 v4, v5, v4
	v_sub_nc_u32_e32 v5, 32, v6
	v_cvt_f32_i32_e32 v4, v4
	s_delay_alu instid0(VALU_DEP_1)
	v_ldexp_f32 v4, v4, v5
	s_branch .LBB20_1270
.LBB20_1267:
	s_mov_b32 s0, -1
                                        ; implicit-def: $vgpr4
	s_branch .LBB20_1276
.LBB20_1268:
	s_mov_b32 s0, -1
                                        ; implicit-def: $vgpr4
	s_branch .LBB20_1273
.LBB20_1269:
	s_mov_b32 s0, -1
                                        ; implicit-def: $vgpr4
.LBB20_1270:
	s_delay_alu instid0(SALU_CYCLE_1)
	s_and_not1_b32 vcc_lo, exec_lo, s0
	s_cbranch_vccnz .LBB20_1272
; %bb.1271:
	global_load_b32 v4, v[1:2], off
	s_waitcnt vmcnt(0)
	v_cvt_f32_i32_e32 v4, v4
.LBB20_1272:
	s_mov_b32 s0, 0
.LBB20_1273:
	s_delay_alu instid0(SALU_CYCLE_1)
	s_and_not1_b32 vcc_lo, exec_lo, s0
	s_cbranch_vccnz .LBB20_1275
; %bb.1274:
	global_load_i16 v4, v[1:2], off
	s_waitcnt vmcnt(0)
	v_cvt_f32_i32_e32 v4, v4
.LBB20_1275:
	s_mov_b32 s0, 0
.LBB20_1276:
	s_delay_alu instid0(SALU_CYCLE_1)
	s_and_not1_b32 vcc_lo, exec_lo, s0
	s_cbranch_vccnz .LBB20_1282
; %bb.1277:
	v_cmp_lt_i16_e32 vcc_lo, 0, v9
	s_mov_b32 s0, 0
	s_cbranch_vccz .LBB20_1279
; %bb.1278:
	global_load_i8 v4, v[1:2], off
	s_waitcnt vmcnt(0)
	v_cvt_f32_i32_e32 v4, v4
	s_branch .LBB20_1280
.LBB20_1279:
	s_mov_b32 s0, -1
                                        ; implicit-def: $vgpr4
.LBB20_1280:
	s_delay_alu instid0(SALU_CYCLE_1)
	s_and_not1_b32 vcc_lo, exec_lo, s0
	s_cbranch_vccnz .LBB20_1282
; %bb.1281:
	global_load_u8 v1, v[1:2], off
	s_waitcnt vmcnt(0)
	v_cvt_f32_ubyte0_e32 v4, v1
.LBB20_1282:
	s_branch .LBB20_1355
.LBB20_1283:
	s_trap 2
	s_sendmsg_rtn_b32 s0, sendmsg(MSG_RTN_GET_DOORBELL)
	s_mov_b32 ttmp2, m0
	s_waitcnt lgkmcnt(0)
	s_and_b32 s0, s0, 0x3ff
	s_delay_alu instid0(SALU_CYCLE_1) | instskip(NEXT) | instid1(SALU_CYCLE_1)
	s_bitset1_b32 s0, 10
	s_mov_b32 m0, s0
	s_sendmsg sendmsg(MSG_INTERRUPT)
	s_mov_b32 m0, ttmp2
.LBB20_1284:                            ; =>This Inner Loop Header: Depth=1
	s_sethalt 5
	s_branch .LBB20_1284
.LBB20_1285:
	s_or_saveexec_b32 s15, s15
                                        ; implicit-def: $sgpr16
	s_delay_alu instid0(SALU_CYCLE_1)
	s_xor_b32 exec_lo, exec_lo, s15
	s_cbranch_execz .LBB20_1003
.LBB20_1286:
	v_add_f32_e64 v1, 0x42800000, |v0|
	s_and_not1_b32 s14, s14, exec_lo
	s_mov_b32 s16, 0
	s_delay_alu instid0(VALU_DEP_1) | instskip(NEXT) | instid1(VALU_DEP_1)
	v_and_b32_e32 v1, 0xff, v1
	v_cmp_ne_u32_e32 vcc_lo, 0, v1
	s_and_b32 s17, vcc_lo, exec_lo
	s_delay_alu instid0(SALU_CYCLE_1)
	s_or_b32 s14, s14, s17
	s_or_b32 exec_lo, exec_lo, s15
	v_mov_b32_e32 v4, s16
	s_and_saveexec_b32 s15, s14
	s_cbranch_execnz .LBB20_1004
	s_branch .LBB20_1005
.LBB20_1287:
	s_mov_b32 s0, -1
	s_mov_b32 s11, 0
.LBB20_1288:
                                        ; implicit-def: $vgpr4
.LBB20_1289:
	s_and_b32 vcc_lo, exec_lo, s12
	s_cbranch_vccz .LBB20_1293
; %bb.1290:
	v_cmp_eq_u16_e32 vcc_lo, 44, v9
	s_cbranch_vccz .LBB20_1292
; %bb.1291:
	global_load_u8 v4, v[1:2], off
	s_mov_b32 s0, 0
	s_mov_b32 s11, -1
	s_waitcnt vmcnt(0)
	v_lshlrev_b32_e32 v5, 23, v4
	v_cmp_ne_u32_e32 vcc_lo, 0xff, v4
	s_delay_alu instid0(VALU_DEP_2) | instskip(SKIP_1) | instid1(VALU_DEP_2)
	v_cndmask_b32_e32 v5, 0x7f800001, v5, vcc_lo
	v_cmp_ne_u32_e32 vcc_lo, 0, v4
	v_cndmask_b32_e32 v4, 0x400000, v5, vcc_lo
	s_branch .LBB20_1293
.LBB20_1292:
	s_mov_b32 s0, -1
                                        ; implicit-def: $vgpr4
.LBB20_1293:
	s_mov_b32 s12, 0
.LBB20_1294:
	s_delay_alu instid0(SALU_CYCLE_1)
	s_and_b32 vcc_lo, exec_lo, s12
	s_cbranch_vccz .LBB20_1298
; %bb.1295:
	v_cmp_eq_u16_e32 vcc_lo, 29, v9
	s_cbranch_vccz .LBB20_1297
; %bb.1296:
	global_load_b64 v[4:5], v[1:2], off
	s_mov_b32 s0, 0
	s_mov_b32 s11, -1
	s_mov_b32 s12, 0
	s_waitcnt vmcnt(0)
	v_clz_i32_u32_e32 v6, v5
	s_delay_alu instid0(VALU_DEP_1) | instskip(NEXT) | instid1(VALU_DEP_1)
	v_min_u32_e32 v6, 32, v6
	v_lshlrev_b64 v[4:5], v6, v[4:5]
	s_delay_alu instid0(VALU_DEP_1) | instskip(NEXT) | instid1(VALU_DEP_1)
	v_min_u32_e32 v4, 1, v4
	v_or_b32_e32 v4, v5, v4
	v_sub_nc_u32_e32 v5, 32, v6
	s_delay_alu instid0(VALU_DEP_2) | instskip(NEXT) | instid1(VALU_DEP_1)
	v_cvt_f32_u32_e32 v4, v4
	v_ldexp_f32 v4, v4, v5
	s_branch .LBB20_1299
.LBB20_1297:
	s_mov_b32 s0, -1
                                        ; implicit-def: $vgpr4
.LBB20_1298:
	s_mov_b32 s12, 0
.LBB20_1299:
	s_delay_alu instid0(SALU_CYCLE_1)
	s_and_b32 vcc_lo, exec_lo, s12
	s_cbranch_vccz .LBB20_1317
; %bb.1300:
	v_cmp_gt_i16_e32 vcc_lo, 27, v9
	s_cbranch_vccnz .LBB20_1303
; %bb.1301:
	v_cmp_lt_i16_e32 vcc_lo, 27, v9
	s_cbranch_vccz .LBB20_1304
; %bb.1302:
	global_load_b32 v4, v[1:2], off
	s_mov_b32 s11, 0
	s_waitcnt vmcnt(0)
	v_cvt_f32_u32_e32 v4, v4
	s_branch .LBB20_1305
.LBB20_1303:
	s_mov_b32 s11, -1
                                        ; implicit-def: $vgpr4
	s_branch .LBB20_1308
.LBB20_1304:
	s_mov_b32 s11, -1
                                        ; implicit-def: $vgpr4
.LBB20_1305:
	s_delay_alu instid0(SALU_CYCLE_1)
	s_and_not1_b32 vcc_lo, exec_lo, s11
	s_cbranch_vccnz .LBB20_1307
; %bb.1306:
	global_load_u16 v4, v[1:2], off
	s_waitcnt vmcnt(0)
	v_cvt_f32_u32_e32 v4, v4
.LBB20_1307:
	s_mov_b32 s11, 0
.LBB20_1308:
	s_delay_alu instid0(SALU_CYCLE_1)
	s_and_not1_b32 vcc_lo, exec_lo, s11
	s_cbranch_vccnz .LBB20_1316
; %bb.1309:
	global_load_u8 v5, v[1:2], off
	s_mov_b32 s11, 0
	s_mov_b32 s13, exec_lo
                                        ; implicit-def: $sgpr12
	s_waitcnt vmcnt(0)
	v_cmpx_lt_i16_e32 0x7f, v5
	s_xor_b32 s13, exec_lo, s13
	s_cbranch_execz .LBB20_1329
; %bb.1310:
	s_mov_b32 s11, -1
	s_mov_b32 s14, exec_lo
                                        ; implicit-def: $sgpr12
	v_cmpx_eq_u16_e32 0x80, v5
; %bb.1311:
	s_mov_b32 s12, 0x7f800001
	s_xor_b32 s11, exec_lo, -1
; %bb.1312:
	s_or_b32 exec_lo, exec_lo, s14
	s_delay_alu instid0(SALU_CYCLE_1)
	s_and_b32 s11, s11, exec_lo
	s_or_saveexec_b32 s13, s13
	v_mov_b32_e32 v4, s12
	s_xor_b32 exec_lo, exec_lo, s13
	s_cbranch_execnz .LBB20_1330
.LBB20_1313:
	s_or_b32 exec_lo, exec_lo, s13
	s_and_saveexec_b32 s12, s11
	s_cbranch_execz .LBB20_1315
.LBB20_1314:
	v_and_b32_e32 v4, 0xffff, v5
	s_delay_alu instid0(VALU_DEP_1) | instskip(NEXT) | instid1(VALU_DEP_1)
	v_and_b32_e32 v6, 7, v4
	v_clz_i32_u32_e32 v10, v6
	s_delay_alu instid0(VALU_DEP_1) | instskip(NEXT) | instid1(VALU_DEP_1)
	v_min_u32_e32 v10, 32, v10
	v_subrev_nc_u32_e32 v11, 28, v10
	v_sub_nc_u32_e32 v10, 29, v10
	s_delay_alu instid0(VALU_DEP_2) | instskip(SKIP_1) | instid1(VALU_DEP_1)
	v_lshlrev_b32_e32 v11, v11, v4
	v_bfe_u32 v4, v4, 3, 4
	v_cmp_eq_u32_e32 vcc_lo, 0, v4
	s_delay_alu instid0(VALU_DEP_3) | instskip(SKIP_1) | instid1(VALU_DEP_2)
	v_dual_cndmask_b32 v4, v4, v10 :: v_dual_and_b32 v11, 7, v11
	v_lshlrev_b32_e32 v5, 24, v5
	v_lshl_add_u32 v4, v4, 23, 0x3b800000
	s_delay_alu instid0(VALU_DEP_2) | instskip(NEXT) | instid1(VALU_DEP_1)
	v_dual_cndmask_b32 v6, v6, v11 :: v_dual_and_b32 v5, 0x80000000, v5
	v_lshlrev_b32_e32 v6, 20, v6
	s_delay_alu instid0(VALU_DEP_1)
	v_or3_b32 v4, v5, v4, v6
.LBB20_1315:
	s_or_b32 exec_lo, exec_lo, s12
.LBB20_1316:
	s_mov_b32 s11, -1
.LBB20_1317:
	s_branch .LBB20_1350
.LBB20_1318:
	v_cmp_lt_i16_e32 vcc_lo, 22, v9
	s_cbranch_vccz .LBB20_1328
; %bb.1319:
	v_cmp_gt_i16_e32 vcc_lo, 24, v9
	s_cbranch_vccnz .LBB20_1331
; %bb.1320:
	v_cmp_lt_i16_e32 vcc_lo, 24, v9
	s_cbranch_vccz .LBB20_1332
; %bb.1321:
	global_load_u8 v5, v[1:2], off
	s_mov_b32 s12, exec_lo
                                        ; implicit-def: $sgpr11
	s_waitcnt vmcnt(0)
	v_cmpx_lt_i16_e32 0x7f, v5
	s_xor_b32 s12, exec_lo, s12
	s_cbranch_execz .LBB20_1344
; %bb.1322:
	s_mov_b32 s1, -1
	s_mov_b32 s13, exec_lo
                                        ; implicit-def: $sgpr11
	v_cmpx_eq_u16_e32 0x80, v5
; %bb.1323:
	s_mov_b32 s11, 0x7f800001
	s_xor_b32 s1, exec_lo, -1
; %bb.1324:
	s_or_b32 exec_lo, exec_lo, s13
	s_delay_alu instid0(SALU_CYCLE_1)
	s_and_b32 s1, s1, exec_lo
	s_or_saveexec_b32 s12, s12
	v_mov_b32_e32 v4, s11
	s_xor_b32 exec_lo, exec_lo, s12
	s_cbranch_execnz .LBB20_1345
.LBB20_1325:
	s_or_b32 exec_lo, exec_lo, s12
	s_and_saveexec_b32 s11, s1
	s_cbranch_execz .LBB20_1327
.LBB20_1326:
	v_and_b32_e32 v4, 0xffff, v5
	s_delay_alu instid0(VALU_DEP_1) | instskip(NEXT) | instid1(VALU_DEP_1)
	v_and_b32_e32 v6, 3, v4
	v_clz_i32_u32_e32 v10, v6
	s_delay_alu instid0(VALU_DEP_1) | instskip(NEXT) | instid1(VALU_DEP_1)
	v_min_u32_e32 v10, 32, v10
	v_subrev_nc_u32_e32 v11, 29, v10
	v_sub_nc_u32_e32 v10, 30, v10
	s_delay_alu instid0(VALU_DEP_2) | instskip(SKIP_1) | instid1(VALU_DEP_1)
	v_lshlrev_b32_e32 v11, v11, v4
	v_bfe_u32 v4, v4, 2, 5
	v_cmp_eq_u32_e32 vcc_lo, 0, v4
	s_delay_alu instid0(VALU_DEP_3) | instskip(SKIP_1) | instid1(VALU_DEP_2)
	v_dual_cndmask_b32 v4, v4, v10 :: v_dual_and_b32 v11, 3, v11
	v_lshlrev_b32_e32 v5, 24, v5
	v_lshl_add_u32 v4, v4, 23, 0x37800000
	s_delay_alu instid0(VALU_DEP_2) | instskip(NEXT) | instid1(VALU_DEP_1)
	v_dual_cndmask_b32 v6, v6, v11 :: v_dual_and_b32 v5, 0x80000000, v5
	v_lshlrev_b32_e32 v6, 21, v6
	s_delay_alu instid0(VALU_DEP_1)
	v_or3_b32 v4, v5, v4, v6
.LBB20_1327:
	s_or_b32 exec_lo, exec_lo, s11
	s_mov_b32 s1, 0
	s_branch .LBB20_1333
.LBB20_1328:
	s_mov_b32 s1, -1
                                        ; implicit-def: $vgpr4
	s_branch .LBB20_1339
.LBB20_1329:
	s_or_saveexec_b32 s13, s13
	v_mov_b32_e32 v4, s12
	s_xor_b32 exec_lo, exec_lo, s13
	s_cbranch_execz .LBB20_1313
.LBB20_1330:
	v_cmp_ne_u16_e32 vcc_lo, 0, v5
	v_mov_b32_e32 v4, 0
	s_and_not1_b32 s11, s11, exec_lo
	s_and_b32 s12, vcc_lo, exec_lo
	s_delay_alu instid0(SALU_CYCLE_1)
	s_or_b32 s11, s11, s12
	s_or_b32 exec_lo, exec_lo, s13
	s_and_saveexec_b32 s12, s11
	s_cbranch_execnz .LBB20_1314
	s_branch .LBB20_1315
.LBB20_1331:
	s_mov_b32 s1, -1
                                        ; implicit-def: $vgpr4
	s_branch .LBB20_1336
.LBB20_1332:
	s_mov_b32 s1, -1
                                        ; implicit-def: $vgpr4
.LBB20_1333:
	s_delay_alu instid0(SALU_CYCLE_1)
	s_and_b32 vcc_lo, exec_lo, s1
	s_cbranch_vccz .LBB20_1335
; %bb.1334:
	global_load_u8 v4, v[1:2], off
	s_waitcnt vmcnt(0)
	v_lshlrev_b32_e32 v4, 24, v4
	s_delay_alu instid0(VALU_DEP_1) | instskip(NEXT) | instid1(VALU_DEP_1)
	v_and_b32_e32 v5, 0x7f000000, v4
	v_clz_i32_u32_e32 v6, v5
	v_add_nc_u32_e32 v11, 0x1000000, v5
	v_cmp_ne_u32_e32 vcc_lo, 0, v5
	s_delay_alu instid0(VALU_DEP_3) | instskip(NEXT) | instid1(VALU_DEP_1)
	v_min_u32_e32 v6, 32, v6
	v_sub_nc_u32_e64 v6, v6, 4 clamp
	s_delay_alu instid0(VALU_DEP_1) | instskip(SKIP_1) | instid1(VALU_DEP_2)
	v_lshlrev_b32_e32 v10, v6, v5
	v_lshlrev_b32_e32 v6, 23, v6
	v_lshrrev_b32_e32 v10, 4, v10
	s_delay_alu instid0(VALU_DEP_1) | instskip(SKIP_1) | instid1(VALU_DEP_2)
	v_sub_nc_u32_e32 v6, v10, v6
	v_ashrrev_i32_e32 v10, 8, v11
	v_add_nc_u32_e32 v6, 0x3c000000, v6
	s_delay_alu instid0(VALU_DEP_1) | instskip(NEXT) | instid1(VALU_DEP_1)
	v_and_or_b32 v6, 0x7f800000, v10, v6
	v_cndmask_b32_e32 v5, 0, v6, vcc_lo
	s_delay_alu instid0(VALU_DEP_1)
	v_and_or_b32 v4, 0x80000000, v4, v5
.LBB20_1335:
	s_mov_b32 s1, 0
.LBB20_1336:
	s_delay_alu instid0(SALU_CYCLE_1)
	s_and_not1_b32 vcc_lo, exec_lo, s1
	s_cbranch_vccnz .LBB20_1338
; %bb.1337:
	global_load_u8 v4, v[1:2], off
	s_waitcnt vmcnt(0)
	v_lshlrev_b32_e32 v5, 25, v4
	v_lshlrev_b16 v4, 8, v4
	s_delay_alu instid0(VALU_DEP_1) | instskip(SKIP_1) | instid1(VALU_DEP_2)
	v_and_or_b32 v10, 0x7f00, v4, 0.5
	v_bfe_i32 v4, v4, 0, 16
	v_add_f32_e32 v10, -0.5, v10
	v_lshrrev_b32_e32 v6, 4, v5
	v_cmp_gt_u32_e32 vcc_lo, 0x8000000, v5
	s_delay_alu instid0(VALU_DEP_2) | instskip(NEXT) | instid1(VALU_DEP_1)
	v_or_b32_e32 v6, 0x70000000, v6
	v_mul_f32_e32 v6, 0x7800000, v6
	s_delay_alu instid0(VALU_DEP_1) | instskip(NEXT) | instid1(VALU_DEP_1)
	v_cndmask_b32_e32 v5, v6, v10, vcc_lo
	v_and_or_b32 v4, 0x80000000, v4, v5
.LBB20_1338:
	s_mov_b32 s1, 0
	s_mov_b32 s11, -1
.LBB20_1339:
	s_and_not1_b32 vcc_lo, exec_lo, s1
	s_mov_b32 s1, 0
	s_cbranch_vccnz .LBB20_1350
; %bb.1340:
	v_cmp_lt_i16_e32 vcc_lo, 14, v9
	s_cbranch_vccz .LBB20_1343
; %bb.1341:
	v_cmp_eq_u16_e32 vcc_lo, 15, v9
	s_cbranch_vccz .LBB20_1346
; %bb.1342:
	global_load_u16 v4, v[1:2], off
	s_mov_b32 s0, 0
	s_mov_b32 s11, -1
	s_waitcnt vmcnt(0)
	v_lshlrev_b32_e32 v4, 16, v4
	s_branch .LBB20_1348
.LBB20_1343:
	s_mov_b32 s1, -1
	s_branch .LBB20_1347
.LBB20_1344:
	s_or_saveexec_b32 s12, s12
	v_mov_b32_e32 v4, s11
	s_xor_b32 exec_lo, exec_lo, s12
	s_cbranch_execz .LBB20_1325
.LBB20_1345:
	v_cmp_ne_u16_e32 vcc_lo, 0, v5
	v_mov_b32_e32 v4, 0
	s_and_not1_b32 s1, s1, exec_lo
	s_and_b32 s11, vcc_lo, exec_lo
	s_delay_alu instid0(SALU_CYCLE_1)
	s_or_b32 s1, s1, s11
	s_or_b32 exec_lo, exec_lo, s12
	s_and_saveexec_b32 s11, s1
	s_cbranch_execnz .LBB20_1326
	s_branch .LBB20_1327
.LBB20_1346:
	s_mov_b32 s0, -1
.LBB20_1347:
                                        ; implicit-def: $vgpr4
.LBB20_1348:
	s_and_b32 vcc_lo, exec_lo, s1
	s_mov_b32 s1, 0
	s_cbranch_vccz .LBB20_1350
; %bb.1349:
	v_cmp_ne_u16_e64 s0, 11, v9
	s_mov_b32 s1, -1
                                        ; implicit-def: $vgpr4
.LBB20_1350:
	s_delay_alu instid0(VALU_DEP_1)
	s_and_b32 vcc_lo, exec_lo, s0
	s_cbranch_vccnz .LBB20_1386
; %bb.1351:
	s_and_not1_b32 vcc_lo, exec_lo, s1
	s_cbranch_vccnz .LBB20_1353
.LBB20_1352:
	global_load_u8 v4, v[1:2], off
	s_mov_b32 s11, -1
	s_waitcnt vmcnt(0)
	v_cmp_ne_u16_e32 vcc_lo, 0, v4
	v_cndmask_b32_e64 v4, 0, 1.0, vcc_lo
.LBB20_1353:
.LBB20_1354:
	s_and_not1_b32 vcc_lo, exec_lo, s11
	s_cbranch_vccnz .LBB20_1736
.LBB20_1355:
	v_mov_b32_e32 v2, 0x7f800000
	s_mov_b32 s11, exec_lo
	s_waitcnt vmcnt(0)
	s_delay_alu instid0(VALU_DEP_2)
	v_cmpx_neq_f32_e32 0, v4
	s_cbranch_execz .LBB20_1367
; %bb.1356:
	v_mov_b32_e32 v2, 0x7fc00000
	s_mov_b32 s12, exec_lo
	v_cmpx_ngt_f32_e32 0, v4
	s_cbranch_execz .LBB20_1366
; %bb.1357:
                                        ; implicit-def: $vgpr2
	s_mov_b32 s0, exec_lo
	v_cmpx_ge_f32_e32 2.0, v4
	s_xor_b32 s13, exec_lo, s0
	s_cbranch_execz .LBB20_1363
; %bb.1358:
	v_mul_f32_e32 v1, 0.5, v4
	s_mov_b32 s0, exec_lo
                                        ; implicit-def: $vgpr5
                                        ; implicit-def: $vgpr2
	v_cmpx_ge_f32_e32 0x41000000, v4
	s_xor_b32 s0, exec_lo, s0
	s_cbranch_execz .LBB20_1360
; %bb.1359:
	v_add_f32_e32 v2, -2.0, v1
	v_mul_f32_e32 v10, 0x3fb8aa3b, v4
	s_mov_b32 s1, 0x224cf950
	v_cmp_ngt_f32_e32 vcc_lo, 0xc2ce8ed0, v4
	s_delay_alu instid0(VALU_DEP_2) | instskip(SKIP_2) | instid1(VALU_DEP_3)
	v_rndne_f32_e32 v11, v10
	v_fmaak_f32 v5, s1, v2, 0xa3c2be86
	v_fma_f32 v12, 0x3fb8aa3b, v4, -v10
	v_sub_f32_e32 v10, v10, v11
	s_delay_alu instid0(VALU_DEP_3) | instskip(NEXT) | instid1(VALU_DEP_3)
	v_fmaak_f32 v6, v2, v5, 0xa24cf950
	v_fmamk_f32 v12, v4, 0x32a5705f, v12
	s_delay_alu instid0(VALU_DEP_2) | instskip(NEXT) | instid1(VALU_DEP_2)
	v_add_f32_e32 v6, 0x25331f1f, v6
	v_add_f32_e32 v10, v10, v12
	s_delay_alu instid0(VALU_DEP_2) | instskip(NEXT) | instid1(VALU_DEP_1)
	v_fma_f32 v5, v2, v6, -v5
	v_add_f32_e32 v5, 0xa69f5554, v5
	s_delay_alu instid0(VALU_DEP_1) | instskip(NEXT) | instid1(VALU_DEP_1)
	v_fma_f32 v6, v2, v5, -v6
	v_add_f32_e32 v6, 0x2808ebf8, v6
	s_delay_alu instid0(VALU_DEP_1) | instskip(NEXT) | instid1(VALU_DEP_1)
	;; [unrolled: 3-line block ×24, first 2 shown]
	v_fma_f32 v5, v2, v6, -v5
	v_add_f32_e32 v5, 0xbe34a688, v5
	s_delay_alu instid0(VALU_DEP_1) | instskip(SKIP_2) | instid1(VALU_DEP_2)
	v_fma_f32 v2, v2, v5, -v6
	v_exp_f32_e32 v5, v10
	v_cvt_i32_f32_e32 v10, v11
	v_add_f32_e32 v2, 0x3e81531c, v2
	s_delay_alu instid0(VALU_DEP_1) | instskip(SKIP_2) | instid1(VALU_DEP_1)
	v_sub_f32_e32 v2, v2, v6
	s_waitcnt_depctr 0xfff
	v_ldexp_f32 v5, v5, v10
	v_dual_mul_f32 v2, 0.5, v2 :: v_dual_cndmask_b32 v5, 0, v5
	v_cmp_nlt_f32_e32 vcc_lo, 0x42b17218, v4
	s_delay_alu instid0(VALU_DEP_2) | instskip(NEXT) | instid1(VALU_DEP_3)
	v_mul_f32_e32 v6, v4, v2
	v_cndmask_b32_e32 v2, 0x7f800000, v5, vcc_lo
	s_delay_alu instid0(VALU_DEP_1)
	v_mul_f32_e32 v5, v2, v6
.LBB20_1360:
	s_and_not1_saveexec_b32 s1, s0
	s_cbranch_execz .LBB20_1362
; %bb.1361:
	v_div_scale_f32 v2, null, v4, v4, 0x42000000
	v_div_scale_f32 v10, vcc_lo, 0x42000000, v4, 0x42000000
	s_mov_b32 s0, 0x230aab6e
	s_delay_alu instid0(VALU_DEP_2) | instskip(SKIP_2) | instid1(VALU_DEP_1)
	v_rcp_f32_e32 v5, v2
	s_waitcnt_depctr 0xfff
	v_fma_f32 v6, -v2, v5, 1.0
	v_fmac_f32_e32 v5, v6, v5
	s_delay_alu instid0(VALU_DEP_1) | instskip(NEXT) | instid1(VALU_DEP_1)
	v_mul_f32_e32 v6, v10, v5
	v_fma_f32 v11, -v2, v6, v10
	s_delay_alu instid0(VALU_DEP_1) | instskip(NEXT) | instid1(VALU_DEP_1)
	v_dual_fmac_f32 v6, v11, v5 :: v_dual_mul_f32 v11, 0x3fb8aa3b, v4
	v_fma_f32 v2, -v2, v6, v10
	s_delay_alu instid0(VALU_DEP_2) | instskip(SKIP_2) | instid1(VALU_DEP_4)
	v_rndne_f32_e32 v12, v11
	v_fma_f32 v13, 0x3fb8aa3b, v4, -v11
	v_mul_f32_e32 v10, 0x4f800000, v4
	v_div_fmas_f32 v2, v2, v5, v6
	v_cmp_gt_f32_e32 vcc_lo, 0xf800000, v4
	s_delay_alu instid0(VALU_DEP_4) | instskip(SKIP_3) | instid1(VALU_DEP_3)
	v_fmamk_f32 v13, v4, 0x32a5705f, v13
	v_sub_f32_e32 v11, v11, v12
	v_cvt_i32_f32_e32 v12, v12
	v_div_fixup_f32 v2, v2, v4, 0x42000000
	v_dual_cndmask_b32 v10, v4, v10 :: v_dual_add_f32 v11, v11, v13
	s_delay_alu instid0(VALU_DEP_2) | instskip(NEXT) | instid1(VALU_DEP_2)
	v_add_f32_e32 v2, -2.0, v2
	v_sqrt_f32_e32 v14, v10
	s_delay_alu instid0(VALU_DEP_2) | instskip(NEXT) | instid1(VALU_DEP_1)
	v_exp_f32_e32 v11, v11
	v_fmaak_f32 v5, s0, v2, 0x22a2dc57
	s_waitcnt_depctr 0xfff
	v_dual_fmaak_f32 v6, v2, v5, 0xa30aab6e :: v_dual_add_nc_u32 v13, -1, v14
	v_add_nc_u32_e32 v15, 1, v14
	s_delay_alu instid0(VALU_DEP_2) | instskip(NEXT) | instid1(VALU_DEP_3)
	v_add_f32_e32 v6, 0xa456751e, v6
	v_fma_f32 v16, -v13, v14, v10
	s_delay_alu instid0(VALU_DEP_3) | instskip(NEXT) | instid1(VALU_DEP_3)
	v_fma_f32 v17, -v15, v14, v10
	v_fma_f32 v5, v2, v6, -v5
	s_delay_alu instid0(VALU_DEP_3) | instskip(NEXT) | instid1(VALU_DEP_2)
	v_cmp_ge_f32_e64 s0, 0, v16
	v_add_f32_e32 v5, 0xa4140365, v5
	s_delay_alu instid0(VALU_DEP_2) | instskip(SKIP_1) | instid1(VALU_DEP_3)
	v_cndmask_b32_e64 v13, v14, v13, s0
	v_cmp_lt_f32_e64 s0, 0, v17
	v_fma_f32 v6, v2, v5, -v6
	s_delay_alu instid0(VALU_DEP_1) | instskip(NEXT) | instid1(VALU_DEP_1)
	v_add_f32_e32 v6, 0x25aac8b0, v6
	v_fma_f32 v5, v2, v6, -v5
	s_delay_alu instid0(VALU_DEP_1) | instskip(NEXT) | instid1(VALU_DEP_1)
	v_add_f32_e32 v5, 0x25beb473, v5
	;; [unrolled: 3-line block ×20, first 2 shown]
	v_fma_f32 v2, v2, v5, -v6
	v_ldexp_f32 v5, v11, v12
	v_cndmask_b32_e64 v11, v13, v15, s0
	v_cmp_ngt_f32_e64 s0, 0xc2ce8ed0, v4
	s_delay_alu instid0(VALU_DEP_4) | instskip(NEXT) | instid1(VALU_DEP_3)
	v_add_f32_e32 v2, 0x3f4750c6, v2
	v_mul_f32_e32 v12, 0x37800000, v11
	s_delay_alu instid0(VALU_DEP_3) | instskip(SKIP_1) | instid1(VALU_DEP_4)
	v_cndmask_b32_e64 v5, 0, v5, s0
	v_cmp_nlt_f32_e64 s0, 0x42b17218, v4
	v_sub_f32_e32 v6, v2, v6
	s_delay_alu instid0(VALU_DEP_2) | instskip(NEXT) | instid1(VALU_DEP_2)
	v_cndmask_b32_e64 v2, 0x7f800000, v5, s0
	v_dual_cndmask_b32 v5, v11, v12 :: v_dual_mul_f32 v6, 0.5, v6
	v_cmp_class_f32_e64 vcc_lo, v10, 0x260
	s_delay_alu instid0(VALU_DEP_2) | instskip(NEXT) | instid1(VALU_DEP_3)
	v_mul_f32_e32 v6, v2, v6
	v_cndmask_b32_e32 v5, v5, v10, vcc_lo
	s_delay_alu instid0(VALU_DEP_1) | instskip(NEXT) | instid1(VALU_DEP_1)
	v_div_scale_f32 v10, null, v5, v5, v6
	v_rcp_f32_e32 v11, v10
	s_waitcnt_depctr 0xfff
	v_fma_f32 v12, -v10, v11, 1.0
	s_delay_alu instid0(VALU_DEP_1) | instskip(SKIP_1) | instid1(VALU_DEP_1)
	v_fmac_f32_e32 v11, v12, v11
	v_div_scale_f32 v12, vcc_lo, v6, v5, v6
	v_mul_f32_e32 v13, v12, v11
	s_delay_alu instid0(VALU_DEP_1) | instskip(NEXT) | instid1(VALU_DEP_1)
	v_fma_f32 v14, -v10, v13, v12
	v_fmac_f32_e32 v13, v14, v11
	s_delay_alu instid0(VALU_DEP_1) | instskip(NEXT) | instid1(VALU_DEP_1)
	v_fma_f32 v10, -v10, v13, v12
	v_div_fmas_f32 v10, v10, v11, v13
	s_delay_alu instid0(VALU_DEP_1)
	v_div_fixup_f32 v5, v10, v5, v6
.LBB20_1362:
	s_or_b32 exec_lo, exec_lo, s1
	v_fma_f32 v6, v4, v4, -2.0
	s_mov_b32 s0, 0xa3019142
	v_cmp_gt_f32_e32 vcc_lo, 0x800000, v1
	s_delay_alu instid0(VALU_DEP_2) | instskip(NEXT) | instid1(VALU_DEP_1)
	v_fmaak_f32 v10, s0, v6, 0xa72eea8c
	v_fmaak_f32 v11, v6, v10, 0x23019142
	s_delay_alu instid0(VALU_DEP_1) | instskip(NEXT) | instid1(VALU_DEP_1)
	v_add_f32_e32 v11, 0xab3ba817, v11
	v_fma_f32 v10, v6, v11, -v10
	s_delay_alu instid0(VALU_DEP_1) | instskip(NEXT) | instid1(VALU_DEP_1)
	v_add_f32_e32 v10, 0xaf1b31de, v10
	v_fma_f32 v11, v6, v10, -v11
	;; [unrolled: 3-line block ×8, first 2 shown]
	s_delay_alu instid0(VALU_DEP_1) | instskip(NEXT) | instid1(VALU_DEP_1)
	v_add_f32_e32 v6, 0x3fc33d0a, v6
	v_sub_f32_e32 v6, v6, v11
	v_cndmask_b32_e64 v11, 1.0, 0x4f800000, vcc_lo
	s_delay_alu instid0(VALU_DEP_1) | instskip(NEXT) | instid1(VALU_DEP_1)
	v_dual_mul_f32 v6, 0.5, v6 :: v_dual_mul_f32 v1, v1, v11
	v_div_scale_f32 v10, null, v4, v4, v6
	s_delay_alu instid0(VALU_DEP_2) | instskip(SKIP_1) | instid1(VALU_DEP_2)
	v_log_f32_e32 v1, v1
	v_div_scale_f32 v13, s0, v6, v4, v6
	v_rcp_f32_e32 v12, v10
	s_waitcnt_depctr 0xfff
	v_cmp_gt_f32_e64 s1, 0x7f800000, |v1|
	v_fma_f32 v11, -v10, v12, 1.0
	s_delay_alu instid0(VALU_DEP_1) | instskip(NEXT) | instid1(VALU_DEP_1)
	v_dual_fmac_f32 v12, v11, v12 :: v_dual_mul_f32 v11, 0x3f317217, v1
	v_fma_f32 v15, 0x3f317217, v1, -v11
	s_delay_alu instid0(VALU_DEP_1) | instskip(NEXT) | instid1(VALU_DEP_1)
	v_fmamk_f32 v15, v1, 0x3377d1cf, v15
	v_dual_mul_f32 v14, v13, v12 :: v_dual_add_f32 v11, v11, v15
	s_delay_alu instid0(VALU_DEP_1) | instskip(NEXT) | instid1(VALU_DEP_2)
	v_fma_f32 v16, -v10, v14, v13
	v_cndmask_b32_e64 v1, v1, v11, s1
	s_delay_alu instid0(VALU_DEP_2) | instskip(SKIP_2) | instid1(VALU_DEP_2)
	v_fmac_f32_e32 v14, v16, v12
	v_cndmask_b32_e64 v11, 0, 0x41b17218, vcc_lo
	s_mov_b32 vcc_lo, s0
	v_fma_f32 v10, -v10, v14, v13
	s_delay_alu instid0(VALU_DEP_2) | instskip(NEXT) | instid1(VALU_DEP_2)
	v_sub_f32_e32 v1, v1, v11
	v_div_fmas_f32 v10, v10, v12, v14
	s_delay_alu instid0(VALU_DEP_1) | instskip(NEXT) | instid1(VALU_DEP_1)
	v_div_fixup_f32 v4, v10, v4, v6
	v_fmac_f32_e32 v4, v1, v5
	s_delay_alu instid0(VALU_DEP_1)
	v_mul_f32_e32 v2, v2, v4
                                        ; implicit-def: $vgpr4
.LBB20_1363:
	s_and_not1_saveexec_b32 s1, s13
	s_cbranch_execz .LBB20_1365
; %bb.1364:
	v_div_scale_f32 v1, null, v4, v4, 0x41000000
	v_div_scale_f32 v6, vcc_lo, 0x41000000, v4, 0x41000000
	s_mov_b32 s0, 0xa2d462ea
	s_delay_alu instid0(VALU_DEP_2) | instskip(SKIP_2) | instid1(VALU_DEP_1)
	v_rcp_f32_e32 v2, v1
	s_waitcnt_depctr 0xfff
	v_fma_f32 v5, -v1, v2, 1.0
	v_fmac_f32_e32 v2, v5, v2
	s_delay_alu instid0(VALU_DEP_1) | instskip(NEXT) | instid1(VALU_DEP_1)
	v_mul_f32_e32 v5, v6, v2
	v_fma_f32 v10, -v1, v5, v6
	s_delay_alu instid0(VALU_DEP_1) | instskip(NEXT) | instid1(VALU_DEP_1)
	v_fmac_f32_e32 v5, v10, v2
	v_fma_f32 v1, -v1, v5, v6
	v_mul_f32_e32 v6, 0x4f800000, v4
	s_delay_alu instid0(VALU_DEP_2) | instskip(SKIP_1) | instid1(VALU_DEP_2)
	v_div_fmas_f32 v1, v1, v2, v5
	v_cmp_gt_f32_e32 vcc_lo, 0xf800000, v4
	v_div_fixup_f32 v1, v1, v4, 0x41000000
	s_delay_alu instid0(VALU_DEP_1) | instskip(NEXT) | instid1(VALU_DEP_1)
	v_dual_cndmask_b32 v4, v4, v6 :: v_dual_add_f32 v1, -2.0, v1
	v_sqrt_f32_e32 v6, v4
	s_delay_alu instid0(VALU_DEP_1) | instskip(NEXT) | instid1(VALU_DEP_1)
	v_fmaak_f32 v2, s0, v1, 0x23a578d4
	v_fmaak_f32 v5, v1, v2, 0x22d462ea
	s_waitcnt_depctr 0xfff
	v_add_nc_u32_e32 v11, 1, v6
	v_dual_add_f32 v5, 0xa48330a9, v5 :: v_dual_add_nc_u32 v10, -1, v6
	s_delay_alu instid0(VALU_DEP_2) | instskip(NEXT) | instid1(VALU_DEP_2)
	v_fma_f32 v13, -v11, v6, v4
	v_fma_f32 v12, -v10, v6, v4
	s_delay_alu instid0(VALU_DEP_3) | instskip(NEXT) | instid1(VALU_DEP_2)
	v_fma_f32 v2, v1, v5, -v2
	v_cmp_ge_f32_e64 s0, 0, v12
	s_delay_alu instid0(VALU_DEP_2) | instskip(NEXT) | instid1(VALU_DEP_2)
	v_add_f32_e32 v2, 0x2553eaf2, v2
	v_cndmask_b32_e64 v6, v6, v10, s0
	v_cmp_lt_f32_e64 s0, 0, v13
	s_delay_alu instid0(VALU_DEP_3) | instskip(NEXT) | instid1(VALU_DEP_2)
	v_fma_f32 v5, v1, v2, -v5
	v_cndmask_b32_e64 v6, v6, v11, s0
	s_delay_alu instid0(VALU_DEP_2) | instskip(NEXT) | instid1(VALU_DEP_1)
	v_add_f32_e32 v5, 0xa62e951f, v5
	v_fma_f32 v2, v1, v5, -v2
	s_delay_alu instid0(VALU_DEP_1) | instskip(NEXT) | instid1(VALU_DEP_1)
	v_add_f32_e32 v2, 0x2712e76f, v2
	v_fma_f32 v5, v1, v2, -v5
	s_delay_alu instid0(VALU_DEP_1) | instskip(NEXT) | instid1(VALU_DEP_1)
	;; [unrolled: 3-line block ×19, first 2 shown]
	v_add_f32_e32 v2, 0x3dd4d5f8, v2
	v_fma_f32 v1, v1, v2, -v5
	v_mul_f32_e32 v2, 0x37800000, v6
	s_delay_alu instid0(VALU_DEP_1) | instskip(SKIP_1) | instid1(VALU_DEP_2)
	v_dual_add_f32 v1, 0x402e1ebd, v1 :: v_dual_cndmask_b32 v2, v6, v2
	v_cmp_class_f32_e64 vcc_lo, v4, 0x260
	v_dual_sub_f32 v1, v1, v5 :: v_dual_cndmask_b32 v2, v2, v4
	s_delay_alu instid0(VALU_DEP_1) | instskip(NEXT) | instid1(VALU_DEP_1)
	v_mul_f32_e32 v1, 0.5, v1
	v_div_scale_f32 v4, null, v2, v2, v1
	s_delay_alu instid0(VALU_DEP_1) | instskip(SKIP_2) | instid1(VALU_DEP_1)
	v_rcp_f32_e32 v5, v4
	s_waitcnt_depctr 0xfff
	v_fma_f32 v6, -v4, v5, 1.0
	v_fmac_f32_e32 v5, v6, v5
	v_div_scale_f32 v6, vcc_lo, v1, v2, v1
	s_delay_alu instid0(VALU_DEP_1) | instskip(NEXT) | instid1(VALU_DEP_1)
	v_mul_f32_e32 v10, v6, v5
	v_fma_f32 v11, -v4, v10, v6
	s_delay_alu instid0(VALU_DEP_1) | instskip(NEXT) | instid1(VALU_DEP_1)
	v_fmac_f32_e32 v10, v11, v5
	v_fma_f32 v4, -v4, v10, v6
	s_delay_alu instid0(VALU_DEP_1) | instskip(NEXT) | instid1(VALU_DEP_1)
	v_div_fmas_f32 v4, v4, v5, v10
	v_div_fixup_f32 v2, v4, v2, v1
.LBB20_1365:
	s_or_b32 exec_lo, exec_lo, s1
.LBB20_1366:
	s_delay_alu instid0(SALU_CYCLE_1)
	s_or_b32 exec_lo, exec_lo, s12
.LBB20_1367:
	s_delay_alu instid0(SALU_CYCLE_1) | instskip(SKIP_2) | instid1(VALU_DEP_2)
	s_or_b32 exec_lo, exec_lo, s11
	v_add_nc_u32_e32 v1, s3, v3
	v_cmp_gt_i16_e32 vcc_lo, 11, v9
	v_ashrrev_i32_e32 v4, 31, v1
	v_add_co_u32 v3, s0, s6, v1
	s_delay_alu instid0(VALU_DEP_1)
	v_add_co_ci_u32_e64 v4, s0, s7, v4, s0
	s_cbranch_vccnz .LBB20_1374
; %bb.1368:
	v_cmp_lt_i16_e32 vcc_lo, 25, v9
	s_mov_b32 s1, 0
	s_cbranch_vccz .LBB20_1380
; %bb.1369:
	v_cmp_lt_i16_e32 vcc_lo, 28, v9
	s_cbranch_vccz .LBB20_1382
; %bb.1370:
	v_cmp_lt_i16_e32 vcc_lo, 43, v9
	;; [unrolled: 3-line block ×3, first 2 shown]
	s_cbranch_vccz .LBB20_1388
; %bb.1372:
	v_cmp_eq_u16_e32 vcc_lo, 46, v9
	s_mov_b32 s12, 0
	s_cbranch_vccz .LBB20_1431
; %bb.1373:
	global_load_b32 v5, v[3:4], off
	s_mov_b32 s0, 0
	s_mov_b32 s11, -1
	s_waitcnt vmcnt(0)
	v_lshlrev_b32_e32 v5, 16, v5
	s_branch .LBB20_1433
.LBB20_1374:
	s_mov_b32 s11, 0
                                        ; implicit-def: $vgpr5
	s_cbranch_execz .LBB20_1499
; %bb.1375:
	v_cmp_gt_i16_e32 vcc_lo, 5, v9
	s_cbranch_vccnz .LBB20_1381
; %bb.1376:
	v_cmp_gt_i16_e32 vcc_lo, 8, v9
	s_cbranch_vccnz .LBB20_1383
	;; [unrolled: 3-line block ×3, first 2 shown]
; %bb.1378:
	v_cmp_lt_i16_e32 vcc_lo, 9, v9
	s_cbranch_vccz .LBB20_1389
; %bb.1379:
	global_load_b64 v[5:6], v[3:4], off
	s_mov_b32 s0, 0
	s_waitcnt vmcnt(0)
	v_cvt_f32_f64_e32 v5, v[5:6]
	s_branch .LBB20_1390
.LBB20_1380:
	s_mov_b32 s12, -1
	s_mov_b32 s11, 0
	s_mov_b32 s0, 0
                                        ; implicit-def: $vgpr5
	s_branch .LBB20_1462
.LBB20_1381:
	s_mov_b32 s0, -1
                                        ; implicit-def: $vgpr5
	s_branch .LBB20_1408
.LBB20_1382:
	s_mov_b32 s12, -1
	s_mov_b32 s11, 0
	s_mov_b32 s0, 0
                                        ; implicit-def: $vgpr5
	s_branch .LBB20_1443
.LBB20_1383:
	s_mov_b32 s0, -1
                                        ; implicit-def: $vgpr5
	s_branch .LBB20_1396
.LBB20_1384:
	s_mov_b32 s12, -1
	s_mov_b32 s11, 0
	s_mov_b32 s0, 0
                                        ; implicit-def: $vgpr5
	s_branch .LBB20_1438
.LBB20_1385:
	s_mov_b32 s0, -1
                                        ; implicit-def: $vgpr5
	s_branch .LBB20_1393
.LBB20_1386:
	s_cbranch_execnz .LBB20_1429
; %bb.1387:
	s_or_b32 s8, s8, exec_lo
                                        ; implicit-def: $vgpr4
	s_cbranch_execz .LBB20_1352
	s_branch .LBB20_1353
.LBB20_1388:
	s_mov_b32 s12, -1
	s_mov_b32 s11, 0
	s_mov_b32 s0, 0
	s_branch .LBB20_1432
.LBB20_1389:
	s_mov_b32 s0, -1
                                        ; implicit-def: $vgpr5
.LBB20_1390:
	s_delay_alu instid0(SALU_CYCLE_1)
	s_and_not1_b32 vcc_lo, exec_lo, s0
	s_cbranch_vccnz .LBB20_1392
; %bb.1391:
	global_load_b32 v5, v[3:4], off
.LBB20_1392:
	s_mov_b32 s0, 0
.LBB20_1393:
	s_delay_alu instid0(SALU_CYCLE_1)
	s_and_not1_b32 vcc_lo, exec_lo, s0
	s_cbranch_vccnz .LBB20_1395
; %bb.1394:
	global_load_b32 v5, v[3:4], off
	s_waitcnt vmcnt(0)
	v_cvt_f32_f16_e32 v5, v5
.LBB20_1395:
	s_mov_b32 s0, 0
.LBB20_1396:
	s_delay_alu instid0(SALU_CYCLE_1)
	s_and_not1_b32 vcc_lo, exec_lo, s0
	s_cbranch_vccnz .LBB20_1407
; %bb.1397:
	v_cmp_gt_i16_e32 vcc_lo, 6, v9
	s_cbranch_vccnz .LBB20_1400
; %bb.1398:
	v_cmp_lt_i16_e32 vcc_lo, 6, v9
	s_cbranch_vccz .LBB20_1401
; %bb.1399:
	global_load_b64 v[5:6], v[3:4], off
	s_mov_b32 s0, 0
	s_waitcnt vmcnt(0)
	v_cvt_f32_f64_e32 v5, v[5:6]
	s_branch .LBB20_1402
.LBB20_1400:
	s_mov_b32 s0, -1
                                        ; implicit-def: $vgpr5
	s_branch .LBB20_1405
.LBB20_1401:
	s_mov_b32 s0, -1
                                        ; implicit-def: $vgpr5
.LBB20_1402:
	s_delay_alu instid0(SALU_CYCLE_1)
	s_and_not1_b32 vcc_lo, exec_lo, s0
	s_cbranch_vccnz .LBB20_1404
; %bb.1403:
	global_load_b32 v5, v[3:4], off
.LBB20_1404:
	s_mov_b32 s0, 0
.LBB20_1405:
	s_delay_alu instid0(SALU_CYCLE_1)
	s_and_not1_b32 vcc_lo, exec_lo, s0
	s_cbranch_vccnz .LBB20_1407
; %bb.1406:
	global_load_u16 v5, v[3:4], off
	s_waitcnt vmcnt(0)
	v_cvt_f32_f16_e32 v5, v5
.LBB20_1407:
	s_mov_b32 s0, 0
.LBB20_1408:
	s_delay_alu instid0(SALU_CYCLE_1)
	s_and_not1_b32 vcc_lo, exec_lo, s0
	s_cbranch_vccnz .LBB20_1428
; %bb.1409:
	v_cmp_gt_i16_e32 vcc_lo, 2, v9
	s_cbranch_vccnz .LBB20_1413
; %bb.1410:
	v_cmp_gt_i16_e32 vcc_lo, 3, v9
	s_cbranch_vccnz .LBB20_1414
; %bb.1411:
	v_cmp_lt_i16_e32 vcc_lo, 3, v9
	s_cbranch_vccz .LBB20_1415
; %bb.1412:
	global_load_b64 v[5:6], v[3:4], off
	s_mov_b32 s0, 0
	s_waitcnt vmcnt(0)
	v_xor_b32_e32 v10, v5, v6
	v_cls_i32_e32 v11, v6
	s_delay_alu instid0(VALU_DEP_2) | instskip(NEXT) | instid1(VALU_DEP_2)
	v_ashrrev_i32_e32 v10, 31, v10
	v_add_nc_u32_e32 v11, -1, v11
	s_delay_alu instid0(VALU_DEP_2) | instskip(NEXT) | instid1(VALU_DEP_1)
	v_add_nc_u32_e32 v10, 32, v10
	v_min_u32_e32 v10, v11, v10
	s_delay_alu instid0(VALU_DEP_1) | instskip(NEXT) | instid1(VALU_DEP_1)
	v_lshlrev_b64 v[5:6], v10, v[5:6]
	v_min_u32_e32 v5, 1, v5
	s_delay_alu instid0(VALU_DEP_1) | instskip(SKIP_1) | instid1(VALU_DEP_2)
	v_or_b32_e32 v5, v6, v5
	v_sub_nc_u32_e32 v6, 32, v10
	v_cvt_f32_i32_e32 v5, v5
	s_delay_alu instid0(VALU_DEP_1)
	v_ldexp_f32 v5, v5, v6
	s_branch .LBB20_1416
.LBB20_1413:
	s_mov_b32 s0, -1
                                        ; implicit-def: $vgpr5
	s_branch .LBB20_1422
.LBB20_1414:
	s_mov_b32 s0, -1
                                        ; implicit-def: $vgpr5
	s_branch .LBB20_1419
.LBB20_1415:
	s_mov_b32 s0, -1
                                        ; implicit-def: $vgpr5
.LBB20_1416:
	s_delay_alu instid0(SALU_CYCLE_1)
	s_and_not1_b32 vcc_lo, exec_lo, s0
	s_cbranch_vccnz .LBB20_1418
; %bb.1417:
	global_load_b32 v5, v[3:4], off
	s_waitcnt vmcnt(0)
	v_cvt_f32_i32_e32 v5, v5
.LBB20_1418:
	s_mov_b32 s0, 0
.LBB20_1419:
	s_delay_alu instid0(SALU_CYCLE_1)
	s_and_not1_b32 vcc_lo, exec_lo, s0
	s_cbranch_vccnz .LBB20_1421
; %bb.1420:
	global_load_i16 v5, v[3:4], off
	s_waitcnt vmcnt(0)
	v_cvt_f32_i32_e32 v5, v5
.LBB20_1421:
	s_mov_b32 s0, 0
.LBB20_1422:
	s_delay_alu instid0(SALU_CYCLE_1)
	s_and_not1_b32 vcc_lo, exec_lo, s0
	s_cbranch_vccnz .LBB20_1428
; %bb.1423:
	v_cmp_lt_i16_e32 vcc_lo, 0, v9
	s_mov_b32 s0, 0
	s_cbranch_vccz .LBB20_1425
; %bb.1424:
	global_load_i8 v5, v[3:4], off
	s_waitcnt vmcnt(0)
	v_cvt_f32_i32_e32 v5, v5
	s_branch .LBB20_1426
.LBB20_1425:
	s_mov_b32 s0, -1
                                        ; implicit-def: $vgpr5
.LBB20_1426:
	s_delay_alu instid0(SALU_CYCLE_1)
	s_and_not1_b32 vcc_lo, exec_lo, s0
	s_cbranch_vccnz .LBB20_1428
; %bb.1427:
	global_load_u8 v3, v[3:4], off
	s_waitcnt vmcnt(0)
	v_cvt_f32_ubyte0_e32 v5, v3
.LBB20_1428:
	s_branch .LBB20_1500
.LBB20_1429:
	s_trap 2
	s_sendmsg_rtn_b32 s0, sendmsg(MSG_RTN_GET_DOORBELL)
	s_mov_b32 ttmp2, m0
	s_waitcnt lgkmcnt(0)
	s_and_b32 s0, s0, 0x3ff
	s_delay_alu instid0(SALU_CYCLE_1) | instskip(NEXT) | instid1(SALU_CYCLE_1)
	s_bitset1_b32 s0, 10
	s_mov_b32 m0, s0
	s_sendmsg sendmsg(MSG_INTERRUPT)
	s_mov_b32 m0, ttmp2
.LBB20_1430:                            ; =>This Inner Loop Header: Depth=1
	s_sethalt 5
	s_branch .LBB20_1430
.LBB20_1431:
	s_mov_b32 s0, -1
	s_mov_b32 s11, 0
.LBB20_1432:
                                        ; implicit-def: $vgpr5
.LBB20_1433:
	s_and_b32 vcc_lo, exec_lo, s12
	s_cbranch_vccz .LBB20_1437
; %bb.1434:
	v_cmp_eq_u16_e32 vcc_lo, 44, v9
	s_cbranch_vccz .LBB20_1436
; %bb.1435:
	global_load_u8 v5, v[3:4], off
	s_mov_b32 s0, 0
	s_mov_b32 s11, -1
	s_waitcnt vmcnt(0)
	v_lshlrev_b32_e32 v6, 23, v5
	v_cmp_ne_u32_e32 vcc_lo, 0xff, v5
	s_delay_alu instid0(VALU_DEP_2) | instskip(SKIP_1) | instid1(VALU_DEP_2)
	v_cndmask_b32_e32 v6, 0x7f800001, v6, vcc_lo
	v_cmp_ne_u32_e32 vcc_lo, 0, v5
	v_cndmask_b32_e32 v5, 0x400000, v6, vcc_lo
	s_branch .LBB20_1437
.LBB20_1436:
	s_mov_b32 s0, -1
                                        ; implicit-def: $vgpr5
.LBB20_1437:
	s_mov_b32 s12, 0
.LBB20_1438:
	s_delay_alu instid0(SALU_CYCLE_1)
	s_and_b32 vcc_lo, exec_lo, s12
	s_cbranch_vccz .LBB20_1442
; %bb.1439:
	v_cmp_eq_u16_e32 vcc_lo, 29, v9
	s_cbranch_vccz .LBB20_1441
; %bb.1440:
	global_load_b64 v[5:6], v[3:4], off
	s_mov_b32 s0, 0
	s_mov_b32 s11, -1
	s_mov_b32 s12, 0
	s_waitcnt vmcnt(0)
	v_clz_i32_u32_e32 v10, v6
	s_delay_alu instid0(VALU_DEP_1) | instskip(NEXT) | instid1(VALU_DEP_1)
	v_min_u32_e32 v10, 32, v10
	v_lshlrev_b64 v[5:6], v10, v[5:6]
	s_delay_alu instid0(VALU_DEP_1) | instskip(NEXT) | instid1(VALU_DEP_1)
	v_min_u32_e32 v5, 1, v5
	v_or_b32_e32 v5, v6, v5
	v_sub_nc_u32_e32 v6, 32, v10
	s_delay_alu instid0(VALU_DEP_2) | instskip(NEXT) | instid1(VALU_DEP_1)
	v_cvt_f32_u32_e32 v5, v5
	v_ldexp_f32 v5, v5, v6
	s_branch .LBB20_1443
.LBB20_1441:
	s_mov_b32 s0, -1
                                        ; implicit-def: $vgpr5
.LBB20_1442:
	s_mov_b32 s12, 0
.LBB20_1443:
	s_delay_alu instid0(SALU_CYCLE_1)
	s_and_b32 vcc_lo, exec_lo, s12
	s_cbranch_vccz .LBB20_1461
; %bb.1444:
	v_cmp_gt_i16_e32 vcc_lo, 27, v9
	s_cbranch_vccnz .LBB20_1447
; %bb.1445:
	v_cmp_lt_i16_e32 vcc_lo, 27, v9
	s_cbranch_vccz .LBB20_1448
; %bb.1446:
	global_load_b32 v5, v[3:4], off
	s_mov_b32 s11, 0
	s_waitcnt vmcnt(0)
	v_cvt_f32_u32_e32 v5, v5
	s_branch .LBB20_1449
.LBB20_1447:
	s_mov_b32 s11, -1
                                        ; implicit-def: $vgpr5
	s_branch .LBB20_1452
.LBB20_1448:
	s_mov_b32 s11, -1
                                        ; implicit-def: $vgpr5
.LBB20_1449:
	s_delay_alu instid0(SALU_CYCLE_1)
	s_and_not1_b32 vcc_lo, exec_lo, s11
	s_cbranch_vccnz .LBB20_1451
; %bb.1450:
	global_load_u16 v5, v[3:4], off
	s_waitcnt vmcnt(0)
	v_cvt_f32_u32_e32 v5, v5
.LBB20_1451:
	s_mov_b32 s11, 0
.LBB20_1452:
	s_delay_alu instid0(SALU_CYCLE_1)
	s_and_not1_b32 vcc_lo, exec_lo, s11
	s_cbranch_vccnz .LBB20_1460
; %bb.1453:
	global_load_u8 v6, v[3:4], off
	s_mov_b32 s11, 0
	s_mov_b32 s13, exec_lo
                                        ; implicit-def: $sgpr12
	s_waitcnt vmcnt(0)
	v_cmpx_lt_i16_e32 0x7f, v6
	s_xor_b32 s13, exec_lo, s13
	s_cbranch_execz .LBB20_1474
; %bb.1454:
	s_mov_b32 s11, -1
	s_mov_b32 s14, exec_lo
                                        ; implicit-def: $sgpr12
	v_cmpx_eq_u16_e32 0x80, v6
; %bb.1455:
	s_mov_b32 s12, 0x7f800001
	s_xor_b32 s11, exec_lo, -1
; %bb.1456:
	s_or_b32 exec_lo, exec_lo, s14
	s_delay_alu instid0(SALU_CYCLE_1)
	s_and_b32 s11, s11, exec_lo
	s_or_saveexec_b32 s13, s13
	v_mov_b32_e32 v5, s12
	s_xor_b32 exec_lo, exec_lo, s13
	s_cbranch_execnz .LBB20_1475
.LBB20_1457:
	s_or_b32 exec_lo, exec_lo, s13
	s_and_saveexec_b32 s12, s11
	s_cbranch_execz .LBB20_1459
.LBB20_1458:
	v_and_b32_e32 v5, 0xffff, v6
	v_lshlrev_b32_e32 v6, 24, v6
	s_delay_alu instid0(VALU_DEP_2) | instskip(NEXT) | instid1(VALU_DEP_2)
	v_and_b32_e32 v10, 7, v5
	v_and_b32_e32 v6, 0x80000000, v6
	s_delay_alu instid0(VALU_DEP_2) | instskip(NEXT) | instid1(VALU_DEP_1)
	v_clz_i32_u32_e32 v11, v10
	v_min_u32_e32 v11, 32, v11
	s_delay_alu instid0(VALU_DEP_1) | instskip(SKIP_1) | instid1(VALU_DEP_2)
	v_subrev_nc_u32_e32 v12, 28, v11
	v_sub_nc_u32_e32 v11, 29, v11
	v_lshlrev_b32_e32 v12, v12, v5
	v_bfe_u32 v5, v5, 3, 4
	s_delay_alu instid0(VALU_DEP_2) | instskip(NEXT) | instid1(VALU_DEP_2)
	v_and_b32_e32 v12, 7, v12
	v_cmp_eq_u32_e32 vcc_lo, 0, v5
	s_delay_alu instid0(VALU_DEP_2) | instskip(NEXT) | instid1(VALU_DEP_1)
	v_dual_cndmask_b32 v5, v5, v11 :: v_dual_cndmask_b32 v10, v10, v12
	v_lshl_add_u32 v5, v5, 23, 0x3b800000
	s_delay_alu instid0(VALU_DEP_2) | instskip(NEXT) | instid1(VALU_DEP_1)
	v_lshlrev_b32_e32 v10, 20, v10
	v_or3_b32 v5, v6, v5, v10
.LBB20_1459:
	s_or_b32 exec_lo, exec_lo, s12
.LBB20_1460:
	s_mov_b32 s11, -1
.LBB20_1461:
	s_mov_b32 s12, 0
.LBB20_1462:
	s_delay_alu instid0(SALU_CYCLE_1)
	s_and_b32 vcc_lo, exec_lo, s12
	s_cbranch_vccz .LBB20_1495
; %bb.1463:
	v_cmp_lt_i16_e32 vcc_lo, 22, v9
	s_cbranch_vccz .LBB20_1473
; %bb.1464:
	v_cmp_gt_i16_e32 vcc_lo, 24, v9
	s_cbranch_vccnz .LBB20_1476
; %bb.1465:
	v_cmp_lt_i16_e32 vcc_lo, 24, v9
	s_cbranch_vccz .LBB20_1477
; %bb.1466:
	global_load_u8 v6, v[3:4], off
	s_mov_b32 s12, exec_lo
                                        ; implicit-def: $sgpr11
	s_waitcnt vmcnt(0)
	v_cmpx_lt_i16_e32 0x7f, v6
	s_xor_b32 s12, exec_lo, s12
	s_cbranch_execz .LBB20_1489
; %bb.1467:
	s_mov_b32 s1, -1
	s_mov_b32 s13, exec_lo
                                        ; implicit-def: $sgpr11
	v_cmpx_eq_u16_e32 0x80, v6
; %bb.1468:
	s_mov_b32 s11, 0x7f800001
	s_xor_b32 s1, exec_lo, -1
; %bb.1469:
	s_or_b32 exec_lo, exec_lo, s13
	s_delay_alu instid0(SALU_CYCLE_1)
	s_and_b32 s1, s1, exec_lo
	s_or_saveexec_b32 s12, s12
	v_mov_b32_e32 v5, s11
	s_xor_b32 exec_lo, exec_lo, s12
	s_cbranch_execnz .LBB20_1490
.LBB20_1470:
	s_or_b32 exec_lo, exec_lo, s12
	s_and_saveexec_b32 s11, s1
	s_cbranch_execz .LBB20_1472
.LBB20_1471:
	v_and_b32_e32 v5, 0xffff, v6
	v_lshlrev_b32_e32 v6, 24, v6
	s_delay_alu instid0(VALU_DEP_2) | instskip(NEXT) | instid1(VALU_DEP_2)
	v_and_b32_e32 v10, 3, v5
	v_and_b32_e32 v6, 0x80000000, v6
	s_delay_alu instid0(VALU_DEP_2) | instskip(NEXT) | instid1(VALU_DEP_1)
	v_clz_i32_u32_e32 v11, v10
	v_min_u32_e32 v11, 32, v11
	s_delay_alu instid0(VALU_DEP_1) | instskip(SKIP_1) | instid1(VALU_DEP_2)
	v_subrev_nc_u32_e32 v12, 29, v11
	v_sub_nc_u32_e32 v11, 30, v11
	v_lshlrev_b32_e32 v12, v12, v5
	v_bfe_u32 v5, v5, 2, 5
	s_delay_alu instid0(VALU_DEP_2) | instskip(NEXT) | instid1(VALU_DEP_2)
	v_and_b32_e32 v12, 3, v12
	v_cmp_eq_u32_e32 vcc_lo, 0, v5
	s_delay_alu instid0(VALU_DEP_2) | instskip(NEXT) | instid1(VALU_DEP_1)
	v_dual_cndmask_b32 v5, v5, v11 :: v_dual_cndmask_b32 v10, v10, v12
	v_lshl_add_u32 v5, v5, 23, 0x37800000
	s_delay_alu instid0(VALU_DEP_2) | instskip(NEXT) | instid1(VALU_DEP_1)
	v_lshlrev_b32_e32 v10, 21, v10
	v_or3_b32 v5, v6, v5, v10
.LBB20_1472:
	s_or_b32 exec_lo, exec_lo, s11
	s_mov_b32 s1, 0
	s_branch .LBB20_1478
.LBB20_1473:
	s_mov_b32 s1, -1
                                        ; implicit-def: $vgpr5
	s_branch .LBB20_1484
.LBB20_1474:
	s_or_saveexec_b32 s13, s13
	v_mov_b32_e32 v5, s12
	s_xor_b32 exec_lo, exec_lo, s13
	s_cbranch_execz .LBB20_1457
.LBB20_1475:
	v_cmp_ne_u16_e32 vcc_lo, 0, v6
	v_mov_b32_e32 v5, 0
	s_and_not1_b32 s11, s11, exec_lo
	s_and_b32 s12, vcc_lo, exec_lo
	s_delay_alu instid0(SALU_CYCLE_1)
	s_or_b32 s11, s11, s12
	s_or_b32 exec_lo, exec_lo, s13
	s_and_saveexec_b32 s12, s11
	s_cbranch_execnz .LBB20_1458
	s_branch .LBB20_1459
.LBB20_1476:
	s_mov_b32 s1, -1
                                        ; implicit-def: $vgpr5
	s_branch .LBB20_1481
.LBB20_1477:
	s_mov_b32 s1, -1
                                        ; implicit-def: $vgpr5
.LBB20_1478:
	s_delay_alu instid0(SALU_CYCLE_1)
	s_and_b32 vcc_lo, exec_lo, s1
	s_cbranch_vccz .LBB20_1480
; %bb.1479:
	global_load_u8 v5, v[3:4], off
	s_waitcnt vmcnt(0)
	v_lshlrev_b32_e32 v5, 24, v5
	s_delay_alu instid0(VALU_DEP_1) | instskip(NEXT) | instid1(VALU_DEP_1)
	v_and_b32_e32 v6, 0x7f000000, v5
	v_clz_i32_u32_e32 v10, v6
	v_add_nc_u32_e32 v12, 0x1000000, v6
	v_cmp_ne_u32_e32 vcc_lo, 0, v6
	s_delay_alu instid0(VALU_DEP_3) | instskip(NEXT) | instid1(VALU_DEP_1)
	v_min_u32_e32 v10, 32, v10
	v_sub_nc_u32_e64 v10, v10, 4 clamp
	s_delay_alu instid0(VALU_DEP_1) | instskip(SKIP_1) | instid1(VALU_DEP_2)
	v_lshlrev_b32_e32 v11, v10, v6
	v_lshlrev_b32_e32 v10, 23, v10
	v_lshrrev_b32_e32 v11, 4, v11
	s_delay_alu instid0(VALU_DEP_1) | instskip(SKIP_1) | instid1(VALU_DEP_2)
	v_sub_nc_u32_e32 v10, v11, v10
	v_ashrrev_i32_e32 v11, 8, v12
	v_add_nc_u32_e32 v10, 0x3c000000, v10
	s_delay_alu instid0(VALU_DEP_1) | instskip(NEXT) | instid1(VALU_DEP_1)
	v_and_or_b32 v10, 0x7f800000, v11, v10
	v_cndmask_b32_e32 v6, 0, v10, vcc_lo
	s_delay_alu instid0(VALU_DEP_1)
	v_and_or_b32 v5, 0x80000000, v5, v6
.LBB20_1480:
	s_mov_b32 s1, 0
.LBB20_1481:
	s_delay_alu instid0(SALU_CYCLE_1)
	s_and_not1_b32 vcc_lo, exec_lo, s1
	s_cbranch_vccnz .LBB20_1483
; %bb.1482:
	global_load_u8 v5, v[3:4], off
	s_waitcnt vmcnt(0)
	v_lshlrev_b32_e32 v6, 25, v5
	v_lshlrev_b16 v5, 8, v5
	s_delay_alu instid0(VALU_DEP_1) | instskip(SKIP_1) | instid1(VALU_DEP_2)
	v_and_or_b32 v11, 0x7f00, v5, 0.5
	v_bfe_i32 v5, v5, 0, 16
	v_add_f32_e32 v11, -0.5, v11
	v_lshrrev_b32_e32 v10, 4, v6
	v_cmp_gt_u32_e32 vcc_lo, 0x8000000, v6
	s_delay_alu instid0(VALU_DEP_2) | instskip(NEXT) | instid1(VALU_DEP_1)
	v_or_b32_e32 v10, 0x70000000, v10
	v_mul_f32_e32 v10, 0x7800000, v10
	s_delay_alu instid0(VALU_DEP_1) | instskip(NEXT) | instid1(VALU_DEP_1)
	v_cndmask_b32_e32 v6, v10, v11, vcc_lo
	v_and_or_b32 v5, 0x80000000, v5, v6
.LBB20_1483:
	s_mov_b32 s1, 0
	s_mov_b32 s11, -1
.LBB20_1484:
	s_and_not1_b32 vcc_lo, exec_lo, s1
	s_mov_b32 s1, 0
	s_cbranch_vccnz .LBB20_1495
; %bb.1485:
	v_cmp_lt_i16_e32 vcc_lo, 14, v9
	s_cbranch_vccz .LBB20_1488
; %bb.1486:
	v_cmp_eq_u16_e32 vcc_lo, 15, v9
	s_cbranch_vccz .LBB20_1491
; %bb.1487:
	global_load_u16 v5, v[3:4], off
	s_mov_b32 s0, 0
	s_mov_b32 s11, -1
	s_waitcnt vmcnt(0)
	v_lshlrev_b32_e32 v5, 16, v5
	s_branch .LBB20_1493
.LBB20_1488:
	s_mov_b32 s1, -1
	s_branch .LBB20_1492
.LBB20_1489:
	s_or_saveexec_b32 s12, s12
	v_mov_b32_e32 v5, s11
	s_xor_b32 exec_lo, exec_lo, s12
	s_cbranch_execz .LBB20_1470
.LBB20_1490:
	v_cmp_ne_u16_e32 vcc_lo, 0, v6
	v_mov_b32_e32 v5, 0
	s_and_not1_b32 s1, s1, exec_lo
	s_and_b32 s11, vcc_lo, exec_lo
	s_delay_alu instid0(SALU_CYCLE_1)
	s_or_b32 s1, s1, s11
	s_or_b32 exec_lo, exec_lo, s12
	s_and_saveexec_b32 s11, s1
	s_cbranch_execnz .LBB20_1471
	s_branch .LBB20_1472
.LBB20_1491:
	s_mov_b32 s0, -1
.LBB20_1492:
                                        ; implicit-def: $vgpr5
.LBB20_1493:
	s_and_b32 vcc_lo, exec_lo, s1
	s_mov_b32 s1, 0
	s_cbranch_vccz .LBB20_1495
; %bb.1494:
	v_cmp_ne_u16_e64 s0, 11, v9
	s_mov_b32 s1, -1
                                        ; implicit-def: $vgpr5
.LBB20_1495:
	s_delay_alu instid0(VALU_DEP_1)
	s_and_b32 vcc_lo, exec_lo, s0
	s_cbranch_vccnz .LBB20_1523
; %bb.1496:
	s_and_not1_b32 vcc_lo, exec_lo, s1
	s_cbranch_vccnz .LBB20_1498
.LBB20_1497:
	global_load_u8 v5, v[3:4], off
	s_mov_b32 s11, -1
	s_waitcnt vmcnt(0)
	v_cmp_ne_u16_e32 vcc_lo, 0, v5
	v_cndmask_b32_e64 v5, 0, 1.0, vcc_lo
.LBB20_1498:
.LBB20_1499:
	s_and_not1_b32 vcc_lo, exec_lo, s11
	s_cbranch_vccnz .LBB20_1736
.LBB20_1500:
	v_mov_b32_e32 v4, 0x7f800000
	s_mov_b32 s11, exec_lo
	s_waitcnt vmcnt(0)
	s_delay_alu instid0(VALU_DEP_2)
	v_cmpx_neq_f32_e32 0, v5
	s_cbranch_execz .LBB20_1512
; %bb.1501:
	v_mov_b32_e32 v4, 0x7fc00000
	s_mov_b32 s12, exec_lo
	v_cmpx_ngt_f32_e32 0, v5
	s_cbranch_execz .LBB20_1511
; %bb.1502:
                                        ; implicit-def: $vgpr4
	s_mov_b32 s0, exec_lo
	v_cmpx_ge_f32_e32 2.0, v5
	s_xor_b32 s13, exec_lo, s0
	s_cbranch_execz .LBB20_1508
; %bb.1503:
	v_mul_f32_e32 v3, 0.5, v5
	s_mov_b32 s0, exec_lo
                                        ; implicit-def: $vgpr6
                                        ; implicit-def: $vgpr4
	v_cmpx_ge_f32_e32 0x41000000, v5
	s_xor_b32 s0, exec_lo, s0
	s_cbranch_execz .LBB20_1505
; %bb.1504:
	v_dual_add_f32 v4, -2.0, v3 :: v_dual_mul_f32 v11, 0x3fb8aa3b, v5
	s_mov_b32 s1, 0x224cf950
	v_cmp_ngt_f32_e32 vcc_lo, 0xc2ce8ed0, v5
	s_delay_alu instid0(VALU_DEP_2) | instskip(SKIP_1) | instid1(VALU_DEP_2)
	v_rndne_f32_e32 v12, v11
	v_fma_f32 v13, 0x3fb8aa3b, v5, -v11
	v_sub_f32_e32 v11, v11, v12
	s_delay_alu instid0(VALU_DEP_2) | instskip(NEXT) | instid1(VALU_DEP_1)
	v_fmamk_f32 v13, v5, 0x32a5705f, v13
	v_dual_fmaak_f32 v6, s1, v4, 0xa3c2be86 :: v_dual_add_f32 v11, v11, v13
	s_delay_alu instid0(VALU_DEP_1) | instskip(NEXT) | instid1(VALU_DEP_1)
	v_fmaak_f32 v10, v4, v6, 0xa24cf950
	v_add_f32_e32 v10, 0x25331f1f, v10
	s_delay_alu instid0(VALU_DEP_1) | instskip(NEXT) | instid1(VALU_DEP_1)
	v_fma_f32 v6, v4, v10, -v6
	v_add_f32_e32 v6, 0xa69f5554, v6
	s_delay_alu instid0(VALU_DEP_1) | instskip(NEXT) | instid1(VALU_DEP_1)
	v_fma_f32 v10, v4, v6, -v10
	;; [unrolled: 3-line block ×25, first 2 shown]
	v_add_f32_e32 v6, 0xbe34a688, v6
	s_delay_alu instid0(VALU_DEP_1) | instskip(SKIP_2) | instid1(VALU_DEP_2)
	v_fma_f32 v4, v4, v6, -v10
	v_exp_f32_e32 v6, v11
	v_cvt_i32_f32_e32 v11, v12
	v_add_f32_e32 v4, 0x3e81531c, v4
	s_delay_alu instid0(VALU_DEP_1) | instskip(SKIP_3) | instid1(VALU_DEP_2)
	v_sub_f32_e32 v4, v4, v10
	s_waitcnt_depctr 0xfff
	v_ldexp_f32 v6, v6, v11
	v_mul_f32_e32 v4, 0.5, v4
	v_cndmask_b32_e32 v6, 0, v6, vcc_lo
	v_cmp_nlt_f32_e32 vcc_lo, 0x42b17218, v5
	s_delay_alu instid0(VALU_DEP_3) | instskip(NEXT) | instid1(VALU_DEP_3)
	v_mul_f32_e32 v10, v5, v4
	v_cndmask_b32_e32 v4, 0x7f800000, v6, vcc_lo
	s_delay_alu instid0(VALU_DEP_1)
	v_mul_f32_e32 v6, v4, v10
.LBB20_1505:
	s_and_not1_saveexec_b32 s1, s0
	s_cbranch_execz .LBB20_1507
; %bb.1506:
	v_div_scale_f32 v4, null, v5, v5, 0x42000000
	v_div_scale_f32 v11, vcc_lo, 0x42000000, v5, 0x42000000
	s_mov_b32 s0, 0x230aab6e
	s_delay_alu instid0(VALU_DEP_2) | instskip(SKIP_2) | instid1(VALU_DEP_1)
	v_rcp_f32_e32 v6, v4
	s_waitcnt_depctr 0xfff
	v_fma_f32 v10, -v4, v6, 1.0
	v_fmac_f32_e32 v6, v10, v6
	s_delay_alu instid0(VALU_DEP_1) | instskip(NEXT) | instid1(VALU_DEP_1)
	v_mul_f32_e32 v10, v11, v6
	v_fma_f32 v12, -v4, v10, v11
	s_delay_alu instid0(VALU_DEP_1) | instskip(SKIP_1) | instid1(VALU_DEP_2)
	v_fmac_f32_e32 v10, v12, v6
	v_mul_f32_e32 v12, 0x3fb8aa3b, v5
	v_fma_f32 v4, -v4, v10, v11
	v_mul_f32_e32 v11, 0x4f800000, v5
	s_delay_alu instid0(VALU_DEP_3) | instskip(SKIP_1) | instid1(VALU_DEP_4)
	v_rndne_f32_e32 v13, v12
	v_fma_f32 v14, 0x3fb8aa3b, v5, -v12
	v_div_fmas_f32 v4, v4, v6, v10
	v_cmp_gt_f32_e32 vcc_lo, 0xf800000, v5
	s_delay_alu instid0(VALU_DEP_4) | instskip(NEXT) | instid1(VALU_DEP_4)
	v_sub_f32_e32 v12, v12, v13
	v_fmamk_f32 v14, v5, 0x32a5705f, v14
	v_cvt_i32_f32_e32 v13, v13
	v_div_fixup_f32 v4, v4, v5, 0x42000000
	s_delay_alu instid0(VALU_DEP_3) | instskip(NEXT) | instid1(VALU_DEP_2)
	v_dual_cndmask_b32 v11, v5, v11 :: v_dual_add_f32 v12, v12, v14
	v_add_f32_e32 v4, -2.0, v4
	s_delay_alu instid0(VALU_DEP_2) | instskip(NEXT) | instid1(VALU_DEP_2)
	v_sqrt_f32_e32 v15, v11
	v_exp_f32_e32 v12, v12
	s_delay_alu instid0(VALU_DEP_1) | instskip(NEXT) | instid1(VALU_DEP_1)
	v_fmaak_f32 v6, s0, v4, 0x22a2dc57
	v_fmaak_f32 v10, v4, v6, 0xa30aab6e
	s_waitcnt_depctr 0xfff
	v_add_nc_u32_e32 v14, -1, v15
	v_add_nc_u32_e32 v16, 1, v15
	v_add_f32_e32 v10, 0xa456751e, v10
	s_delay_alu instid0(VALU_DEP_3) | instskip(NEXT) | instid1(VALU_DEP_3)
	v_fma_f32 v17, -v14, v15, v11
	v_fma_f32 v18, -v16, v15, v11
	s_delay_alu instid0(VALU_DEP_3) | instskip(NEXT) | instid1(VALU_DEP_3)
	v_fma_f32 v6, v4, v10, -v6
	v_cmp_ge_f32_e64 s0, 0, v17
	s_delay_alu instid0(VALU_DEP_2) | instskip(NEXT) | instid1(VALU_DEP_2)
	v_add_f32_e32 v6, 0xa4140365, v6
	v_cndmask_b32_e64 v14, v15, v14, s0
	v_cmp_lt_f32_e64 s0, 0, v18
	s_delay_alu instid0(VALU_DEP_3) | instskip(NEXT) | instid1(VALU_DEP_1)
	v_fma_f32 v10, v4, v6, -v10
	v_add_f32_e32 v10, 0x25aac8b0, v10
	s_delay_alu instid0(VALU_DEP_1) | instskip(NEXT) | instid1(VALU_DEP_1)
	v_fma_f32 v6, v4, v10, -v6
	v_add_f32_e32 v6, 0x25beb473, v6
	s_delay_alu instid0(VALU_DEP_1) | instskip(NEXT) | instid1(VALU_DEP_1)
	;; [unrolled: 3-line block ×19, first 2 shown]
	v_fma_f32 v6, v4, v10, -v6
	v_add_f32_e32 v6, 0xbc1fed03, v6
	s_delay_alu instid0(VALU_DEP_1) | instskip(SKIP_3) | instid1(VALU_DEP_4)
	v_fma_f32 v4, v4, v6, -v10
	v_ldexp_f32 v6, v12, v13
	v_cndmask_b32_e64 v12, v14, v16, s0
	v_cmp_ngt_f32_e64 s0, 0xc2ce8ed0, v5
	v_add_f32_e32 v4, 0x3f4750c6, v4
	s_delay_alu instid0(VALU_DEP_3) | instskip(NEXT) | instid1(VALU_DEP_3)
	v_mul_f32_e32 v13, 0x37800000, v12
	v_cndmask_b32_e64 v6, 0, v6, s0
	v_cmp_nlt_f32_e64 s0, 0x42b17218, v5
	s_delay_alu instid0(VALU_DEP_4) | instskip(NEXT) | instid1(VALU_DEP_2)
	v_sub_f32_e32 v10, v4, v10
	v_cndmask_b32_e64 v4, 0x7f800000, v6, s0
	v_cndmask_b32_e32 v6, v12, v13, vcc_lo
	s_delay_alu instid0(VALU_DEP_3) | instskip(SKIP_1) | instid1(VALU_DEP_2)
	v_mul_f32_e32 v10, 0.5, v10
	v_cmp_class_f32_e64 vcc_lo, v11, 0x260
	v_mul_f32_e32 v10, v4, v10
	s_delay_alu instid0(VALU_DEP_4) | instskip(NEXT) | instid1(VALU_DEP_1)
	v_cndmask_b32_e32 v6, v6, v11, vcc_lo
	v_div_scale_f32 v11, null, v6, v6, v10
	s_delay_alu instid0(VALU_DEP_1) | instskip(SKIP_2) | instid1(VALU_DEP_1)
	v_rcp_f32_e32 v12, v11
	s_waitcnt_depctr 0xfff
	v_fma_f32 v13, -v11, v12, 1.0
	v_fmac_f32_e32 v12, v13, v12
	v_div_scale_f32 v13, vcc_lo, v10, v6, v10
	s_delay_alu instid0(VALU_DEP_1) | instskip(NEXT) | instid1(VALU_DEP_1)
	v_mul_f32_e32 v14, v13, v12
	v_fma_f32 v15, -v11, v14, v13
	s_delay_alu instid0(VALU_DEP_1) | instskip(NEXT) | instid1(VALU_DEP_1)
	v_fmac_f32_e32 v14, v15, v12
	v_fma_f32 v11, -v11, v14, v13
	s_delay_alu instid0(VALU_DEP_1) | instskip(NEXT) | instid1(VALU_DEP_1)
	v_div_fmas_f32 v11, v11, v12, v14
	v_div_fixup_f32 v6, v11, v6, v10
.LBB20_1507:
	s_or_b32 exec_lo, exec_lo, s1
	v_fma_f32 v10, v5, v5, -2.0
	s_mov_b32 s0, 0xa3019142
	v_cmp_gt_f32_e32 vcc_lo, 0x800000, v3
	s_delay_alu instid0(VALU_DEP_2) | instskip(NEXT) | instid1(VALU_DEP_1)
	v_fmaak_f32 v11, s0, v10, 0xa72eea8c
	v_fmaak_f32 v12, v10, v11, 0x23019142
	s_delay_alu instid0(VALU_DEP_1) | instskip(NEXT) | instid1(VALU_DEP_1)
	v_add_f32_e32 v12, 0xab3ba817, v12
	v_fma_f32 v11, v10, v12, -v11
	s_delay_alu instid0(VALU_DEP_1) | instskip(NEXT) | instid1(VALU_DEP_1)
	v_add_f32_e32 v11, 0xaf1b31de, v11
	v_fma_f32 v12, v10, v11, -v12
	;; [unrolled: 3-line block ×8, first 2 shown]
	s_delay_alu instid0(VALU_DEP_1) | instskip(NEXT) | instid1(VALU_DEP_1)
	v_add_f32_e32 v10, 0x3fc33d0a, v10
	v_sub_f32_e32 v10, v10, v12
	v_cndmask_b32_e64 v12, 1.0, 0x4f800000, vcc_lo
	s_delay_alu instid0(VALU_DEP_1) | instskip(NEXT) | instid1(VALU_DEP_1)
	v_dual_mul_f32 v10, 0.5, v10 :: v_dual_mul_f32 v3, v3, v12
	v_div_scale_f32 v11, null, v5, v5, v10
	s_delay_alu instid0(VALU_DEP_2) | instskip(SKIP_1) | instid1(VALU_DEP_2)
	v_log_f32_e32 v3, v3
	v_div_scale_f32 v14, s0, v10, v5, v10
	v_rcp_f32_e32 v13, v11
	s_waitcnt_depctr 0xfff
	v_cmp_gt_f32_e64 s1, 0x7f800000, |v3|
	v_fma_f32 v12, -v11, v13, 1.0
	s_delay_alu instid0(VALU_DEP_1) | instskip(NEXT) | instid1(VALU_DEP_1)
	v_dual_fmac_f32 v13, v12, v13 :: v_dual_mul_f32 v12, 0x3f317217, v3
	v_mul_f32_e32 v15, v14, v13
	s_delay_alu instid0(VALU_DEP_2) | instskip(NEXT) | instid1(VALU_DEP_2)
	v_fma_f32 v16, 0x3f317217, v3, -v12
	v_fma_f32 v17, -v11, v15, v14
	s_delay_alu instid0(VALU_DEP_1) | instskip(NEXT) | instid1(VALU_DEP_1)
	v_dual_fmamk_f32 v16, v3, 0x3377d1cf, v16 :: v_dual_fmac_f32 v15, v17, v13
	v_add_f32_e32 v12, v12, v16
	s_delay_alu instid0(VALU_DEP_2) | instskip(NEXT) | instid1(VALU_DEP_2)
	v_fma_f32 v11, -v11, v15, v14
	v_cndmask_b32_e64 v3, v3, v12, s1
	v_cndmask_b32_e64 v12, 0, 0x41b17218, vcc_lo
	s_mov_b32 vcc_lo, s0
	s_delay_alu instid0(VALU_DEP_3) | instskip(NEXT) | instid1(VALU_DEP_2)
	v_div_fmas_f32 v11, v11, v13, v15
	v_sub_f32_e32 v3, v3, v12
	s_delay_alu instid0(VALU_DEP_2) | instskip(NEXT) | instid1(VALU_DEP_1)
	v_div_fixup_f32 v5, v11, v5, v10
	v_fmac_f32_e32 v5, v3, v6
	s_delay_alu instid0(VALU_DEP_1)
	v_mul_f32_e32 v4, v4, v5
                                        ; implicit-def: $vgpr5
.LBB20_1508:
	s_and_not1_saveexec_b32 s1, s13
	s_cbranch_execz .LBB20_1510
; %bb.1509:
	v_div_scale_f32 v3, null, v5, v5, 0x41000000
	v_div_scale_f32 v10, vcc_lo, 0x41000000, v5, 0x41000000
	s_mov_b32 s0, 0xa2d462ea
	s_delay_alu instid0(VALU_DEP_2) | instskip(SKIP_2) | instid1(VALU_DEP_1)
	v_rcp_f32_e32 v4, v3
	s_waitcnt_depctr 0xfff
	v_fma_f32 v6, -v3, v4, 1.0
	v_fmac_f32_e32 v4, v6, v4
	s_delay_alu instid0(VALU_DEP_1) | instskip(NEXT) | instid1(VALU_DEP_1)
	v_mul_f32_e32 v6, v10, v4
	v_fma_f32 v11, -v3, v6, v10
	s_delay_alu instid0(VALU_DEP_1) | instskip(NEXT) | instid1(VALU_DEP_1)
	v_fmac_f32_e32 v6, v11, v4
	v_fma_f32 v3, -v3, v6, v10
	v_mul_f32_e32 v10, 0x4f800000, v5
	s_delay_alu instid0(VALU_DEP_2) | instskip(SKIP_1) | instid1(VALU_DEP_2)
	v_div_fmas_f32 v3, v3, v4, v6
	v_cmp_gt_f32_e32 vcc_lo, 0xf800000, v5
	v_div_fixup_f32 v3, v3, v5, 0x41000000
	s_delay_alu instid0(VALU_DEP_4) | instskip(NEXT) | instid1(VALU_DEP_2)
	v_cndmask_b32_e32 v5, v5, v10, vcc_lo
	v_add_f32_e32 v3, -2.0, v3
	s_delay_alu instid0(VALU_DEP_2) | instskip(NEXT) | instid1(VALU_DEP_1)
	v_sqrt_f32_e32 v10, v5
	v_fmaak_f32 v4, s0, v3, 0x23a578d4
	s_waitcnt_depctr 0xfff
	v_dual_fmaak_f32 v6, v3, v4, 0x22d462ea :: v_dual_add_nc_u32 v11, -1, v10
	s_delay_alu instid0(VALU_DEP_1) | instskip(NEXT) | instid1(VALU_DEP_2)
	v_add_f32_e32 v6, 0xa48330a9, v6
	v_fma_f32 v13, -v11, v10, v5
	s_delay_alu instid0(VALU_DEP_2) | instskip(NEXT) | instid1(VALU_DEP_2)
	v_fma_f32 v4, v3, v6, -v4
	v_cmp_ge_f32_e64 s0, 0, v13
	s_delay_alu instid0(VALU_DEP_2) | instskip(NEXT) | instid1(VALU_DEP_1)
	v_add_f32_e32 v4, 0x2553eaf2, v4
	v_fma_f32 v6, v3, v4, -v6
	s_delay_alu instid0(VALU_DEP_1) | instskip(NEXT) | instid1(VALU_DEP_1)
	v_add_f32_e32 v6, 0xa62e951f, v6
	v_fma_f32 v4, v3, v6, -v4
	s_delay_alu instid0(VALU_DEP_1) | instskip(NEXT) | instid1(VALU_DEP_1)
	;; [unrolled: 3-line block ×21, first 2 shown]
	v_dual_add_f32 v3, 0x402e1ebd, v3 :: v_dual_add_nc_u32 v12, 1, v10
	v_fma_f32 v14, -v12, v10, v5
	v_cndmask_b32_e64 v10, v10, v11, s0
	s_delay_alu instid0(VALU_DEP_3) | instskip(NEXT) | instid1(VALU_DEP_3)
	v_sub_f32_e32 v3, v3, v6
	v_cmp_lt_f32_e64 s0, 0, v14
	s_delay_alu instid0(VALU_DEP_2) | instskip(NEXT) | instid1(VALU_DEP_2)
	v_mul_f32_e32 v3, 0.5, v3
	v_cndmask_b32_e64 v10, v10, v12, s0
	s_delay_alu instid0(VALU_DEP_1) | instskip(NEXT) | instid1(VALU_DEP_1)
	v_mul_f32_e32 v4, 0x37800000, v10
	v_cndmask_b32_e32 v4, v10, v4, vcc_lo
	v_cmp_class_f32_e64 vcc_lo, v5, 0x260
	s_delay_alu instid0(VALU_DEP_2) | instskip(NEXT) | instid1(VALU_DEP_1)
	v_cndmask_b32_e32 v4, v4, v5, vcc_lo
	v_div_scale_f32 v5, null, v4, v4, v3
	s_delay_alu instid0(VALU_DEP_1) | instskip(SKIP_2) | instid1(VALU_DEP_1)
	v_rcp_f32_e32 v6, v5
	s_waitcnt_depctr 0xfff
	v_fma_f32 v10, -v5, v6, 1.0
	v_fmac_f32_e32 v6, v10, v6
	v_div_scale_f32 v10, vcc_lo, v3, v4, v3
	s_delay_alu instid0(VALU_DEP_1) | instskip(NEXT) | instid1(VALU_DEP_1)
	v_mul_f32_e32 v11, v10, v6
	v_fma_f32 v12, -v5, v11, v10
	s_delay_alu instid0(VALU_DEP_1) | instskip(NEXT) | instid1(VALU_DEP_1)
	v_fmac_f32_e32 v11, v12, v6
	v_fma_f32 v5, -v5, v11, v10
	s_delay_alu instid0(VALU_DEP_1) | instskip(NEXT) | instid1(VALU_DEP_1)
	v_div_fmas_f32 v5, v5, v6, v11
	v_div_fixup_f32 v4, v5, v4, v3
.LBB20_1510:
	s_or_b32 exec_lo, exec_lo, s1
.LBB20_1511:
	s_delay_alu instid0(SALU_CYCLE_1)
	s_or_b32 exec_lo, exec_lo, s12
.LBB20_1512:
	s_delay_alu instid0(SALU_CYCLE_1) | instskip(SKIP_2) | instid1(VALU_DEP_2)
	s_or_b32 exec_lo, exec_lo, s11
	v_add_nc_u32_e32 v1, s3, v1
	v_cmp_gt_i16_e32 vcc_lo, 11, v9
	v_ashrrev_i32_e32 v3, 31, v1
	v_add_co_u32 v5, s0, s6, v1
	s_delay_alu instid0(VALU_DEP_1)
	v_add_co_ci_u32_e64 v6, s0, s7, v3, s0
	s_cbranch_vccnz .LBB20_1519
; %bb.1513:
	v_cmp_lt_i16_e32 vcc_lo, 25, v9
	s_mov_b32 s1, 0
	s_cbranch_vccz .LBB20_1520
; %bb.1514:
	v_cmp_lt_i16_e32 vcc_lo, 28, v9
	s_cbranch_vccz .LBB20_1521
; %bb.1515:
	v_cmp_lt_i16_e32 vcc_lo, 43, v9
	;; [unrolled: 3-line block ×3, first 2 shown]
	s_cbranch_vccz .LBB20_1525
; %bb.1517:
	v_cmp_eq_u16_e32 vcc_lo, 46, v9
	s_mov_b32 s6, 0
	s_cbranch_vccz .LBB20_1528
; %bb.1518:
	global_load_b32 v1, v[5:6], off
	s_mov_b32 s0, 0
	s_mov_b32 s3, -1
	s_waitcnt vmcnt(0)
	v_lshlrev_b32_e32 v1, 16, v1
	s_branch .LBB20_1530
.LBB20_1519:
	s_mov_b32 s0, -1
	s_mov_b32 s3, 0
                                        ; implicit-def: $vgpr1
	s_branch .LBB20_1596
.LBB20_1520:
	s_mov_b32 s6, -1
	s_mov_b32 s3, 0
	s_mov_b32 s0, 0
                                        ; implicit-def: $vgpr1
	s_branch .LBB20_1559
.LBB20_1521:
	s_mov_b32 s6, -1
	s_mov_b32 s3, 0
	s_mov_b32 s0, 0
                                        ; implicit-def: $vgpr1
	s_branch .LBB20_1540
.LBB20_1522:
	s_mov_b32 s6, -1
	s_mov_b32 s3, 0
	s_mov_b32 s0, 0
                                        ; implicit-def: $vgpr1
	s_branch .LBB20_1535
.LBB20_1523:
	s_cbranch_execnz .LBB20_1526
; %bb.1524:
	s_or_b32 s8, s8, exec_lo
                                        ; implicit-def: $vgpr5
	s_cbranch_execz .LBB20_1497
	s_branch .LBB20_1498
.LBB20_1525:
	s_mov_b32 s6, -1
	s_mov_b32 s3, 0
	s_mov_b32 s0, 0
	s_branch .LBB20_1529
.LBB20_1526:
	s_trap 2
	s_sendmsg_rtn_b32 s0, sendmsg(MSG_RTN_GET_DOORBELL)
	s_mov_b32 ttmp2, m0
	s_waitcnt lgkmcnt(0)
	s_and_b32 s0, s0, 0x3ff
	s_delay_alu instid0(SALU_CYCLE_1) | instskip(NEXT) | instid1(SALU_CYCLE_1)
	s_bitset1_b32 s0, 10
	s_mov_b32 m0, s0
	s_sendmsg sendmsg(MSG_INTERRUPT)
	s_mov_b32 m0, ttmp2
.LBB20_1527:                            ; =>This Inner Loop Header: Depth=1
	s_sethalt 5
	s_branch .LBB20_1527
.LBB20_1528:
	s_mov_b32 s0, -1
	s_mov_b32 s3, 0
.LBB20_1529:
                                        ; implicit-def: $vgpr1
.LBB20_1530:
	s_and_b32 vcc_lo, exec_lo, s6
	s_cbranch_vccz .LBB20_1534
; %bb.1531:
	v_cmp_eq_u16_e32 vcc_lo, 44, v9
	s_cbranch_vccz .LBB20_1533
; %bb.1532:
	global_load_u8 v1, v[5:6], off
	s_mov_b32 s0, 0
	s_mov_b32 s3, -1
	s_waitcnt vmcnt(0)
	v_lshlrev_b32_e32 v3, 23, v1
	v_cmp_ne_u32_e32 vcc_lo, 0xff, v1
	s_delay_alu instid0(VALU_DEP_2) | instskip(SKIP_1) | instid1(VALU_DEP_2)
	v_cndmask_b32_e32 v3, 0x7f800001, v3, vcc_lo
	v_cmp_ne_u32_e32 vcc_lo, 0, v1
	v_cndmask_b32_e32 v1, 0x400000, v3, vcc_lo
	s_branch .LBB20_1534
.LBB20_1533:
	s_mov_b32 s0, -1
                                        ; implicit-def: $vgpr1
.LBB20_1534:
	s_mov_b32 s6, 0
.LBB20_1535:
	s_delay_alu instid0(SALU_CYCLE_1)
	s_and_b32 vcc_lo, exec_lo, s6
	s_cbranch_vccz .LBB20_1539
; %bb.1536:
	v_cmp_eq_u16_e32 vcc_lo, 29, v9
	s_cbranch_vccz .LBB20_1538
; %bb.1537:
	global_load_b64 v[10:11], v[5:6], off
	s_mov_b32 s0, 0
	s_mov_b32 s3, -1
	s_mov_b32 s6, 0
	s_waitcnt vmcnt(0)
	v_clz_i32_u32_e32 v1, v11
	s_delay_alu instid0(VALU_DEP_1) | instskip(NEXT) | instid1(VALU_DEP_1)
	v_min_u32_e32 v1, 32, v1
	v_lshlrev_b64 v[10:11], v1, v[10:11]
	v_sub_nc_u32_e32 v1, 32, v1
	s_delay_alu instid0(VALU_DEP_2) | instskip(NEXT) | instid1(VALU_DEP_1)
	v_min_u32_e32 v3, 1, v10
	v_or_b32_e32 v3, v11, v3
	s_delay_alu instid0(VALU_DEP_1) | instskip(NEXT) | instid1(VALU_DEP_1)
	v_cvt_f32_u32_e32 v3, v3
	v_ldexp_f32 v1, v3, v1
	s_branch .LBB20_1540
.LBB20_1538:
	s_mov_b32 s0, -1
                                        ; implicit-def: $vgpr1
.LBB20_1539:
	s_mov_b32 s6, 0
.LBB20_1540:
	s_delay_alu instid0(SALU_CYCLE_1)
	s_and_b32 vcc_lo, exec_lo, s6
	s_cbranch_vccz .LBB20_1558
; %bb.1541:
	v_cmp_gt_i16_e32 vcc_lo, 27, v9
	s_cbranch_vccnz .LBB20_1544
; %bb.1542:
	v_cmp_lt_i16_e32 vcc_lo, 27, v9
	s_cbranch_vccz .LBB20_1545
; %bb.1543:
	global_load_b32 v1, v[5:6], off
	s_mov_b32 s3, 0
	s_waitcnt vmcnt(0)
	v_cvt_f32_u32_e32 v1, v1
	s_branch .LBB20_1546
.LBB20_1544:
	s_mov_b32 s3, -1
                                        ; implicit-def: $vgpr1
	s_branch .LBB20_1549
.LBB20_1545:
	s_mov_b32 s3, -1
                                        ; implicit-def: $vgpr1
.LBB20_1546:
	s_delay_alu instid0(SALU_CYCLE_1)
	s_and_not1_b32 vcc_lo, exec_lo, s3
	s_cbranch_vccnz .LBB20_1548
; %bb.1547:
	global_load_u16 v1, v[5:6], off
	s_waitcnt vmcnt(0)
	v_cvt_f32_u32_e32 v1, v1
.LBB20_1548:
	s_mov_b32 s3, 0
.LBB20_1549:
	s_delay_alu instid0(SALU_CYCLE_1)
	s_and_not1_b32 vcc_lo, exec_lo, s3
	s_cbranch_vccnz .LBB20_1557
; %bb.1550:
	global_load_u8 v3, v[5:6], off
	s_mov_b32 s3, 0
	s_mov_b32 s7, exec_lo
                                        ; implicit-def: $sgpr6
	s_waitcnt vmcnt(0)
	v_cmpx_lt_i16_e32 0x7f, v3
	s_xor_b32 s7, exec_lo, s7
	s_cbranch_execz .LBB20_1571
; %bb.1551:
	s_mov_b32 s3, -1
	s_mov_b32 s11, exec_lo
                                        ; implicit-def: $sgpr6
	v_cmpx_eq_u16_e32 0x80, v3
; %bb.1552:
	s_mov_b32 s6, 0x7f800001
	s_xor_b32 s3, exec_lo, -1
; %bb.1553:
	s_or_b32 exec_lo, exec_lo, s11
	s_delay_alu instid0(SALU_CYCLE_1)
	s_and_b32 s3, s3, exec_lo
	s_or_saveexec_b32 s7, s7
	v_mov_b32_e32 v1, s6
	s_xor_b32 exec_lo, exec_lo, s7
	s_cbranch_execnz .LBB20_1572
.LBB20_1554:
	s_or_b32 exec_lo, exec_lo, s7
	s_and_saveexec_b32 s6, s3
	s_cbranch_execz .LBB20_1556
.LBB20_1555:
	v_and_b32_e32 v1, 0xffff, v3
	v_lshlrev_b32_e32 v3, 24, v3
	s_delay_alu instid0(VALU_DEP_2) | instskip(NEXT) | instid1(VALU_DEP_2)
	v_and_b32_e32 v10, 7, v1
	v_and_b32_e32 v3, 0x80000000, v3
	s_delay_alu instid0(VALU_DEP_2) | instskip(NEXT) | instid1(VALU_DEP_1)
	v_clz_i32_u32_e32 v11, v10
	v_min_u32_e32 v11, 32, v11
	s_delay_alu instid0(VALU_DEP_1) | instskip(SKIP_1) | instid1(VALU_DEP_2)
	v_subrev_nc_u32_e32 v12, 28, v11
	v_sub_nc_u32_e32 v11, 29, v11
	v_lshlrev_b32_e32 v12, v12, v1
	v_bfe_u32 v1, v1, 3, 4
	s_delay_alu instid0(VALU_DEP_2) | instskip(NEXT) | instid1(VALU_DEP_2)
	v_and_b32_e32 v12, 7, v12
	v_cmp_eq_u32_e32 vcc_lo, 0, v1
	s_delay_alu instid0(VALU_DEP_2) | instskip(NEXT) | instid1(VALU_DEP_1)
	v_dual_cndmask_b32 v1, v1, v11 :: v_dual_cndmask_b32 v10, v10, v12
	v_lshl_add_u32 v1, v1, 23, 0x3b800000
	s_delay_alu instid0(VALU_DEP_2) | instskip(NEXT) | instid1(VALU_DEP_1)
	v_lshlrev_b32_e32 v10, 20, v10
	v_or3_b32 v1, v3, v1, v10
.LBB20_1556:
	s_or_b32 exec_lo, exec_lo, s6
.LBB20_1557:
	s_mov_b32 s3, -1
.LBB20_1558:
	s_mov_b32 s6, 0
.LBB20_1559:
	s_delay_alu instid0(SALU_CYCLE_1)
	s_and_b32 vcc_lo, exec_lo, s6
	s_cbranch_vccz .LBB20_1592
; %bb.1560:
	v_cmp_lt_i16_e32 vcc_lo, 22, v9
	s_cbranch_vccz .LBB20_1570
; %bb.1561:
	v_cmp_gt_i16_e32 vcc_lo, 24, v9
	s_cbranch_vccnz .LBB20_1573
; %bb.1562:
	v_cmp_lt_i16_e32 vcc_lo, 24, v9
	s_cbranch_vccz .LBB20_1574
; %bb.1563:
	global_load_u8 v3, v[5:6], off
	s_mov_b32 s6, exec_lo
                                        ; implicit-def: $sgpr3
	s_waitcnt vmcnt(0)
	v_cmpx_lt_i16_e32 0x7f, v3
	s_xor_b32 s6, exec_lo, s6
	s_cbranch_execz .LBB20_1586
; %bb.1564:
	s_mov_b32 s1, -1
	s_mov_b32 s7, exec_lo
                                        ; implicit-def: $sgpr3
	v_cmpx_eq_u16_e32 0x80, v3
; %bb.1565:
	s_mov_b32 s3, 0x7f800001
	s_xor_b32 s1, exec_lo, -1
; %bb.1566:
	s_or_b32 exec_lo, exec_lo, s7
	s_delay_alu instid0(SALU_CYCLE_1)
	s_and_b32 s1, s1, exec_lo
	s_or_saveexec_b32 s6, s6
	v_mov_b32_e32 v1, s3
	s_xor_b32 exec_lo, exec_lo, s6
	s_cbranch_execnz .LBB20_1587
.LBB20_1567:
	s_or_b32 exec_lo, exec_lo, s6
	s_and_saveexec_b32 s3, s1
	s_cbranch_execz .LBB20_1569
.LBB20_1568:
	v_and_b32_e32 v1, 0xffff, v3
	v_lshlrev_b32_e32 v3, 24, v3
	s_delay_alu instid0(VALU_DEP_2) | instskip(NEXT) | instid1(VALU_DEP_2)
	v_and_b32_e32 v10, 3, v1
	v_and_b32_e32 v3, 0x80000000, v3
	s_delay_alu instid0(VALU_DEP_2) | instskip(NEXT) | instid1(VALU_DEP_1)
	v_clz_i32_u32_e32 v11, v10
	v_min_u32_e32 v11, 32, v11
	s_delay_alu instid0(VALU_DEP_1) | instskip(SKIP_1) | instid1(VALU_DEP_2)
	v_subrev_nc_u32_e32 v12, 29, v11
	v_sub_nc_u32_e32 v11, 30, v11
	v_lshlrev_b32_e32 v12, v12, v1
	v_bfe_u32 v1, v1, 2, 5
	s_delay_alu instid0(VALU_DEP_2) | instskip(NEXT) | instid1(VALU_DEP_2)
	v_and_b32_e32 v12, 3, v12
	v_cmp_eq_u32_e32 vcc_lo, 0, v1
	s_delay_alu instid0(VALU_DEP_2) | instskip(NEXT) | instid1(VALU_DEP_1)
	v_dual_cndmask_b32 v1, v1, v11 :: v_dual_cndmask_b32 v10, v10, v12
	v_lshl_add_u32 v1, v1, 23, 0x37800000
	s_delay_alu instid0(VALU_DEP_2) | instskip(NEXT) | instid1(VALU_DEP_1)
	v_lshlrev_b32_e32 v10, 21, v10
	v_or3_b32 v1, v3, v1, v10
.LBB20_1569:
	s_or_b32 exec_lo, exec_lo, s3
	s_mov_b32 s1, 0
	s_branch .LBB20_1575
.LBB20_1570:
	s_mov_b32 s1, -1
                                        ; implicit-def: $vgpr1
	s_branch .LBB20_1581
.LBB20_1571:
	s_or_saveexec_b32 s7, s7
	v_mov_b32_e32 v1, s6
	s_xor_b32 exec_lo, exec_lo, s7
	s_cbranch_execz .LBB20_1554
.LBB20_1572:
	v_cmp_ne_u16_e32 vcc_lo, 0, v3
	v_mov_b32_e32 v1, 0
	s_and_not1_b32 s3, s3, exec_lo
	s_and_b32 s6, vcc_lo, exec_lo
	s_delay_alu instid0(SALU_CYCLE_1)
	s_or_b32 s3, s3, s6
	s_or_b32 exec_lo, exec_lo, s7
	s_and_saveexec_b32 s6, s3
	s_cbranch_execnz .LBB20_1555
	s_branch .LBB20_1556
.LBB20_1573:
	s_mov_b32 s1, -1
                                        ; implicit-def: $vgpr1
	s_branch .LBB20_1578
.LBB20_1574:
	s_mov_b32 s1, -1
                                        ; implicit-def: $vgpr1
.LBB20_1575:
	s_delay_alu instid0(SALU_CYCLE_1)
	s_and_b32 vcc_lo, exec_lo, s1
	s_cbranch_vccz .LBB20_1577
; %bb.1576:
	global_load_u8 v1, v[5:6], off
	s_waitcnt vmcnt(0)
	v_lshlrev_b32_e32 v1, 24, v1
	s_delay_alu instid0(VALU_DEP_1) | instskip(NEXT) | instid1(VALU_DEP_1)
	v_and_b32_e32 v3, 0x7f000000, v1
	v_clz_i32_u32_e32 v10, v3
	v_cmp_ne_u32_e32 vcc_lo, 0, v3
	v_add_nc_u32_e32 v12, 0x1000000, v3
	s_delay_alu instid0(VALU_DEP_3) | instskip(NEXT) | instid1(VALU_DEP_1)
	v_min_u32_e32 v10, 32, v10
	v_sub_nc_u32_e64 v10, v10, 4 clamp
	s_delay_alu instid0(VALU_DEP_1) | instskip(SKIP_1) | instid1(VALU_DEP_2)
	v_lshlrev_b32_e32 v11, v10, v3
	v_lshlrev_b32_e32 v10, 23, v10
	v_lshrrev_b32_e32 v11, 4, v11
	s_delay_alu instid0(VALU_DEP_1) | instskip(SKIP_1) | instid1(VALU_DEP_2)
	v_sub_nc_u32_e32 v10, v11, v10
	v_ashrrev_i32_e32 v11, 8, v12
	v_add_nc_u32_e32 v10, 0x3c000000, v10
	s_delay_alu instid0(VALU_DEP_1) | instskip(NEXT) | instid1(VALU_DEP_1)
	v_and_or_b32 v10, 0x7f800000, v11, v10
	v_cndmask_b32_e32 v3, 0, v10, vcc_lo
	s_delay_alu instid0(VALU_DEP_1)
	v_and_or_b32 v1, 0x80000000, v1, v3
.LBB20_1577:
	s_mov_b32 s1, 0
.LBB20_1578:
	s_delay_alu instid0(SALU_CYCLE_1)
	s_and_not1_b32 vcc_lo, exec_lo, s1
	s_cbranch_vccnz .LBB20_1580
; %bb.1579:
	global_load_u8 v1, v[5:6], off
	s_waitcnt vmcnt(0)
	v_lshlrev_b32_e32 v3, 25, v1
	v_lshlrev_b16 v1, 8, v1
	s_delay_alu instid0(VALU_DEP_2) | instskip(NEXT) | instid1(VALU_DEP_2)
	v_lshrrev_b32_e32 v10, 4, v3
	v_and_or_b32 v11, 0x7f00, v1, 0.5
	v_bfe_i32 v1, v1, 0, 16
	s_delay_alu instid0(VALU_DEP_3) | instskip(NEXT) | instid1(VALU_DEP_1)
	v_or_b32_e32 v10, 0x70000000, v10
	v_dual_add_f32 v11, -0.5, v11 :: v_dual_mul_f32 v10, 0x7800000, v10
	v_cmp_gt_u32_e32 vcc_lo, 0x8000000, v3
	s_delay_alu instid0(VALU_DEP_2) | instskip(NEXT) | instid1(VALU_DEP_1)
	v_cndmask_b32_e32 v3, v10, v11, vcc_lo
	v_and_or_b32 v1, 0x80000000, v1, v3
.LBB20_1580:
	s_mov_b32 s1, 0
	s_mov_b32 s3, -1
.LBB20_1581:
	s_and_not1_b32 vcc_lo, exec_lo, s1
	s_mov_b32 s1, 0
	s_cbranch_vccnz .LBB20_1592
; %bb.1582:
	v_cmp_lt_i16_e32 vcc_lo, 14, v9
	s_cbranch_vccz .LBB20_1585
; %bb.1583:
	v_cmp_eq_u16_e32 vcc_lo, 15, v9
	s_cbranch_vccz .LBB20_1588
; %bb.1584:
	global_load_u16 v1, v[5:6], off
	s_mov_b32 s0, 0
	s_mov_b32 s3, -1
	s_waitcnt vmcnt(0)
	v_lshlrev_b32_e32 v1, 16, v1
	s_branch .LBB20_1590
.LBB20_1585:
	s_mov_b32 s1, -1
	s_branch .LBB20_1589
.LBB20_1586:
	s_or_saveexec_b32 s6, s6
	v_mov_b32_e32 v1, s3
	s_xor_b32 exec_lo, exec_lo, s6
	s_cbranch_execz .LBB20_1567
.LBB20_1587:
	v_cmp_ne_u16_e32 vcc_lo, 0, v3
	v_mov_b32_e32 v1, 0
	s_and_not1_b32 s1, s1, exec_lo
	s_and_b32 s3, vcc_lo, exec_lo
	s_delay_alu instid0(SALU_CYCLE_1)
	s_or_b32 s1, s1, s3
	s_or_b32 exec_lo, exec_lo, s6
	s_and_saveexec_b32 s3, s1
	s_cbranch_execnz .LBB20_1568
	s_branch .LBB20_1569
.LBB20_1588:
	s_mov_b32 s0, -1
.LBB20_1589:
                                        ; implicit-def: $vgpr1
.LBB20_1590:
	s_and_b32 vcc_lo, exec_lo, s1
	s_mov_b32 s1, 0
	s_cbranch_vccz .LBB20_1592
; %bb.1591:
	v_cmp_ne_u16_e64 s0, 11, v9
	s_mov_b32 s1, -1
                                        ; implicit-def: $vgpr1
.LBB20_1592:
	s_delay_alu instid0(VALU_DEP_1)
	s_and_b32 vcc_lo, exec_lo, s0
	s_cbranch_vccnz .LBB20_2138
; %bb.1593:
	s_and_not1_b32 vcc_lo, exec_lo, s1
	s_cbranch_vccnz .LBB20_1595
.LBB20_1594:
	global_load_u8 v1, v[5:6], off
	s_mov_b32 s3, -1
	s_waitcnt vmcnt(0)
	v_cmp_ne_u16_e32 vcc_lo, 0, v1
	v_cndmask_b32_e64 v1, 0, 1.0, vcc_lo
.LBB20_1595:
	s_mov_b32 s0, 0
.LBB20_1596:
	s_delay_alu instid0(SALU_CYCLE_1)
	s_and_b32 vcc_lo, exec_lo, s0
	s_cbranch_vccz .LBB20_1645
; %bb.1597:
	v_cmp_gt_i16_e32 vcc_lo, 5, v9
	s_cbranch_vccnz .LBB20_1602
; %bb.1598:
	v_cmp_gt_i16_e32 vcc_lo, 8, v9
	s_cbranch_vccnz .LBB20_1603
	;; [unrolled: 3-line block ×3, first 2 shown]
; %bb.1600:
	v_cmp_lt_i16_e32 vcc_lo, 9, v9
	s_cbranch_vccz .LBB20_1605
; %bb.1601:
	global_load_b64 v[10:11], v[5:6], off
	s_mov_b32 s0, 0
	s_waitcnt vmcnt(0)
	v_cvt_f32_f64_e32 v1, v[10:11]
	s_branch .LBB20_1606
.LBB20_1602:
	s_mov_b32 s0, -1
                                        ; implicit-def: $vgpr1
	s_branch .LBB20_1624
.LBB20_1603:
	s_mov_b32 s0, -1
                                        ; implicit-def: $vgpr1
	s_branch .LBB20_1612
.LBB20_1604:
	s_mov_b32 s0, -1
                                        ; implicit-def: $vgpr1
	s_branch .LBB20_1609
.LBB20_1605:
	s_mov_b32 s0, -1
                                        ; implicit-def: $vgpr1
.LBB20_1606:
	s_delay_alu instid0(SALU_CYCLE_1)
	s_and_not1_b32 vcc_lo, exec_lo, s0
	s_cbranch_vccnz .LBB20_1608
; %bb.1607:
	global_load_b32 v1, v[5:6], off
.LBB20_1608:
	s_mov_b32 s0, 0
.LBB20_1609:
	s_delay_alu instid0(SALU_CYCLE_1)
	s_and_not1_b32 vcc_lo, exec_lo, s0
	s_cbranch_vccnz .LBB20_1611
; %bb.1610:
	global_load_b32 v1, v[5:6], off
	s_waitcnt vmcnt(0)
	v_cvt_f32_f16_e32 v1, v1
.LBB20_1611:
	s_mov_b32 s0, 0
.LBB20_1612:
	s_delay_alu instid0(SALU_CYCLE_1)
	s_and_not1_b32 vcc_lo, exec_lo, s0
	s_cbranch_vccnz .LBB20_1623
; %bb.1613:
	v_cmp_gt_i16_e32 vcc_lo, 6, v9
	s_cbranch_vccnz .LBB20_1616
; %bb.1614:
	v_cmp_lt_i16_e32 vcc_lo, 6, v9
	s_cbranch_vccz .LBB20_1617
; %bb.1615:
	global_load_b64 v[10:11], v[5:6], off
	s_mov_b32 s0, 0
	s_waitcnt vmcnt(0)
	v_cvt_f32_f64_e32 v1, v[10:11]
	s_branch .LBB20_1618
.LBB20_1616:
	s_mov_b32 s0, -1
                                        ; implicit-def: $vgpr1
	s_branch .LBB20_1621
.LBB20_1617:
	s_mov_b32 s0, -1
                                        ; implicit-def: $vgpr1
.LBB20_1618:
	s_delay_alu instid0(SALU_CYCLE_1)
	s_and_not1_b32 vcc_lo, exec_lo, s0
	s_cbranch_vccnz .LBB20_1620
; %bb.1619:
	global_load_b32 v1, v[5:6], off
.LBB20_1620:
	s_mov_b32 s0, 0
.LBB20_1621:
	s_delay_alu instid0(SALU_CYCLE_1)
	s_and_not1_b32 vcc_lo, exec_lo, s0
	s_cbranch_vccnz .LBB20_1623
; %bb.1622:
	global_load_u16 v1, v[5:6], off
	s_waitcnt vmcnt(0)
	v_cvt_f32_f16_e32 v1, v1
.LBB20_1623:
	s_mov_b32 s0, 0
.LBB20_1624:
	s_delay_alu instid0(SALU_CYCLE_1)
	s_and_not1_b32 vcc_lo, exec_lo, s0
	s_cbranch_vccnz .LBB20_1644
; %bb.1625:
	v_cmp_gt_i16_e32 vcc_lo, 2, v9
	s_cbranch_vccnz .LBB20_1629
; %bb.1626:
	v_cmp_gt_i16_e32 vcc_lo, 3, v9
	s_cbranch_vccnz .LBB20_1630
; %bb.1627:
	v_cmp_lt_i16_e32 vcc_lo, 3, v9
	s_cbranch_vccz .LBB20_1631
; %bb.1628:
	global_load_b64 v[10:11], v[5:6], off
	s_mov_b32 s0, 0
	s_waitcnt vmcnt(0)
	v_xor_b32_e32 v1, v10, v11
	v_cls_i32_e32 v3, v11
	s_delay_alu instid0(VALU_DEP_2) | instskip(NEXT) | instid1(VALU_DEP_2)
	v_ashrrev_i32_e32 v1, 31, v1
	v_add_nc_u32_e32 v3, -1, v3
	s_delay_alu instid0(VALU_DEP_2) | instskip(NEXT) | instid1(VALU_DEP_1)
	v_add_nc_u32_e32 v1, 32, v1
	v_min_u32_e32 v1, v3, v1
	s_delay_alu instid0(VALU_DEP_1) | instskip(SKIP_1) | instid1(VALU_DEP_2)
	v_lshlrev_b64 v[10:11], v1, v[10:11]
	v_sub_nc_u32_e32 v1, 32, v1
	v_min_u32_e32 v3, 1, v10
	s_delay_alu instid0(VALU_DEP_1) | instskip(NEXT) | instid1(VALU_DEP_1)
	v_or_b32_e32 v3, v11, v3
	v_cvt_f32_i32_e32 v3, v3
	s_delay_alu instid0(VALU_DEP_1)
	v_ldexp_f32 v1, v3, v1
	s_branch .LBB20_1632
.LBB20_1629:
	s_mov_b32 s0, -1
                                        ; implicit-def: $vgpr1
	s_branch .LBB20_1638
.LBB20_1630:
	s_mov_b32 s0, -1
                                        ; implicit-def: $vgpr1
	s_branch .LBB20_1635
.LBB20_1631:
	s_mov_b32 s0, -1
                                        ; implicit-def: $vgpr1
.LBB20_1632:
	s_delay_alu instid0(SALU_CYCLE_1)
	s_and_not1_b32 vcc_lo, exec_lo, s0
	s_cbranch_vccnz .LBB20_1634
; %bb.1633:
	global_load_b32 v1, v[5:6], off
	s_waitcnt vmcnt(0)
	v_cvt_f32_i32_e32 v1, v1
.LBB20_1634:
	s_mov_b32 s0, 0
.LBB20_1635:
	s_delay_alu instid0(SALU_CYCLE_1)
	s_and_not1_b32 vcc_lo, exec_lo, s0
	s_cbranch_vccnz .LBB20_1637
; %bb.1636:
	global_load_i16 v1, v[5:6], off
	s_waitcnt vmcnt(0)
	v_cvt_f32_i32_e32 v1, v1
.LBB20_1637:
	s_mov_b32 s0, 0
.LBB20_1638:
	s_delay_alu instid0(SALU_CYCLE_1)
	s_and_not1_b32 vcc_lo, exec_lo, s0
	s_cbranch_vccnz .LBB20_1644
; %bb.1639:
	v_cmp_lt_i16_e32 vcc_lo, 0, v9
	s_mov_b32 s0, 0
	s_cbranch_vccz .LBB20_1641
; %bb.1640:
	global_load_i8 v1, v[5:6], off
	s_waitcnt vmcnt(0)
	v_cvt_f32_i32_e32 v1, v1
	s_branch .LBB20_1642
.LBB20_1641:
	s_mov_b32 s0, -1
                                        ; implicit-def: $vgpr1
.LBB20_1642:
	s_delay_alu instid0(SALU_CYCLE_1)
	s_and_not1_b32 vcc_lo, exec_lo, s0
	s_cbranch_vccnz .LBB20_1644
; %bb.1643:
	global_load_u8 v1, v[5:6], off
	s_waitcnt vmcnt(0)
	v_cvt_f32_ubyte0_e32 v1, v1
.LBB20_1644:
	s_mov_b32 s3, -1
.LBB20_1645:
	s_delay_alu instid0(SALU_CYCLE_1)
	s_and_not1_b32 vcc_lo, exec_lo, s3
	s_cbranch_vccnz .LBB20_1736
; %bb.1646:
	v_mov_b32_e32 v6, 0x7f800000
	s_mov_b32 s3, exec_lo
	s_waitcnt vmcnt(0)
	s_delay_alu instid0(VALU_DEP_2)
	v_cmpx_neq_f32_e32 0, v1
	s_cbranch_execz .LBB20_1658
; %bb.1647:
	v_mov_b32_e32 v6, 0x7fc00000
	s_mov_b32 s6, exec_lo
	v_cmpx_ngt_f32_e32 0, v1
	s_cbranch_execz .LBB20_1657
; %bb.1648:
                                        ; implicit-def: $vgpr6
	s_mov_b32 s0, exec_lo
	v_cmpx_ge_f32_e32 2.0, v1
	s_xor_b32 s7, exec_lo, s0
	s_cbranch_execz .LBB20_1654
; %bb.1649:
	v_mul_f32_e32 v3, 0.5, v1
	s_mov_b32 s0, exec_lo
                                        ; implicit-def: $vgpr6
                                        ; implicit-def: $vgpr5
	v_cmpx_ge_f32_e32 0x41000000, v1
	s_xor_b32 s0, exec_lo, s0
	s_cbranch_execz .LBB20_1651
; %bb.1650:
	v_add_f32_e32 v5, -2.0, v3
	s_mov_b32 s1, 0x224cf950
	v_mul_f32_e32 v10, 0x3fb8aa3b, v1
	v_cmp_ngt_f32_e32 vcc_lo, 0xc2ce8ed0, v1
	s_delay_alu instid0(VALU_DEP_3) | instskip(NEXT) | instid1(VALU_DEP_3)
	v_fmaak_f32 v6, s1, v5, 0xa3c2be86
	v_rndne_f32_e32 v11, v10
	v_fma_f32 v12, 0x3fb8aa3b, v1, -v10
	s_delay_alu instid0(VALU_DEP_2) | instskip(NEXT) | instid1(VALU_DEP_2)
	v_dual_fmaak_f32 v9, v5, v6, 0xa24cf950 :: v_dual_sub_f32 v10, v10, v11
	v_fmamk_f32 v12, v1, 0x32a5705f, v12
	s_delay_alu instid0(VALU_DEP_1) | instskip(NEXT) | instid1(VALU_DEP_1)
	v_dual_add_f32 v9, 0x25331f1f, v9 :: v_dual_add_f32 v10, v10, v12
	v_fma_f32 v6, v5, v9, -v6
	s_delay_alu instid0(VALU_DEP_1) | instskip(NEXT) | instid1(VALU_DEP_1)
	v_add_f32_e32 v6, 0xa69f5554, v6
	v_fma_f32 v9, v5, v6, -v9
	s_delay_alu instid0(VALU_DEP_1) | instskip(NEXT) | instid1(VALU_DEP_1)
	v_add_f32_e32 v9, 0x2808ebf8, v9
	;; [unrolled: 3-line block ×25, first 2 shown]
	v_fma_f32 v5, v5, v6, -v9
	v_exp_f32_e32 v6, v10
	v_cvt_i32_f32_e32 v10, v11
	s_delay_alu instid0(VALU_DEP_2) | instskip(NEXT) | instid1(VALU_DEP_1)
	v_add_f32_e32 v5, 0x3e81531c, v5
	v_sub_f32_e32 v5, v5, v9
	s_waitcnt_depctr 0xfff
	v_ldexp_f32 v6, v6, v10
	s_delay_alu instid0(VALU_DEP_1) | instskip(SKIP_1) | instid1(VALU_DEP_2)
	v_dual_mul_f32 v5, 0.5, v5 :: v_dual_cndmask_b32 v6, 0, v6
	v_cmp_nlt_f32_e32 vcc_lo, 0x42b17218, v1
	v_mul_f32_e32 v9, v1, v5
	s_delay_alu instid0(VALU_DEP_3) | instskip(NEXT) | instid1(VALU_DEP_1)
	v_cndmask_b32_e32 v5, 0x7f800000, v6, vcc_lo
	v_mul_f32_e32 v6, v5, v9
.LBB20_1651:
	s_and_not1_saveexec_b32 s1, s0
	s_cbranch_execz .LBB20_1653
; %bb.1652:
	v_div_scale_f32 v5, null, v1, v1, 0x42000000
	v_div_scale_f32 v10, vcc_lo, 0x42000000, v1, 0x42000000
	s_mov_b32 s0, 0x230aab6e
	s_delay_alu instid0(VALU_DEP_2) | instskip(SKIP_2) | instid1(VALU_DEP_1)
	v_rcp_f32_e32 v6, v5
	s_waitcnt_depctr 0xfff
	v_fma_f32 v9, -v5, v6, 1.0
	v_fmac_f32_e32 v6, v9, v6
	s_delay_alu instid0(VALU_DEP_1) | instskip(NEXT) | instid1(VALU_DEP_1)
	v_mul_f32_e32 v9, v10, v6
	v_fma_f32 v11, -v5, v9, v10
	s_delay_alu instid0(VALU_DEP_1) | instskip(SKIP_1) | instid1(VALU_DEP_2)
	v_fmac_f32_e32 v9, v11, v6
	v_mul_f32_e32 v11, 0x3fb8aa3b, v1
	v_fma_f32 v5, -v5, v9, v10
	v_mul_f32_e32 v10, 0x4f800000, v1
	s_delay_alu instid0(VALU_DEP_3) | instskip(SKIP_1) | instid1(VALU_DEP_4)
	v_rndne_f32_e32 v12, v11
	v_fma_f32 v13, 0x3fb8aa3b, v1, -v11
	v_div_fmas_f32 v5, v5, v6, v9
	v_cmp_gt_f32_e32 vcc_lo, 0xf800000, v1
	s_delay_alu instid0(VALU_DEP_4) | instskip(NEXT) | instid1(VALU_DEP_4)
	v_sub_f32_e32 v11, v11, v12
	v_fmamk_f32 v13, v1, 0x32a5705f, v13
	v_cvt_i32_f32_e32 v12, v12
	v_div_fixup_f32 v5, v5, v1, 0x42000000
	s_delay_alu instid0(VALU_DEP_3) | instskip(NEXT) | instid1(VALU_DEP_2)
	v_dual_cndmask_b32 v10, v1, v10 :: v_dual_add_f32 v11, v11, v13
	v_add_f32_e32 v5, -2.0, v5
	s_delay_alu instid0(VALU_DEP_2) | instskip(NEXT) | instid1(VALU_DEP_2)
	v_sqrt_f32_e32 v14, v10
	v_exp_f32_e32 v11, v11
	s_delay_alu instid0(VALU_DEP_1) | instskip(NEXT) | instid1(VALU_DEP_1)
	v_fmaak_f32 v6, s0, v5, 0x22a2dc57
	v_fmaak_f32 v9, v5, v6, 0xa30aab6e
	s_waitcnt_depctr 0xfff
	v_add_nc_u32_e32 v13, -1, v14
	v_add_nc_u32_e32 v15, 1, v14
	v_add_f32_e32 v9, 0xa456751e, v9
	s_delay_alu instid0(VALU_DEP_3) | instskip(NEXT) | instid1(VALU_DEP_3)
	v_fma_f32 v16, -v13, v14, v10
	v_fma_f32 v17, -v15, v14, v10
	s_delay_alu instid0(VALU_DEP_3) | instskip(NEXT) | instid1(VALU_DEP_3)
	v_fma_f32 v6, v5, v9, -v6
	v_cmp_ge_f32_e64 s0, 0, v16
	s_delay_alu instid0(VALU_DEP_2) | instskip(NEXT) | instid1(VALU_DEP_2)
	v_add_f32_e32 v6, 0xa4140365, v6
	v_cndmask_b32_e64 v13, v14, v13, s0
	v_cmp_lt_f32_e64 s0, 0, v17
	s_delay_alu instid0(VALU_DEP_3) | instskip(NEXT) | instid1(VALU_DEP_1)
	v_fma_f32 v9, v5, v6, -v9
	v_add_f32_e32 v9, 0x25aac8b0, v9
	s_delay_alu instid0(VALU_DEP_1) | instskip(NEXT) | instid1(VALU_DEP_1)
	v_fma_f32 v6, v5, v9, -v6
	v_add_f32_e32 v6, 0x25beb473, v6
	s_delay_alu instid0(VALU_DEP_1) | instskip(NEXT) | instid1(VALU_DEP_1)
	;; [unrolled: 3-line block ×19, first 2 shown]
	v_fma_f32 v6, v5, v9, -v6
	v_add_f32_e32 v6, 0xbc1fed03, v6
	s_delay_alu instid0(VALU_DEP_1) | instskip(SKIP_3) | instid1(VALU_DEP_4)
	v_fma_f32 v5, v5, v6, -v9
	v_ldexp_f32 v6, v11, v12
	v_cndmask_b32_e64 v11, v13, v15, s0
	v_cmp_ngt_f32_e64 s0, 0xc2ce8ed0, v1
	v_add_f32_e32 v5, 0x3f4750c6, v5
	s_delay_alu instid0(VALU_DEP_3) | instskip(NEXT) | instid1(VALU_DEP_3)
	v_mul_f32_e32 v12, 0x37800000, v11
	v_cndmask_b32_e64 v6, 0, v6, s0
	v_cmp_nlt_f32_e64 s0, 0x42b17218, v1
	s_delay_alu instid0(VALU_DEP_4) | instskip(NEXT) | instid1(VALU_DEP_2)
	v_sub_f32_e32 v9, v5, v9
	v_cndmask_b32_e64 v5, 0x7f800000, v6, s0
	s_delay_alu instid0(VALU_DEP_2) | instskip(SKIP_1) | instid1(VALU_DEP_2)
	v_dual_cndmask_b32 v6, v11, v12 :: v_dual_mul_f32 v9, 0.5, v9
	v_cmp_class_f32_e64 vcc_lo, v10, 0x260
	v_dual_mul_f32 v9, v5, v9 :: v_dual_cndmask_b32 v6, v6, v10
	s_delay_alu instid0(VALU_DEP_1) | instskip(NEXT) | instid1(VALU_DEP_1)
	v_div_scale_f32 v10, null, v6, v6, v9
	v_rcp_f32_e32 v11, v10
	s_waitcnt_depctr 0xfff
	v_fma_f32 v12, -v10, v11, 1.0
	s_delay_alu instid0(VALU_DEP_1) | instskip(SKIP_1) | instid1(VALU_DEP_1)
	v_fmac_f32_e32 v11, v12, v11
	v_div_scale_f32 v12, vcc_lo, v9, v6, v9
	v_mul_f32_e32 v13, v12, v11
	s_delay_alu instid0(VALU_DEP_1) | instskip(NEXT) | instid1(VALU_DEP_1)
	v_fma_f32 v14, -v10, v13, v12
	v_fmac_f32_e32 v13, v14, v11
	s_delay_alu instid0(VALU_DEP_1) | instskip(NEXT) | instid1(VALU_DEP_1)
	v_fma_f32 v10, -v10, v13, v12
	v_div_fmas_f32 v10, v10, v11, v13
	s_delay_alu instid0(VALU_DEP_1)
	v_div_fixup_f32 v6, v10, v6, v9
.LBB20_1653:
	s_or_b32 exec_lo, exec_lo, s1
	v_fma_f32 v9, v1, v1, -2.0
	s_mov_b32 s0, 0xa3019142
	v_cmp_gt_f32_e32 vcc_lo, 0x800000, v3
	s_delay_alu instid0(VALU_DEP_2) | instskip(NEXT) | instid1(VALU_DEP_1)
	v_fmaak_f32 v10, s0, v9, 0xa72eea8c
	v_fmaak_f32 v11, v9, v10, 0x23019142
	s_delay_alu instid0(VALU_DEP_1) | instskip(NEXT) | instid1(VALU_DEP_1)
	v_add_f32_e32 v11, 0xab3ba817, v11
	v_fma_f32 v10, v9, v11, -v10
	s_delay_alu instid0(VALU_DEP_1) | instskip(NEXT) | instid1(VALU_DEP_1)
	v_add_f32_e32 v10, 0xaf1b31de, v10
	v_fma_f32 v11, v9, v10, -v11
	;; [unrolled: 3-line block ×8, first 2 shown]
	s_delay_alu instid0(VALU_DEP_1) | instskip(NEXT) | instid1(VALU_DEP_1)
	v_add_f32_e32 v9, 0x3fc33d0a, v9
	v_sub_f32_e32 v9, v9, v11
	v_cndmask_b32_e64 v11, 1.0, 0x4f800000, vcc_lo
	s_delay_alu instid0(VALU_DEP_2) | instskip(NEXT) | instid1(VALU_DEP_2)
	v_mul_f32_e32 v9, 0.5, v9
	v_mul_f32_e32 v3, v3, v11
	s_delay_alu instid0(VALU_DEP_2) | instskip(NEXT) | instid1(VALU_DEP_2)
	v_div_scale_f32 v10, null, v1, v1, v9
	v_log_f32_e32 v3, v3
	v_div_scale_f32 v13, s0, v9, v1, v9
	s_delay_alu instid0(VALU_DEP_2) | instskip(SKIP_3) | instid1(VALU_DEP_1)
	v_rcp_f32_e32 v12, v10
	s_waitcnt_depctr 0xfff
	v_cmp_gt_f32_e64 s1, 0x7f800000, |v3|
	v_fma_f32 v11, -v10, v12, 1.0
	v_dual_fmac_f32 v12, v11, v12 :: v_dual_mul_f32 v11, 0x3f317217, v3
	s_delay_alu instid0(VALU_DEP_1) | instskip(NEXT) | instid1(VALU_DEP_2)
	v_mul_f32_e32 v14, v13, v12
	v_fma_f32 v15, 0x3f317217, v3, -v11
	s_delay_alu instid0(VALU_DEP_2) | instskip(NEXT) | instid1(VALU_DEP_1)
	v_fma_f32 v16, -v10, v14, v13
	v_dual_fmamk_f32 v15, v3, 0x3377d1cf, v15 :: v_dual_fmac_f32 v14, v16, v12
	s_delay_alu instid0(VALU_DEP_1) | instskip(NEXT) | instid1(VALU_DEP_2)
	v_add_f32_e32 v11, v11, v15
	v_fma_f32 v10, -v10, v14, v13
	s_delay_alu instid0(VALU_DEP_2) | instskip(SKIP_2) | instid1(VALU_DEP_3)
	v_cndmask_b32_e64 v3, v3, v11, s1
	v_cndmask_b32_e64 v11, 0, 0x41b17218, vcc_lo
	s_mov_b32 vcc_lo, s0
	v_div_fmas_f32 v10, v10, v12, v14
	s_delay_alu instid0(VALU_DEP_2) | instskip(NEXT) | instid1(VALU_DEP_2)
	v_sub_f32_e32 v3, v3, v11
	v_div_fixup_f32 v1, v10, v1, v9
	s_delay_alu instid0(VALU_DEP_1) | instskip(NEXT) | instid1(VALU_DEP_1)
	v_fmac_f32_e32 v1, v3, v6
	v_mul_f32_e32 v6, v5, v1
                                        ; implicit-def: $vgpr1
.LBB20_1654:
	s_and_not1_saveexec_b32 s1, s7
	s_cbranch_execz .LBB20_1656
; %bb.1655:
	v_div_scale_f32 v3, null, v1, v1, 0x41000000
	v_div_scale_f32 v9, vcc_lo, 0x41000000, v1, 0x41000000
	s_mov_b32 s0, 0xa2d462ea
	s_delay_alu instid0(VALU_DEP_2) | instskip(SKIP_2) | instid1(VALU_DEP_1)
	v_rcp_f32_e32 v5, v3
	s_waitcnt_depctr 0xfff
	v_fma_f32 v6, -v3, v5, 1.0
	v_fmac_f32_e32 v5, v6, v5
	s_delay_alu instid0(VALU_DEP_1) | instskip(NEXT) | instid1(VALU_DEP_1)
	v_mul_f32_e32 v6, v9, v5
	v_fma_f32 v10, -v3, v6, v9
	s_delay_alu instid0(VALU_DEP_1) | instskip(NEXT) | instid1(VALU_DEP_1)
	v_fmac_f32_e32 v6, v10, v5
	v_fma_f32 v3, -v3, v6, v9
	v_mul_f32_e32 v9, 0x4f800000, v1
	s_delay_alu instid0(VALU_DEP_2) | instskip(SKIP_1) | instid1(VALU_DEP_2)
	v_div_fmas_f32 v3, v3, v5, v6
	v_cmp_gt_f32_e32 vcc_lo, 0xf800000, v1
	v_div_fixup_f32 v3, v3, v1, 0x41000000
	s_delay_alu instid0(VALU_DEP_4) | instskip(NEXT) | instid1(VALU_DEP_2)
	v_cndmask_b32_e32 v1, v1, v9, vcc_lo
	v_add_f32_e32 v3, -2.0, v3
	s_delay_alu instid0(VALU_DEP_2) | instskip(NEXT) | instid1(VALU_DEP_1)
	v_sqrt_f32_e32 v9, v1
	v_fmaak_f32 v5, s0, v3, 0x23a578d4
	s_delay_alu instid0(VALU_DEP_1) | instskip(SKIP_3) | instid1(VALU_DEP_2)
	v_fmaak_f32 v6, v3, v5, 0x22d462ea
	s_waitcnt_depctr 0xfff
	v_add_nc_u32_e32 v10, -1, v9
	v_dual_add_f32 v6, 0xa48330a9, v6 :: v_dual_add_nc_u32 v11, 1, v9
	v_fma_f32 v12, -v10, v9, v1
	s_delay_alu instid0(VALU_DEP_2) | instskip(NEXT) | instid1(VALU_DEP_3)
	v_fma_f32 v13, -v11, v9, v1
	v_fma_f32 v5, v3, v6, -v5
	s_delay_alu instid0(VALU_DEP_3) | instskip(NEXT) | instid1(VALU_DEP_2)
	v_cmp_ge_f32_e64 s0, 0, v12
	v_add_f32_e32 v5, 0x2553eaf2, v5
	s_delay_alu instid0(VALU_DEP_2) | instskip(SKIP_1) | instid1(VALU_DEP_3)
	v_cndmask_b32_e64 v9, v9, v10, s0
	v_cmp_lt_f32_e64 s0, 0, v13
	v_fma_f32 v6, v3, v5, -v6
	s_delay_alu instid0(VALU_DEP_2) | instskip(NEXT) | instid1(VALU_DEP_2)
	v_cndmask_b32_e64 v9, v9, v11, s0
	v_add_f32_e32 v6, 0xa62e951f, v6
	s_delay_alu instid0(VALU_DEP_1) | instskip(NEXT) | instid1(VALU_DEP_1)
	v_fma_f32 v5, v3, v6, -v5
	v_add_f32_e32 v5, 0x2712e76f, v5
	s_delay_alu instid0(VALU_DEP_1) | instskip(NEXT) | instid1(VALU_DEP_1)
	v_fma_f32 v6, v3, v5, -v6
	;; [unrolled: 3-line block ×19, first 2 shown]
	v_add_f32_e32 v5, 0x3dd4d5f8, v5
	s_delay_alu instid0(VALU_DEP_1) | instskip(SKIP_1) | instid1(VALU_DEP_2)
	v_fma_f32 v3, v3, v5, -v6
	v_mul_f32_e32 v5, 0x37800000, v9
	v_add_f32_e32 v3, 0x402e1ebd, v3
	s_delay_alu instid0(VALU_DEP_2) | instskip(SKIP_1) | instid1(VALU_DEP_3)
	v_cndmask_b32_e32 v5, v9, v5, vcc_lo
	v_cmp_class_f32_e64 vcc_lo, v1, 0x260
	v_sub_f32_e32 v3, v3, v6
	s_delay_alu instid0(VALU_DEP_3) | instskip(NEXT) | instid1(VALU_DEP_2)
	v_cndmask_b32_e32 v1, v5, v1, vcc_lo
	v_mul_f32_e32 v3, 0.5, v3
	s_delay_alu instid0(VALU_DEP_1) | instskip(NEXT) | instid1(VALU_DEP_1)
	v_div_scale_f32 v5, null, v1, v1, v3
	v_rcp_f32_e32 v6, v5
	s_waitcnt_depctr 0xfff
	v_fma_f32 v9, -v5, v6, 1.0
	s_delay_alu instid0(VALU_DEP_1) | instskip(SKIP_1) | instid1(VALU_DEP_1)
	v_fmac_f32_e32 v6, v9, v6
	v_div_scale_f32 v9, vcc_lo, v3, v1, v3
	v_mul_f32_e32 v10, v9, v6
	s_delay_alu instid0(VALU_DEP_1) | instskip(NEXT) | instid1(VALU_DEP_1)
	v_fma_f32 v11, -v5, v10, v9
	v_fmac_f32_e32 v10, v11, v6
	s_delay_alu instid0(VALU_DEP_1) | instskip(NEXT) | instid1(VALU_DEP_1)
	v_fma_f32 v5, -v5, v10, v9
	v_div_fmas_f32 v5, v5, v6, v10
	s_delay_alu instid0(VALU_DEP_1)
	v_div_fixup_f32 v6, v5, v1, v3
.LBB20_1656:
	s_or_b32 exec_lo, exec_lo, s1
.LBB20_1657:
	s_delay_alu instid0(SALU_CYCLE_1)
	s_or_b32 exec_lo, exec_lo, s6
.LBB20_1658:
	s_delay_alu instid0(SALU_CYCLE_1) | instskip(SKIP_2) | instid1(VALU_DEP_1)
	s_or_b32 exec_lo, exec_lo, s3
	v_mul_lo_u32 v3, s2, v8
	v_and_b32_e32 v10, 0xff, v7
	v_cmp_gt_i16_e32 vcc_lo, 11, v10
	s_delay_alu instid0(VALU_DEP_3) | instskip(SKIP_1) | instid1(VALU_DEP_1)
	v_ashrrev_i32_e32 v1, 31, v3
	v_add_co_u32 v7, s0, s4, v3
	v_add_co_ci_u32_e64 v8, s0, s5, v1, s0
	s_cbranch_vccnz .LBB20_1781
; %bb.1659:
	v_cmp_lt_i16_e32 vcc_lo, 25, v10
	s_mov_b32 s6, -1
	s_mov_b32 s1, 0
	s_mov_b32 s3, 0
	s_mov_b32 s0, 0
	s_cbranch_vccz .LBB20_1692
; %bb.1660:
	v_cmp_lt_i16_e32 vcc_lo, 28, v10
	s_cbranch_vccz .LBB20_1675
; %bb.1661:
	v_cmp_lt_i16_e32 vcc_lo, 43, v10
	;; [unrolled: 3-line block ×3, first 2 shown]
	s_cbranch_vccz .LBB20_1665
; %bb.1663:
	v_cmp_eq_u16_e32 vcc_lo, 46, v10
	s_mov_b32 s0, -1
	s_mov_b32 s6, 0
	s_cbranch_vccz .LBB20_1665
; %bb.1664:
	v_bfe_u32 v1, v0, 16, 1
	v_cmp_o_f32_e32 vcc_lo, v0, v0
	s_mov_b32 s0, 0
	s_mov_b32 s3, -1
	s_delay_alu instid0(VALU_DEP_2) | instskip(NEXT) | instid1(VALU_DEP_1)
	v_add3_u32 v1, v0, v1, 0x7fff
	v_lshrrev_b32_e32 v1, 16, v1
	s_delay_alu instid0(VALU_DEP_1)
	v_cndmask_b32_e32 v1, 0x7fc0, v1, vcc_lo
	global_store_b32 v[7:8], v1, off
.LBB20_1665:
	s_and_b32 vcc_lo, exec_lo, s6
	s_cbranch_vccz .LBB20_1670
; %bb.1666:
	v_cmp_eq_u16_e32 vcc_lo, 44, v10
	s_mov_b32 s0, -1
	s_cbranch_vccz .LBB20_1670
; %bb.1667:
	v_bfe_u32 v5, v0, 23, 8
	v_mov_b32_e32 v1, 0xff
	s_mov_b32 s3, exec_lo
	s_delay_alu instid0(VALU_DEP_2)
	v_cmpx_ne_u32_e32 0xff, v5
; %bb.1668:
	v_and_b32_e32 v1, 0x400000, v0
	v_and_or_b32 v5, 0x3fffff, v0, v5
	s_delay_alu instid0(VALU_DEP_2) | instskip(NEXT) | instid1(VALU_DEP_2)
	v_cmp_ne_u32_e32 vcc_lo, 0, v1
	v_cmp_ne_u32_e64 s0, 0, v5
	v_lshrrev_b32_e32 v1, 23, v0
	s_delay_alu instid0(VALU_DEP_2) | instskip(NEXT) | instid1(SALU_CYCLE_1)
	s_and_b32 s0, vcc_lo, s0
	v_cndmask_b32_e64 v5, 0, 1, s0
	s_delay_alu instid0(VALU_DEP_1)
	v_add_nc_u32_e32 v1, v1, v5
; %bb.1669:
	s_or_b32 exec_lo, exec_lo, s3
	s_mov_b32 s0, 0
	s_mov_b32 s3, -1
	global_store_b8 v[7:8], v1, off
.LBB20_1670:
	s_mov_b32 s6, 0
.LBB20_1671:
	s_delay_alu instid0(SALU_CYCLE_1)
	s_and_b32 vcc_lo, exec_lo, s6
	s_cbranch_vccz .LBB20_1674
; %bb.1672:
	v_cmp_eq_u16_e32 vcc_lo, 29, v10
	s_mov_b32 s0, -1
	s_cbranch_vccz .LBB20_1674
; %bb.1673:
	v_trunc_f32_e32 v1, v0
	s_mov_b32 s0, 0
	s_mov_b32 s3, -1
	s_delay_alu instid0(VALU_DEP_1) | instskip(NEXT) | instid1(VALU_DEP_1)
	v_mul_f32_e32 v5, 0x2f800000, v1
	v_floor_f32_e32 v5, v5
	s_delay_alu instid0(VALU_DEP_1) | instskip(SKIP_1) | instid1(VALU_DEP_2)
	v_fmamk_f32 v1, v5, 0xcf800000, v1
	v_cvt_u32_f32_e32 v12, v5
	v_cvt_u32_f32_e32 v11, v1
	global_store_b64 v[7:8], v[11:12], off
.LBB20_1674:
	s_mov_b32 s6, 0
.LBB20_1675:
	s_delay_alu instid0(SALU_CYCLE_1)
	s_and_b32 vcc_lo, exec_lo, s6
	s_cbranch_vccz .LBB20_1691
; %bb.1676:
	v_cmp_gt_i16_e32 vcc_lo, 27, v10
	s_mov_b32 s3, -1
	s_cbranch_vccnz .LBB20_1682
; %bb.1677:
	v_cmp_lt_i16_e32 vcc_lo, 27, v10
	v_cvt_u32_f32_e32 v1, v0
	s_cbranch_vccz .LBB20_1679
; %bb.1678:
	s_mov_b32 s3, 0
	global_store_b32 v[7:8], v1, off
.LBB20_1679:
	s_and_not1_b32 vcc_lo, exec_lo, s3
	s_cbranch_vccnz .LBB20_1681
; %bb.1680:
	global_store_b16 v[7:8], v1, off
.LBB20_1681:
	s_mov_b32 s3, 0
.LBB20_1682:
	s_delay_alu instid0(SALU_CYCLE_1)
	s_and_not1_b32 vcc_lo, exec_lo, s3
	s_cbranch_vccnz .LBB20_1690
; %bb.1683:
	v_and_b32_e32 v1, 0x7fffffff, v0
	v_mov_b32_e32 v5, 0x80
	s_mov_b32 s3, exec_lo
	s_delay_alu instid0(VALU_DEP_2)
	v_cmpx_gt_u32_e32 0x43800000, v1
	s_cbranch_execz .LBB20_1689
; %bb.1684:
	v_cmp_lt_u32_e32 vcc_lo, 0x3bffffff, v1
	s_mov_b32 s6, 0
                                        ; implicit-def: $vgpr1
	s_and_saveexec_b32 s7, vcc_lo
	s_delay_alu instid0(SALU_CYCLE_1)
	s_xor_b32 s7, exec_lo, s7
	s_cbranch_execz .LBB20_2140
; %bb.1685:
	v_bfe_u32 v1, v0, 20, 1
	s_mov_b32 s6, exec_lo
	s_delay_alu instid0(VALU_DEP_1) | instskip(NEXT) | instid1(VALU_DEP_1)
	v_add3_u32 v1, v0, v1, 0x487ffff
	v_lshrrev_b32_e32 v1, 20, v1
	s_or_saveexec_b32 s7, s7
                                        ; implicit-def: $sgpr11
	s_delay_alu instid0(SALU_CYCLE_1)
	s_xor_b32 exec_lo, exec_lo, s7
	s_cbranch_execnz .LBB20_2141
.LBB20_1686:
	s_or_b32 exec_lo, exec_lo, s7
	v_mov_b32_e32 v5, s11
	s_and_saveexec_b32 s7, s6
.LBB20_1687:
	v_lshrrev_b32_e32 v5, 24, v0
	s_delay_alu instid0(VALU_DEP_1)
	v_and_or_b32 v5, 0x80, v5, v1
.LBB20_1688:
	s_or_b32 exec_lo, exec_lo, s7
.LBB20_1689:
	s_delay_alu instid0(SALU_CYCLE_1)
	s_or_b32 exec_lo, exec_lo, s3
	global_store_b8 v[7:8], v5, off
.LBB20_1690:
	s_mov_b32 s3, -1
.LBB20_1691:
	s_mov_b32 s6, 0
.LBB20_1692:
	s_delay_alu instid0(SALU_CYCLE_1)
	s_and_b32 vcc_lo, exec_lo, s6
	s_cbranch_vccz .LBB20_1732
; %bb.1693:
	v_cmp_lt_i16_e32 vcc_lo, 22, v10
	s_mov_b32 s1, -1
	s_cbranch_vccz .LBB20_1725
; %bb.1694:
	v_cmp_gt_i16_e32 vcc_lo, 24, v10
	s_cbranch_vccnz .LBB20_1714
; %bb.1695:
	v_cmp_lt_i16_e32 vcc_lo, 24, v10
	s_cbranch_vccz .LBB20_1703
; %bb.1696:
	v_and_b32_e32 v1, 0x7fffffff, v0
	v_mov_b32_e32 v5, 0x80
	s_mov_b32 s1, exec_lo
	s_delay_alu instid0(VALU_DEP_2)
	v_cmpx_gt_u32_e32 0x47800000, v1
	s_cbranch_execz .LBB20_1702
; %bb.1697:
	v_cmp_lt_u32_e32 vcc_lo, 0x37ffffff, v1
	s_mov_b32 s3, 0
                                        ; implicit-def: $vgpr1
	s_and_saveexec_b32 s6, vcc_lo
	s_delay_alu instid0(SALU_CYCLE_1)
	s_xor_b32 s6, exec_lo, s6
	s_cbranch_execz .LBB20_2146
; %bb.1698:
	v_bfe_u32 v1, v0, 21, 1
	s_mov_b32 s3, exec_lo
	s_delay_alu instid0(VALU_DEP_1) | instskip(NEXT) | instid1(VALU_DEP_1)
	v_add3_u32 v1, v0, v1, 0x88fffff
	v_lshrrev_b32_e32 v1, 21, v1
	s_or_saveexec_b32 s6, s6
                                        ; implicit-def: $sgpr7
	s_delay_alu instid0(SALU_CYCLE_1)
	s_xor_b32 exec_lo, exec_lo, s6
	s_cbranch_execnz .LBB20_2147
.LBB20_1699:
	s_or_b32 exec_lo, exec_lo, s6
	v_mov_b32_e32 v5, s7
	s_and_saveexec_b32 s6, s3
.LBB20_1700:
	v_lshrrev_b32_e32 v5, 24, v0
	s_delay_alu instid0(VALU_DEP_1)
	v_and_or_b32 v5, 0x80, v5, v1
.LBB20_1701:
	s_or_b32 exec_lo, exec_lo, s6
.LBB20_1702:
	s_delay_alu instid0(SALU_CYCLE_1)
	s_or_b32 exec_lo, exec_lo, s1
	s_mov_b32 s1, 0
	global_store_b8 v[7:8], v5, off
.LBB20_1703:
	s_and_b32 vcc_lo, exec_lo, s1
	s_cbranch_vccz .LBB20_1713
; %bb.1704:
	v_and_b32_e32 v5, 0x7fffffff, v0
	s_mov_b32 s1, exec_lo
                                        ; implicit-def: $vgpr1
	s_delay_alu instid0(VALU_DEP_1)
	v_cmpx_gt_u32_e32 0x43f00000, v5
	s_xor_b32 s1, exec_lo, s1
	s_cbranch_execz .LBB20_1710
; %bb.1705:
	s_mov_b32 s3, exec_lo
                                        ; implicit-def: $vgpr1
	v_cmpx_lt_u32_e32 0x3c7fffff, v5
	s_xor_b32 s3, exec_lo, s3
; %bb.1706:
	v_bfe_u32 v1, v0, 20, 1
	s_delay_alu instid0(VALU_DEP_1) | instskip(NEXT) | instid1(VALU_DEP_1)
	v_add3_u32 v1, v0, v1, 0x407ffff
	v_and_b32_e32 v5, 0xff00000, v1
	v_lshrrev_b32_e32 v1, 20, v1
	s_delay_alu instid0(VALU_DEP_2) | instskip(NEXT) | instid1(VALU_DEP_2)
	v_cmp_ne_u32_e32 vcc_lo, 0x7f00000, v5
	v_cndmask_b32_e32 v1, 0x7e, v1, vcc_lo
; %bb.1707:
	s_and_not1_saveexec_b32 s3, s3
; %bb.1708:
	v_add_f32_e64 v1, 0x46800000, |v0|
; %bb.1709:
	s_or_b32 exec_lo, exec_lo, s3
                                        ; implicit-def: $vgpr5
.LBB20_1710:
	s_and_not1_saveexec_b32 s1, s1
; %bb.1711:
	v_mov_b32_e32 v1, 0x7f
	v_cmp_lt_u32_e32 vcc_lo, 0x7f800000, v5
	s_delay_alu instid0(VALU_DEP_2)
	v_cndmask_b32_e32 v1, 0x7e, v1, vcc_lo
; %bb.1712:
	s_or_b32 exec_lo, exec_lo, s1
	v_lshrrev_b32_e32 v5, 24, v0
	s_delay_alu instid0(VALU_DEP_1)
	v_and_or_b32 v1, 0x80, v5, v1
	global_store_b8 v[7:8], v1, off
.LBB20_1713:
	s_mov_b32 s1, 0
.LBB20_1714:
	s_delay_alu instid0(SALU_CYCLE_1)
	s_and_not1_b32 vcc_lo, exec_lo, s1
	s_cbranch_vccnz .LBB20_1724
; %bb.1715:
	v_and_b32_e32 v5, 0x7fffffff, v0
	s_mov_b32 s1, exec_lo
                                        ; implicit-def: $vgpr1
	s_delay_alu instid0(VALU_DEP_1)
	v_cmpx_gt_u32_e32 0x47800000, v5
	s_xor_b32 s1, exec_lo, s1
	s_cbranch_execz .LBB20_1721
; %bb.1716:
	s_mov_b32 s3, exec_lo
                                        ; implicit-def: $vgpr1
	v_cmpx_lt_u32_e32 0x387fffff, v5
	s_xor_b32 s3, exec_lo, s3
; %bb.1717:
	v_bfe_u32 v1, v0, 21, 1
	s_delay_alu instid0(VALU_DEP_1) | instskip(NEXT) | instid1(VALU_DEP_1)
	v_add3_u32 v1, v0, v1, 0x80fffff
	v_lshrrev_b32_e32 v1, 21, v1
; %bb.1718:
	s_and_not1_saveexec_b32 s3, s3
; %bb.1719:
	v_add_f32_e64 v1, 0x43000000, |v0|
; %bb.1720:
	s_or_b32 exec_lo, exec_lo, s3
                                        ; implicit-def: $vgpr5
.LBB20_1721:
	s_and_not1_saveexec_b32 s1, s1
; %bb.1722:
	v_mov_b32_e32 v1, 0x7f
	v_cmp_lt_u32_e32 vcc_lo, 0x7f800000, v5
	s_delay_alu instid0(VALU_DEP_2)
	v_cndmask_b32_e32 v1, 0x7c, v1, vcc_lo
; %bb.1723:
	s_or_b32 exec_lo, exec_lo, s1
	v_lshrrev_b32_e32 v5, 24, v0
	s_delay_alu instid0(VALU_DEP_1)
	v_and_or_b32 v1, 0x80, v5, v1
	global_store_b8 v[7:8], v1, off
.LBB20_1724:
	s_mov_b32 s1, 0
	s_mov_b32 s3, -1
.LBB20_1725:
	s_and_not1_b32 vcc_lo, exec_lo, s1
	s_mov_b32 s1, 0
	s_cbranch_vccnz .LBB20_1732
; %bb.1726:
	v_cmp_lt_i16_e32 vcc_lo, 14, v10
	s_mov_b32 s1, -1
	s_cbranch_vccz .LBB20_1730
; %bb.1727:
	v_cmp_eq_u16_e32 vcc_lo, 15, v10
	s_mov_b32 s0, -1
	s_cbranch_vccz .LBB20_1729
; %bb.1728:
	v_bfe_u32 v1, v0, 16, 1
	v_cmp_o_f32_e32 vcc_lo, v0, v0
	s_mov_b32 s0, 0
	s_mov_b32 s3, -1
	s_delay_alu instid0(VALU_DEP_2) | instskip(NEXT) | instid1(VALU_DEP_1)
	v_add3_u32 v1, v0, v1, 0x7fff
	v_lshrrev_b32_e32 v1, 16, v1
	s_delay_alu instid0(VALU_DEP_1)
	v_cndmask_b32_e32 v1, 0x7fc0, v1, vcc_lo
	global_store_b16 v[7:8], v1, off
.LBB20_1729:
	s_mov_b32 s1, 0
.LBB20_1730:
	s_delay_alu instid0(SALU_CYCLE_1)
	s_and_b32 vcc_lo, exec_lo, s1
	s_mov_b32 s1, 0
	s_cbranch_vccz .LBB20_1732
; %bb.1731:
	v_cmp_ne_u16_e64 s0, 11, v10
	s_mov_b32 s1, -1
.LBB20_1732:
	s_delay_alu instid0(VALU_DEP_1)
	s_and_b32 vcc_lo, exec_lo, s0
	s_cbranch_vccnz .LBB20_2144
; %bb.1733:
	s_and_not1_b32 vcc_lo, exec_lo, s1
	s_cbranch_vccnz .LBB20_1735
.LBB20_1734:
	v_cmp_neq_f32_e32 vcc_lo, 0, v0
	s_mov_b32 s3, -1
	v_cndmask_b32_e64 v1, 0, 1, vcc_lo
	global_store_b8 v[7:8], v1, off
.LBB20_1735:
	s_mov_b32 s0, 0
	s_branch .LBB20_1782
.LBB20_1736:
	s_mov_b32 s0, 0
	s_mov_b32 s1, 0
                                        ; implicit-def: $vgpr10
                                        ; implicit-def: $vgpr0_vgpr1
                                        ; implicit-def: $vgpr6
.LBB20_1737:
	s_and_not1_b32 s2, s10, exec_lo
	s_and_b32 s3, s8, exec_lo
	s_and_b32 s0, s0, exec_lo
	;; [unrolled: 1-line block ×3, first 2 shown]
	s_or_b32 s10, s2, s3
.LBB20_1738:
	s_or_b32 exec_lo, exec_lo, s9
	s_and_saveexec_b32 s1, s10
	s_cbranch_execz .LBB20_1741
; %bb.1739:
	; divergent unreachable
	s_or_b32 exec_lo, exec_lo, s1
	s_and_saveexec_b32 s1, s8
	s_delay_alu instid0(SALU_CYCLE_1)
	s_xor_b32 s1, exec_lo, s1
	s_cbranch_execnz .LBB20_1742
.LBB20_1740:
	s_or_b32 exec_lo, exec_lo, s1
	s_and_saveexec_b32 s1, s0
	s_cbranch_execnz .LBB20_1743
	s_branch .LBB20_1780
.LBB20_1741:
	s_or_b32 exec_lo, exec_lo, s1
	s_and_saveexec_b32 s1, s8
	s_delay_alu instid0(SALU_CYCLE_1)
	s_xor_b32 s1, exec_lo, s1
	s_cbranch_execz .LBB20_1740
.LBB20_1742:
	v_cmp_neq_f32_e32 vcc_lo, 0, v6
	s_waitcnt vmcnt(0)
	v_cndmask_b32_e64 v2, 0, 1, vcc_lo
	global_store_b8 v[0:1], v2, off
	s_or_b32 exec_lo, exec_lo, s1
	s_and_saveexec_b32 s1, s0
	s_cbranch_execz .LBB20_1780
.LBB20_1743:
	v_cmp_gt_i16_e32 vcc_lo, 5, v10
	s_mov_b32 s0, -1
	s_cbranch_vccnz .LBB20_1764
; %bb.1744:
	v_cmp_gt_i16_e32 vcc_lo, 8, v10
	s_cbranch_vccnz .LBB20_1754
; %bb.1745:
	v_cmp_gt_i16_e32 vcc_lo, 9, v10
	s_cbranch_vccnz .LBB20_1751
; %bb.1746:
	v_cmp_lt_i16_e32 vcc_lo, 9, v10
	s_cbranch_vccz .LBB20_1748
; %bb.1747:
	s_waitcnt vmcnt(0)
	v_cvt_f64_f32_e32 v[2:3], v6
	v_mov_b32_e32 v4, 0
	s_mov_b32 s0, 0
	s_delay_alu instid0(VALU_DEP_1)
	v_mov_b32_e32 v5, v4
	global_store_b128 v[0:1], v[2:5], off
.LBB20_1748:
	s_and_not1_b32 vcc_lo, exec_lo, s0
	s_cbranch_vccnz .LBB20_1750
; %bb.1749:
	v_mov_b32_e32 v7, 0
	s_waitcnt vmcnt(0)
	global_store_b64 v[0:1], v[6:7], off
.LBB20_1750:
	s_mov_b32 s0, 0
.LBB20_1751:
	s_delay_alu instid0(SALU_CYCLE_1)
	s_and_not1_b32 vcc_lo, exec_lo, s0
	s_cbranch_vccnz .LBB20_1753
; %bb.1752:
	s_waitcnt vmcnt(0)
	v_cvt_f16_f32_e32 v2, v6
	s_delay_alu instid0(VALU_DEP_1)
	v_and_b32_e32 v2, 0xffff, v2
	global_store_b32 v[0:1], v2, off
.LBB20_1753:
	s_mov_b32 s0, 0
.LBB20_1754:
	s_delay_alu instid0(SALU_CYCLE_1)
	s_and_not1_b32 vcc_lo, exec_lo, s0
	s_cbranch_vccnz .LBB20_1763
; %bb.1755:
	v_cmp_gt_i16_e32 vcc_lo, 6, v10
	s_mov_b32 s0, -1
	s_cbranch_vccnz .LBB20_1761
; %bb.1756:
	v_cmp_lt_i16_e32 vcc_lo, 6, v10
	s_cbranch_vccz .LBB20_1758
; %bb.1757:
	s_waitcnt vmcnt(0)
	v_cvt_f64_f32_e32 v[2:3], v6
	s_mov_b32 s0, 0
	global_store_b64 v[0:1], v[2:3], off
.LBB20_1758:
	s_and_not1_b32 vcc_lo, exec_lo, s0
	s_cbranch_vccnz .LBB20_1760
; %bb.1759:
	s_waitcnt vmcnt(0)
	global_store_b32 v[0:1], v6, off
.LBB20_1760:
	s_mov_b32 s0, 0
.LBB20_1761:
	s_delay_alu instid0(SALU_CYCLE_1)
	s_and_not1_b32 vcc_lo, exec_lo, s0
	s_cbranch_vccnz .LBB20_1763
; %bb.1762:
	s_waitcnt vmcnt(0)
	v_cvt_f16_f32_e32 v2, v6
	global_store_b16 v[0:1], v2, off
.LBB20_1763:
	s_mov_b32 s0, 0
.LBB20_1764:
	s_delay_alu instid0(SALU_CYCLE_1)
	s_and_not1_b32 vcc_lo, exec_lo, s0
	s_cbranch_vccnz .LBB20_1780
; %bb.1765:
	v_cmp_gt_i16_e32 vcc_lo, 2, v10
	s_mov_b32 s0, -1
	s_cbranch_vccnz .LBB20_1775
; %bb.1766:
	v_cmp_gt_i16_e32 vcc_lo, 3, v10
	s_cbranch_vccnz .LBB20_1772
; %bb.1767:
	v_cmp_lt_i16_e32 vcc_lo, 3, v10
	s_cbranch_vccz .LBB20_1769
; %bb.1768:
	s_waitcnt vmcnt(0)
	v_trunc_f32_e32 v2, v6
	s_mov_b32 s0, 0
	s_delay_alu instid0(VALU_DEP_1) | instskip(SKIP_1) | instid1(VALU_DEP_2)
	v_mul_f32_e64 v3, 0x2f800000, |v2|
	v_ashrrev_i32_e32 v5, 31, v2
	v_floor_f32_e32 v3, v3
	s_delay_alu instid0(VALU_DEP_1) | instskip(SKIP_1) | instid1(VALU_DEP_2)
	v_fma_f32 v4, 0xcf800000, v3, |v2|
	v_cvt_u32_f32_e32 v3, v3
	v_cvt_u32_f32_e32 v2, v4
	s_delay_alu instid0(VALU_DEP_2) | instskip(NEXT) | instid1(VALU_DEP_2)
	v_xor_b32_e32 v3, v3, v5
	v_xor_b32_e32 v2, v2, v5
	s_delay_alu instid0(VALU_DEP_1) | instskip(NEXT) | instid1(VALU_DEP_3)
	v_sub_co_u32 v2, vcc_lo, v2, v5
	v_sub_co_ci_u32_e32 v3, vcc_lo, v3, v5, vcc_lo
	global_store_b64 v[0:1], v[2:3], off
.LBB20_1769:
	s_and_not1_b32 vcc_lo, exec_lo, s0
	s_cbranch_vccnz .LBB20_1771
; %bb.1770:
	s_waitcnt vmcnt(0)
	v_cvt_i32_f32_e32 v2, v6
	global_store_b32 v[0:1], v2, off
.LBB20_1771:
	s_mov_b32 s0, 0
.LBB20_1772:
	s_delay_alu instid0(SALU_CYCLE_1)
	s_and_not1_b32 vcc_lo, exec_lo, s0
	s_cbranch_vccnz .LBB20_1774
; %bb.1773:
	s_waitcnt vmcnt(0)
	v_cvt_i32_f32_e32 v2, v6
	global_store_b16 v[0:1], v2, off
.LBB20_1774:
	s_mov_b32 s0, 0
.LBB20_1775:
	s_delay_alu instid0(SALU_CYCLE_1)
	s_and_not1_b32 vcc_lo, exec_lo, s0
	s_cbranch_vccnz .LBB20_1780
; %bb.1776:
	v_cmp_lt_i16_e32 vcc_lo, 0, v10
	s_mov_b32 s0, -1
	s_cbranch_vccz .LBB20_1778
; %bb.1777:
	s_waitcnt vmcnt(0)
	v_cvt_i32_f32_e32 v2, v6
	s_mov_b32 s0, 0
	global_store_b8 v[0:1], v2, off
.LBB20_1778:
	s_and_not1_b32 vcc_lo, exec_lo, s0
	s_cbranch_vccnz .LBB20_1780
; %bb.1779:
	s_waitcnt vmcnt(0)
	v_trunc_f32_e32 v2, v6
	s_delay_alu instid0(VALU_DEP_1) | instskip(NEXT) | instid1(VALU_DEP_1)
	v_mul_f32_e64 v3, 0x2f800000, |v2|
	v_floor_f32_e32 v3, v3
	s_delay_alu instid0(VALU_DEP_1) | instskip(SKIP_1) | instid1(VALU_DEP_2)
	v_fma_f32 v3, 0xcf800000, v3, |v2|
	v_ashrrev_i32_e32 v2, 31, v2
	v_cvt_u32_f32_e32 v3, v3
	s_delay_alu instid0(VALU_DEP_1) | instskip(NEXT) | instid1(VALU_DEP_1)
	v_xor_b32_e32 v3, v3, v2
	v_sub_nc_u32_e32 v2, v3, v2
	global_store_b8 v[0:1], v2, off
	s_nop 0
	s_sendmsg sendmsg(MSG_DEALLOC_VGPRS)
	s_endpgm
.LBB20_1780:
	s_nop 0
	s_sendmsg sendmsg(MSG_DEALLOC_VGPRS)
	s_endpgm
.LBB20_1781:
	s_mov_b32 s0, -1
	s_mov_b32 s3, 0
.LBB20_1782:
	s_and_b32 vcc_lo, exec_lo, s0
	s_cbranch_vccz .LBB20_1821
; %bb.1783:
	v_cmp_gt_i16_e32 vcc_lo, 5, v10
	s_mov_b32 s0, -1
	s_cbranch_vccnz .LBB20_1804
; %bb.1784:
	v_cmp_gt_i16_e32 vcc_lo, 8, v10
	s_cbranch_vccnz .LBB20_1794
; %bb.1785:
	v_cmp_gt_i16_e32 vcc_lo, 9, v10
	s_cbranch_vccnz .LBB20_1791
; %bb.1786:
	v_cmp_lt_i16_e32 vcc_lo, 9, v10
	s_cbranch_vccz .LBB20_1788
; %bb.1787:
	v_cvt_f64_f32_e32 v[11:12], v0
	v_mov_b32_e32 v13, 0
	s_mov_b32 s0, 0
	s_delay_alu instid0(VALU_DEP_1)
	v_mov_b32_e32 v14, v13
	global_store_b128 v[7:8], v[11:14], off
.LBB20_1788:
	s_and_not1_b32 vcc_lo, exec_lo, s0
	s_cbranch_vccnz .LBB20_1790
; %bb.1789:
	v_mov_b32_e32 v1, 0
	global_store_b64 v[7:8], v[0:1], off
.LBB20_1790:
	s_mov_b32 s0, 0
.LBB20_1791:
	s_delay_alu instid0(SALU_CYCLE_1)
	s_and_not1_b32 vcc_lo, exec_lo, s0
	s_cbranch_vccnz .LBB20_1793
; %bb.1792:
	v_cvt_f16_f32_e32 v1, v0
	s_delay_alu instid0(VALU_DEP_1)
	v_and_b32_e32 v1, 0xffff, v1
	global_store_b32 v[7:8], v1, off
.LBB20_1793:
	s_mov_b32 s0, 0
.LBB20_1794:
	s_delay_alu instid0(SALU_CYCLE_1)
	s_and_not1_b32 vcc_lo, exec_lo, s0
	s_cbranch_vccnz .LBB20_1803
; %bb.1795:
	v_cmp_gt_i16_e32 vcc_lo, 6, v10
	s_mov_b32 s0, -1
	s_cbranch_vccnz .LBB20_1801
; %bb.1796:
	v_cmp_lt_i16_e32 vcc_lo, 6, v10
	s_cbranch_vccz .LBB20_1798
; %bb.1797:
	v_cvt_f64_f32_e32 v[11:12], v0
	s_mov_b32 s0, 0
	global_store_b64 v[7:8], v[11:12], off
.LBB20_1798:
	s_and_not1_b32 vcc_lo, exec_lo, s0
	s_cbranch_vccnz .LBB20_1800
; %bb.1799:
	global_store_b32 v[7:8], v0, off
.LBB20_1800:
	s_mov_b32 s0, 0
.LBB20_1801:
	s_delay_alu instid0(SALU_CYCLE_1)
	s_and_not1_b32 vcc_lo, exec_lo, s0
	s_cbranch_vccnz .LBB20_1803
; %bb.1802:
	v_cvt_f16_f32_e32 v1, v0
	global_store_b16 v[7:8], v1, off
.LBB20_1803:
	s_mov_b32 s0, 0
.LBB20_1804:
	s_delay_alu instid0(SALU_CYCLE_1)
	s_and_not1_b32 vcc_lo, exec_lo, s0
	s_cbranch_vccnz .LBB20_1820
; %bb.1805:
	v_cmp_gt_i16_e32 vcc_lo, 2, v10
	s_mov_b32 s0, -1
	s_cbranch_vccnz .LBB20_1815
; %bb.1806:
	v_cmp_gt_i16_e32 vcc_lo, 3, v10
	s_cbranch_vccnz .LBB20_1812
; %bb.1807:
	v_cmp_lt_i16_e32 vcc_lo, 3, v10
	s_cbranch_vccz .LBB20_1809
; %bb.1808:
	v_trunc_f32_e32 v1, v0
	s_mov_b32 s0, 0
	s_delay_alu instid0(VALU_DEP_1) | instskip(NEXT) | instid1(VALU_DEP_1)
	v_mul_f32_e64 v5, 0x2f800000, |v1|
	v_floor_f32_e32 v5, v5
	s_delay_alu instid0(VALU_DEP_1) | instskip(SKIP_2) | instid1(VALU_DEP_3)
	v_fma_f32 v9, 0xcf800000, v5, |v1|
	v_ashrrev_i32_e32 v1, 31, v1
	v_cvt_u32_f32_e32 v5, v5
	v_cvt_u32_f32_e32 v9, v9
	s_delay_alu instid0(VALU_DEP_2) | instskip(NEXT) | instid1(VALU_DEP_2)
	v_xor_b32_e32 v5, v5, v1
	v_xor_b32_e32 v9, v9, v1
	s_delay_alu instid0(VALU_DEP_1) | instskip(NEXT) | instid1(VALU_DEP_3)
	v_sub_co_u32 v11, vcc_lo, v9, v1
	v_sub_co_ci_u32_e32 v12, vcc_lo, v5, v1, vcc_lo
	global_store_b64 v[7:8], v[11:12], off
.LBB20_1809:
	s_and_not1_b32 vcc_lo, exec_lo, s0
	s_cbranch_vccnz .LBB20_1811
; %bb.1810:
	v_cvt_i32_f32_e32 v1, v0
	global_store_b32 v[7:8], v1, off
.LBB20_1811:
	s_mov_b32 s0, 0
.LBB20_1812:
	s_delay_alu instid0(SALU_CYCLE_1)
	s_and_not1_b32 vcc_lo, exec_lo, s0
	s_cbranch_vccnz .LBB20_1814
; %bb.1813:
	v_cvt_i32_f32_e32 v1, v0
	global_store_b16 v[7:8], v1, off
.LBB20_1814:
	s_mov_b32 s0, 0
.LBB20_1815:
	s_delay_alu instid0(SALU_CYCLE_1)
	s_and_not1_b32 vcc_lo, exec_lo, s0
	s_cbranch_vccnz .LBB20_1820
; %bb.1816:
	v_cmp_lt_i16_e32 vcc_lo, 0, v10
	s_mov_b32 s0, -1
	s_cbranch_vccz .LBB20_1818
; %bb.1817:
	v_cvt_i32_f32_e32 v1, v0
	s_mov_b32 s0, 0
	global_store_b8 v[7:8], v1, off
.LBB20_1818:
	s_and_not1_b32 vcc_lo, exec_lo, s0
	s_cbranch_vccnz .LBB20_1820
; %bb.1819:
	v_trunc_f32_e32 v0, v0
	s_delay_alu instid0(VALU_DEP_1) | instskip(NEXT) | instid1(VALU_DEP_1)
	v_mul_f32_e64 v1, 0x2f800000, |v0|
	v_floor_f32_e32 v1, v1
	s_delay_alu instid0(VALU_DEP_1) | instskip(SKIP_1) | instid1(VALU_DEP_2)
	v_fma_f32 v1, 0xcf800000, v1, |v0|
	v_ashrrev_i32_e32 v0, 31, v0
	v_cvt_u32_f32_e32 v1, v1
	s_delay_alu instid0(VALU_DEP_1) | instskip(NEXT) | instid1(VALU_DEP_1)
	v_xor_b32_e32 v1, v1, v0
	v_sub_nc_u32_e32 v0, v1, v0
	global_store_b8 v[7:8], v0, off
.LBB20_1820:
	s_mov_b32 s3, -1
.LBB20_1821:
	s_delay_alu instid0(SALU_CYCLE_1)
	s_and_not1_b32 vcc_lo, exec_lo, s3
	s_cbranch_vccnz .LBB20_2136
; %bb.1822:
	s_lshl_b32 s1, s2, 7
	v_cmp_gt_i16_e32 vcc_lo, 11, v10
	v_add_nc_u32_e32 v5, s1, v3
	s_delay_alu instid0(VALU_DEP_1) | instskip(SKIP_1) | instid1(VALU_DEP_1)
	v_ashrrev_i32_e32 v1, 31, v5
	v_add_co_u32 v0, s0, s4, v5
	v_add_co_ci_u32_e64 v1, s0, s5, v1, s0
	s_cbranch_vccnz .LBB20_1900
; %bb.1823:
	v_cmp_lt_i16_e32 vcc_lo, 25, v10
	s_mov_b32 s6, -1
	s_mov_b32 s2, 0
	s_mov_b32 s3, 0
	;; [unrolled: 1-line block ×3, first 2 shown]
	s_cbranch_vccz .LBB20_1856
; %bb.1824:
	v_cmp_lt_i16_e32 vcc_lo, 28, v10
	s_cbranch_vccz .LBB20_1839
; %bb.1825:
	v_cmp_lt_i16_e32 vcc_lo, 43, v10
	;; [unrolled: 3-line block ×3, first 2 shown]
	s_cbranch_vccz .LBB20_1829
; %bb.1827:
	v_cmp_eq_u16_e32 vcc_lo, 46, v10
	s_mov_b32 s0, -1
	s_mov_b32 s6, 0
	s_cbranch_vccz .LBB20_1829
; %bb.1828:
	v_bfe_u32 v3, v2, 16, 1
	v_cmp_o_f32_e32 vcc_lo, v2, v2
	s_mov_b32 s0, 0
	s_mov_b32 s3, -1
	s_delay_alu instid0(VALU_DEP_2) | instskip(NEXT) | instid1(VALU_DEP_1)
	v_add3_u32 v3, v2, v3, 0x7fff
	v_lshrrev_b32_e32 v3, 16, v3
	s_delay_alu instid0(VALU_DEP_1)
	v_cndmask_b32_e32 v3, 0x7fc0, v3, vcc_lo
	global_store_b32 v[0:1], v3, off
.LBB20_1829:
	s_and_b32 vcc_lo, exec_lo, s6
	s_cbranch_vccz .LBB20_1834
; %bb.1830:
	v_cmp_eq_u16_e32 vcc_lo, 44, v10
	s_mov_b32 s0, -1
	s_cbranch_vccz .LBB20_1834
; %bb.1831:
	v_bfe_u32 v7, v2, 23, 8
	v_mov_b32_e32 v3, 0xff
	s_mov_b32 s3, exec_lo
	s_delay_alu instid0(VALU_DEP_2)
	v_cmpx_ne_u32_e32 0xff, v7
; %bb.1832:
	v_and_b32_e32 v3, 0x400000, v2
	v_and_or_b32 v7, 0x3fffff, v2, v7
	s_delay_alu instid0(VALU_DEP_2) | instskip(NEXT) | instid1(VALU_DEP_2)
	v_cmp_ne_u32_e32 vcc_lo, 0, v3
	v_cmp_ne_u32_e64 s0, 0, v7
	v_lshrrev_b32_e32 v3, 23, v2
	s_delay_alu instid0(VALU_DEP_2) | instskip(NEXT) | instid1(SALU_CYCLE_1)
	s_and_b32 s0, vcc_lo, s0
	v_cndmask_b32_e64 v7, 0, 1, s0
	s_delay_alu instid0(VALU_DEP_1)
	v_add_nc_u32_e32 v3, v3, v7
; %bb.1833:
	s_or_b32 exec_lo, exec_lo, s3
	s_mov_b32 s0, 0
	s_mov_b32 s3, -1
	global_store_b8 v[0:1], v3, off
.LBB20_1834:
	s_mov_b32 s6, 0
.LBB20_1835:
	s_delay_alu instid0(SALU_CYCLE_1)
	s_and_b32 vcc_lo, exec_lo, s6
	s_cbranch_vccz .LBB20_1838
; %bb.1836:
	v_cmp_eq_u16_e32 vcc_lo, 29, v10
	s_mov_b32 s0, -1
	s_cbranch_vccz .LBB20_1838
; %bb.1837:
	v_trunc_f32_e32 v3, v2
	s_mov_b32 s0, 0
	s_mov_b32 s3, -1
	s_delay_alu instid0(VALU_DEP_1) | instskip(NEXT) | instid1(VALU_DEP_1)
	v_mul_f32_e32 v7, 0x2f800000, v3
	v_floor_f32_e32 v7, v7
	s_delay_alu instid0(VALU_DEP_1) | instskip(SKIP_1) | instid1(VALU_DEP_2)
	v_fmamk_f32 v3, v7, 0xcf800000, v3
	v_cvt_u32_f32_e32 v8, v7
	v_cvt_u32_f32_e32 v7, v3
	global_store_b64 v[0:1], v[7:8], off
.LBB20_1838:
	s_mov_b32 s6, 0
.LBB20_1839:
	s_delay_alu instid0(SALU_CYCLE_1)
	s_and_b32 vcc_lo, exec_lo, s6
	s_cbranch_vccz .LBB20_1855
; %bb.1840:
	v_cmp_gt_i16_e32 vcc_lo, 27, v10
	s_mov_b32 s3, -1
	s_cbranch_vccnz .LBB20_1846
; %bb.1841:
	v_cmp_lt_i16_e32 vcc_lo, 27, v10
	v_cvt_u32_f32_e32 v3, v2
	s_cbranch_vccz .LBB20_1843
; %bb.1842:
	s_mov_b32 s3, 0
	global_store_b32 v[0:1], v3, off
.LBB20_1843:
	s_and_not1_b32 vcc_lo, exec_lo, s3
	s_cbranch_vccnz .LBB20_1845
; %bb.1844:
	global_store_b16 v[0:1], v3, off
.LBB20_1845:
	s_mov_b32 s3, 0
.LBB20_1846:
	s_delay_alu instid0(SALU_CYCLE_1)
	s_and_not1_b32 vcc_lo, exec_lo, s3
	s_cbranch_vccnz .LBB20_1854
; %bb.1847:
	v_and_b32_e32 v3, 0x7fffffff, v2
	v_mov_b32_e32 v7, 0x80
	s_mov_b32 s3, exec_lo
	s_delay_alu instid0(VALU_DEP_2)
	v_cmpx_gt_u32_e32 0x43800000, v3
	s_cbranch_execz .LBB20_1853
; %bb.1848:
	v_cmp_lt_u32_e32 vcc_lo, 0x3bffffff, v3
	s_mov_b32 s6, 0
                                        ; implicit-def: $vgpr3
	s_and_saveexec_b32 s7, vcc_lo
	s_delay_alu instid0(SALU_CYCLE_1)
	s_xor_b32 s7, exec_lo, s7
	s_cbranch_execz .LBB20_2148
; %bb.1849:
	v_bfe_u32 v3, v2, 20, 1
	s_mov_b32 s6, exec_lo
	s_delay_alu instid0(VALU_DEP_1) | instskip(NEXT) | instid1(VALU_DEP_1)
	v_add3_u32 v3, v2, v3, 0x487ffff
	v_lshrrev_b32_e32 v3, 20, v3
	s_or_saveexec_b32 s7, s7
                                        ; implicit-def: $sgpr11
	s_delay_alu instid0(SALU_CYCLE_1)
	s_xor_b32 exec_lo, exec_lo, s7
	s_cbranch_execnz .LBB20_2149
.LBB20_1850:
	s_or_b32 exec_lo, exec_lo, s7
	v_mov_b32_e32 v7, s11
	s_and_saveexec_b32 s7, s6
.LBB20_1851:
	v_lshrrev_b32_e32 v7, 24, v2
	s_delay_alu instid0(VALU_DEP_1)
	v_and_or_b32 v7, 0x80, v7, v3
.LBB20_1852:
	s_or_b32 exec_lo, exec_lo, s7
.LBB20_1853:
	s_delay_alu instid0(SALU_CYCLE_1)
	s_or_b32 exec_lo, exec_lo, s3
	global_store_b8 v[0:1], v7, off
.LBB20_1854:
	s_mov_b32 s3, -1
.LBB20_1855:
	s_mov_b32 s6, 0
.LBB20_1856:
	s_delay_alu instid0(SALU_CYCLE_1)
	s_and_b32 vcc_lo, exec_lo, s6
	s_cbranch_vccz .LBB20_1896
; %bb.1857:
	v_cmp_lt_i16_e32 vcc_lo, 22, v10
	s_mov_b32 s2, -1
	s_cbranch_vccz .LBB20_1889
; %bb.1858:
	v_cmp_gt_i16_e32 vcc_lo, 24, v10
	s_cbranch_vccnz .LBB20_1878
; %bb.1859:
	v_cmp_lt_i16_e32 vcc_lo, 24, v10
	s_cbranch_vccz .LBB20_1867
; %bb.1860:
	v_and_b32_e32 v3, 0x7fffffff, v2
	v_mov_b32_e32 v7, 0x80
	s_mov_b32 s2, exec_lo
	s_delay_alu instid0(VALU_DEP_2)
	v_cmpx_gt_u32_e32 0x47800000, v3
	s_cbranch_execz .LBB20_1866
; %bb.1861:
	v_cmp_lt_u32_e32 vcc_lo, 0x37ffffff, v3
	s_mov_b32 s3, 0
                                        ; implicit-def: $vgpr3
	s_and_saveexec_b32 s6, vcc_lo
	s_delay_alu instid0(SALU_CYCLE_1)
	s_xor_b32 s6, exec_lo, s6
	s_cbranch_execz .LBB20_2154
; %bb.1862:
	v_bfe_u32 v3, v2, 21, 1
	s_mov_b32 s3, exec_lo
	s_delay_alu instid0(VALU_DEP_1) | instskip(NEXT) | instid1(VALU_DEP_1)
	v_add3_u32 v3, v2, v3, 0x88fffff
	v_lshrrev_b32_e32 v3, 21, v3
	s_or_saveexec_b32 s6, s6
                                        ; implicit-def: $sgpr7
	s_delay_alu instid0(SALU_CYCLE_1)
	s_xor_b32 exec_lo, exec_lo, s6
	s_cbranch_execnz .LBB20_2155
.LBB20_1863:
	s_or_b32 exec_lo, exec_lo, s6
	v_mov_b32_e32 v7, s7
	s_and_saveexec_b32 s6, s3
.LBB20_1864:
	v_lshrrev_b32_e32 v7, 24, v2
	s_delay_alu instid0(VALU_DEP_1)
	v_and_or_b32 v7, 0x80, v7, v3
.LBB20_1865:
	s_or_b32 exec_lo, exec_lo, s6
.LBB20_1866:
	s_delay_alu instid0(SALU_CYCLE_1)
	s_or_b32 exec_lo, exec_lo, s2
	s_mov_b32 s2, 0
	global_store_b8 v[0:1], v7, off
.LBB20_1867:
	s_and_b32 vcc_lo, exec_lo, s2
	s_cbranch_vccz .LBB20_1877
; %bb.1868:
	v_and_b32_e32 v7, 0x7fffffff, v2
	s_mov_b32 s2, exec_lo
                                        ; implicit-def: $vgpr3
	s_delay_alu instid0(VALU_DEP_1)
	v_cmpx_gt_u32_e32 0x43f00000, v7
	s_xor_b32 s2, exec_lo, s2
	s_cbranch_execz .LBB20_1874
; %bb.1869:
	s_mov_b32 s3, exec_lo
                                        ; implicit-def: $vgpr3
	v_cmpx_lt_u32_e32 0x3c7fffff, v7
	s_xor_b32 s3, exec_lo, s3
; %bb.1870:
	v_bfe_u32 v3, v2, 20, 1
	s_delay_alu instid0(VALU_DEP_1) | instskip(NEXT) | instid1(VALU_DEP_1)
	v_add3_u32 v3, v2, v3, 0x407ffff
	v_and_b32_e32 v7, 0xff00000, v3
	v_lshrrev_b32_e32 v3, 20, v3
	s_delay_alu instid0(VALU_DEP_2) | instskip(NEXT) | instid1(VALU_DEP_2)
	v_cmp_ne_u32_e32 vcc_lo, 0x7f00000, v7
	v_cndmask_b32_e32 v3, 0x7e, v3, vcc_lo
; %bb.1871:
	s_and_not1_saveexec_b32 s3, s3
; %bb.1872:
	v_add_f32_e64 v3, 0x46800000, |v2|
; %bb.1873:
	s_or_b32 exec_lo, exec_lo, s3
                                        ; implicit-def: $vgpr7
.LBB20_1874:
	s_and_not1_saveexec_b32 s2, s2
; %bb.1875:
	v_mov_b32_e32 v3, 0x7f
	v_cmp_lt_u32_e32 vcc_lo, 0x7f800000, v7
	s_delay_alu instid0(VALU_DEP_2)
	v_cndmask_b32_e32 v3, 0x7e, v3, vcc_lo
; %bb.1876:
	s_or_b32 exec_lo, exec_lo, s2
	v_lshrrev_b32_e32 v7, 24, v2
	s_delay_alu instid0(VALU_DEP_1)
	v_and_or_b32 v3, 0x80, v7, v3
	global_store_b8 v[0:1], v3, off
.LBB20_1877:
	s_mov_b32 s2, 0
.LBB20_1878:
	s_delay_alu instid0(SALU_CYCLE_1)
	s_and_not1_b32 vcc_lo, exec_lo, s2
	s_cbranch_vccnz .LBB20_1888
; %bb.1879:
	v_and_b32_e32 v7, 0x7fffffff, v2
	s_mov_b32 s2, exec_lo
                                        ; implicit-def: $vgpr3
	s_delay_alu instid0(VALU_DEP_1)
	v_cmpx_gt_u32_e32 0x47800000, v7
	s_xor_b32 s2, exec_lo, s2
	s_cbranch_execz .LBB20_1885
; %bb.1880:
	s_mov_b32 s3, exec_lo
                                        ; implicit-def: $vgpr3
	v_cmpx_lt_u32_e32 0x387fffff, v7
	s_xor_b32 s3, exec_lo, s3
; %bb.1881:
	v_bfe_u32 v3, v2, 21, 1
	s_delay_alu instid0(VALU_DEP_1) | instskip(NEXT) | instid1(VALU_DEP_1)
	v_add3_u32 v3, v2, v3, 0x80fffff
	v_lshrrev_b32_e32 v3, 21, v3
; %bb.1882:
	s_and_not1_saveexec_b32 s3, s3
; %bb.1883:
	v_add_f32_e64 v3, 0x43000000, |v2|
; %bb.1884:
	s_or_b32 exec_lo, exec_lo, s3
                                        ; implicit-def: $vgpr7
.LBB20_1885:
	s_and_not1_saveexec_b32 s2, s2
; %bb.1886:
	v_mov_b32_e32 v3, 0x7f
	v_cmp_lt_u32_e32 vcc_lo, 0x7f800000, v7
	s_delay_alu instid0(VALU_DEP_2)
	v_cndmask_b32_e32 v3, 0x7c, v3, vcc_lo
; %bb.1887:
	s_or_b32 exec_lo, exec_lo, s2
	v_lshrrev_b32_e32 v7, 24, v2
	s_delay_alu instid0(VALU_DEP_1)
	v_and_or_b32 v3, 0x80, v7, v3
	global_store_b8 v[0:1], v3, off
.LBB20_1888:
	s_mov_b32 s2, 0
	s_mov_b32 s3, -1
.LBB20_1889:
	s_and_not1_b32 vcc_lo, exec_lo, s2
	s_mov_b32 s2, 0
	s_cbranch_vccnz .LBB20_1896
; %bb.1890:
	v_cmp_lt_i16_e32 vcc_lo, 14, v10
	s_mov_b32 s2, -1
	s_cbranch_vccz .LBB20_1894
; %bb.1891:
	v_cmp_eq_u16_e32 vcc_lo, 15, v10
	s_mov_b32 s0, -1
	s_cbranch_vccz .LBB20_1893
; %bb.1892:
	v_bfe_u32 v3, v2, 16, 1
	v_cmp_o_f32_e32 vcc_lo, v2, v2
	s_mov_b32 s0, 0
	s_mov_b32 s3, -1
	s_delay_alu instid0(VALU_DEP_2) | instskip(NEXT) | instid1(VALU_DEP_1)
	v_add3_u32 v3, v2, v3, 0x7fff
	v_lshrrev_b32_e32 v3, 16, v3
	s_delay_alu instid0(VALU_DEP_1)
	v_cndmask_b32_e32 v3, 0x7fc0, v3, vcc_lo
	global_store_b16 v[0:1], v3, off
.LBB20_1893:
	s_mov_b32 s2, 0
.LBB20_1894:
	s_delay_alu instid0(SALU_CYCLE_1)
	s_and_b32 vcc_lo, exec_lo, s2
	s_mov_b32 s2, 0
	s_cbranch_vccz .LBB20_1896
; %bb.1895:
	v_cmp_ne_u16_e64 s0, 11, v10
	s_mov_b32 s2, -1
.LBB20_1896:
	s_delay_alu instid0(VALU_DEP_1)
	s_and_b32 vcc_lo, exec_lo, s0
	s_cbranch_vccnz .LBB20_2152
; %bb.1897:
	s_and_not1_b32 vcc_lo, exec_lo, s2
	s_cbranch_vccnz .LBB20_1899
.LBB20_1898:
	v_cmp_neq_f32_e32 vcc_lo, 0, v2
	s_mov_b32 s3, -1
	v_cndmask_b32_e64 v3, 0, 1, vcc_lo
	global_store_b8 v[0:1], v3, off
.LBB20_1899:
	s_mov_b32 s0, 0
	s_branch .LBB20_1901
.LBB20_1900:
	s_mov_b32 s0, -1
	s_mov_b32 s3, 0
.LBB20_1901:
	s_and_b32 vcc_lo, exec_lo, s0
	s_cbranch_vccz .LBB20_1940
; %bb.1902:
	v_cmp_gt_i16_e32 vcc_lo, 5, v10
	s_mov_b32 s0, -1
	s_cbranch_vccnz .LBB20_1923
; %bb.1903:
	v_cmp_gt_i16_e32 vcc_lo, 8, v10
	s_cbranch_vccnz .LBB20_1913
; %bb.1904:
	v_cmp_gt_i16_e32 vcc_lo, 9, v10
	s_cbranch_vccnz .LBB20_1910
; %bb.1905:
	v_cmp_lt_i16_e32 vcc_lo, 9, v10
	s_cbranch_vccz .LBB20_1907
; %bb.1906:
	v_cvt_f64_f32_e32 v[11:12], v2
	v_mov_b32_e32 v13, 0
	s_mov_b32 s0, 0
	s_delay_alu instid0(VALU_DEP_1)
	v_mov_b32_e32 v14, v13
	global_store_b128 v[0:1], v[11:14], off
.LBB20_1907:
	s_and_not1_b32 vcc_lo, exec_lo, s0
	s_cbranch_vccnz .LBB20_1909
; %bb.1908:
	v_mov_b32_e32 v3, 0
	global_store_b64 v[0:1], v[2:3], off
.LBB20_1909:
	s_mov_b32 s0, 0
.LBB20_1910:
	s_delay_alu instid0(SALU_CYCLE_1)
	s_and_not1_b32 vcc_lo, exec_lo, s0
	s_cbranch_vccnz .LBB20_1912
; %bb.1911:
	v_cvt_f16_f32_e32 v3, v2
	s_delay_alu instid0(VALU_DEP_1)
	v_and_b32_e32 v3, 0xffff, v3
	global_store_b32 v[0:1], v3, off
.LBB20_1912:
	s_mov_b32 s0, 0
.LBB20_1913:
	s_delay_alu instid0(SALU_CYCLE_1)
	s_and_not1_b32 vcc_lo, exec_lo, s0
	s_cbranch_vccnz .LBB20_1922
; %bb.1914:
	v_cmp_gt_i16_e32 vcc_lo, 6, v10
	s_mov_b32 s0, -1
	s_cbranch_vccnz .LBB20_1920
; %bb.1915:
	v_cmp_lt_i16_e32 vcc_lo, 6, v10
	s_cbranch_vccz .LBB20_1917
; %bb.1916:
	v_cvt_f64_f32_e32 v[7:8], v2
	s_mov_b32 s0, 0
	global_store_b64 v[0:1], v[7:8], off
.LBB20_1917:
	s_and_not1_b32 vcc_lo, exec_lo, s0
	s_cbranch_vccnz .LBB20_1919
; %bb.1918:
	global_store_b32 v[0:1], v2, off
.LBB20_1919:
	s_mov_b32 s0, 0
.LBB20_1920:
	s_delay_alu instid0(SALU_CYCLE_1)
	s_and_not1_b32 vcc_lo, exec_lo, s0
	s_cbranch_vccnz .LBB20_1922
; %bb.1921:
	v_cvt_f16_f32_e32 v3, v2
	global_store_b16 v[0:1], v3, off
.LBB20_1922:
	s_mov_b32 s0, 0
.LBB20_1923:
	s_delay_alu instid0(SALU_CYCLE_1)
	s_and_not1_b32 vcc_lo, exec_lo, s0
	s_cbranch_vccnz .LBB20_1939
; %bb.1924:
	v_cmp_gt_i16_e32 vcc_lo, 2, v10
	s_mov_b32 s0, -1
	s_cbranch_vccnz .LBB20_1934
; %bb.1925:
	v_cmp_gt_i16_e32 vcc_lo, 3, v10
	s_cbranch_vccnz .LBB20_1931
; %bb.1926:
	v_cmp_lt_i16_e32 vcc_lo, 3, v10
	s_cbranch_vccz .LBB20_1928
; %bb.1927:
	v_trunc_f32_e32 v3, v2
	s_mov_b32 s0, 0
	s_delay_alu instid0(VALU_DEP_1) | instskip(NEXT) | instid1(VALU_DEP_1)
	v_mul_f32_e64 v7, 0x2f800000, |v3|
	v_floor_f32_e32 v7, v7
	s_delay_alu instid0(VALU_DEP_1) | instskip(SKIP_2) | instid1(VALU_DEP_3)
	v_fma_f32 v8, 0xcf800000, v7, |v3|
	v_ashrrev_i32_e32 v3, 31, v3
	v_cvt_u32_f32_e32 v7, v7
	v_cvt_u32_f32_e32 v8, v8
	s_delay_alu instid0(VALU_DEP_2) | instskip(NEXT) | instid1(VALU_DEP_2)
	v_xor_b32_e32 v9, v7, v3
	v_xor_b32_e32 v8, v8, v3
	s_delay_alu instid0(VALU_DEP_1) | instskip(NEXT) | instid1(VALU_DEP_3)
	v_sub_co_u32 v7, vcc_lo, v8, v3
	v_sub_co_ci_u32_e32 v8, vcc_lo, v9, v3, vcc_lo
	global_store_b64 v[0:1], v[7:8], off
.LBB20_1928:
	s_and_not1_b32 vcc_lo, exec_lo, s0
	s_cbranch_vccnz .LBB20_1930
; %bb.1929:
	v_cvt_i32_f32_e32 v3, v2
	global_store_b32 v[0:1], v3, off
.LBB20_1930:
	s_mov_b32 s0, 0
.LBB20_1931:
	s_delay_alu instid0(SALU_CYCLE_1)
	s_and_not1_b32 vcc_lo, exec_lo, s0
	s_cbranch_vccnz .LBB20_1933
; %bb.1932:
	v_cvt_i32_f32_e32 v3, v2
	global_store_b16 v[0:1], v3, off
.LBB20_1933:
	s_mov_b32 s0, 0
.LBB20_1934:
	s_delay_alu instid0(SALU_CYCLE_1)
	s_and_not1_b32 vcc_lo, exec_lo, s0
	s_cbranch_vccnz .LBB20_1939
; %bb.1935:
	v_cmp_lt_i16_e32 vcc_lo, 0, v10
	s_mov_b32 s0, -1
	s_cbranch_vccz .LBB20_1937
; %bb.1936:
	v_cvt_i32_f32_e32 v3, v2
	s_mov_b32 s0, 0
	global_store_b8 v[0:1], v3, off
.LBB20_1937:
	s_and_not1_b32 vcc_lo, exec_lo, s0
	s_cbranch_vccnz .LBB20_1939
; %bb.1938:
	v_trunc_f32_e32 v2, v2
	s_delay_alu instid0(VALU_DEP_1) | instskip(NEXT) | instid1(VALU_DEP_1)
	v_mul_f32_e64 v3, 0x2f800000, |v2|
	v_floor_f32_e32 v3, v3
	s_delay_alu instid0(VALU_DEP_1) | instskip(SKIP_1) | instid1(VALU_DEP_2)
	v_fma_f32 v3, 0xcf800000, v3, |v2|
	v_ashrrev_i32_e32 v2, 31, v2
	v_cvt_u32_f32_e32 v3, v3
	s_delay_alu instid0(VALU_DEP_1) | instskip(NEXT) | instid1(VALU_DEP_1)
	v_xor_b32_e32 v3, v3, v2
	v_sub_nc_u32_e32 v2, v3, v2
	global_store_b8 v[0:1], v2, off
.LBB20_1939:
	s_mov_b32 s3, -1
.LBB20_1940:
	s_delay_alu instid0(SALU_CYCLE_1)
	s_and_not1_b32 vcc_lo, exec_lo, s3
	s_cbranch_vccnz .LBB20_2136
; %bb.1941:
	v_add_nc_u32_e32 v2, s1, v5
	v_cmp_gt_i16_e32 vcc_lo, 11, v10
	s_delay_alu instid0(VALU_DEP_2) | instskip(SKIP_1) | instid1(VALU_DEP_1)
	v_ashrrev_i32_e32 v1, 31, v2
	v_add_co_u32 v0, s0, s4, v2
	v_add_co_ci_u32_e64 v1, s0, s5, v1, s0
	s_cbranch_vccnz .LBB20_2019
; %bb.1942:
	v_cmp_lt_i16_e32 vcc_lo, 25, v10
	s_mov_b32 s6, -1
	s_mov_b32 s2, 0
	s_mov_b32 s3, 0
	;; [unrolled: 1-line block ×3, first 2 shown]
	s_cbranch_vccz .LBB20_1975
; %bb.1943:
	v_cmp_lt_i16_e32 vcc_lo, 28, v10
	s_cbranch_vccz .LBB20_1958
; %bb.1944:
	v_cmp_lt_i16_e32 vcc_lo, 43, v10
	;; [unrolled: 3-line block ×3, first 2 shown]
	s_cbranch_vccz .LBB20_1948
; %bb.1946:
	v_cmp_eq_u16_e32 vcc_lo, 46, v10
	s_mov_b32 s0, -1
	s_mov_b32 s6, 0
	s_cbranch_vccz .LBB20_1948
; %bb.1947:
	v_bfe_u32 v3, v4, 16, 1
	v_cmp_o_f32_e32 vcc_lo, v4, v4
	s_mov_b32 s0, 0
	s_mov_b32 s3, -1
	s_delay_alu instid0(VALU_DEP_2) | instskip(NEXT) | instid1(VALU_DEP_1)
	v_add3_u32 v3, v4, v3, 0x7fff
	v_lshrrev_b32_e32 v3, 16, v3
	s_delay_alu instid0(VALU_DEP_1)
	v_cndmask_b32_e32 v3, 0x7fc0, v3, vcc_lo
	global_store_b32 v[0:1], v3, off
.LBB20_1948:
	s_and_b32 vcc_lo, exec_lo, s6
	s_cbranch_vccz .LBB20_1953
; %bb.1949:
	v_cmp_eq_u16_e32 vcc_lo, 44, v10
	s_mov_b32 s0, -1
	s_cbranch_vccz .LBB20_1953
; %bb.1950:
	v_bfe_u32 v5, v4, 23, 8
	v_mov_b32_e32 v3, 0xff
	s_mov_b32 s3, exec_lo
	s_delay_alu instid0(VALU_DEP_2)
	v_cmpx_ne_u32_e32 0xff, v5
; %bb.1951:
	v_and_b32_e32 v3, 0x400000, v4
	v_and_or_b32 v5, 0x3fffff, v4, v5
	s_delay_alu instid0(VALU_DEP_2) | instskip(NEXT) | instid1(VALU_DEP_2)
	v_cmp_ne_u32_e32 vcc_lo, 0, v3
	v_cmp_ne_u32_e64 s0, 0, v5
	v_lshrrev_b32_e32 v3, 23, v4
	s_delay_alu instid0(VALU_DEP_2) | instskip(NEXT) | instid1(SALU_CYCLE_1)
	s_and_b32 s0, vcc_lo, s0
	v_cndmask_b32_e64 v5, 0, 1, s0
	s_delay_alu instid0(VALU_DEP_1)
	v_add_nc_u32_e32 v3, v3, v5
; %bb.1952:
	s_or_b32 exec_lo, exec_lo, s3
	s_mov_b32 s0, 0
	s_mov_b32 s3, -1
	global_store_b8 v[0:1], v3, off
.LBB20_1953:
	s_mov_b32 s6, 0
.LBB20_1954:
	s_delay_alu instid0(SALU_CYCLE_1)
	s_and_b32 vcc_lo, exec_lo, s6
	s_cbranch_vccz .LBB20_1957
; %bb.1955:
	v_cmp_eq_u16_e32 vcc_lo, 29, v10
	s_mov_b32 s0, -1
	s_cbranch_vccz .LBB20_1957
; %bb.1956:
	v_trunc_f32_e32 v3, v4
	s_mov_b32 s0, 0
	s_mov_b32 s3, -1
	s_delay_alu instid0(VALU_DEP_1) | instskip(NEXT) | instid1(VALU_DEP_1)
	v_mul_f32_e32 v5, 0x2f800000, v3
	v_floor_f32_e32 v5, v5
	s_delay_alu instid0(VALU_DEP_1) | instskip(SKIP_1) | instid1(VALU_DEP_2)
	v_fmamk_f32 v3, v5, 0xcf800000, v3
	v_cvt_u32_f32_e32 v8, v5
	v_cvt_u32_f32_e32 v7, v3
	global_store_b64 v[0:1], v[7:8], off
.LBB20_1957:
	s_mov_b32 s6, 0
.LBB20_1958:
	s_delay_alu instid0(SALU_CYCLE_1)
	s_and_b32 vcc_lo, exec_lo, s6
	s_cbranch_vccz .LBB20_1974
; %bb.1959:
	v_cmp_gt_i16_e32 vcc_lo, 27, v10
	s_mov_b32 s3, -1
	s_cbranch_vccnz .LBB20_1965
; %bb.1960:
	v_cmp_lt_i16_e32 vcc_lo, 27, v10
	v_cvt_u32_f32_e32 v3, v4
	s_cbranch_vccz .LBB20_1962
; %bb.1961:
	s_mov_b32 s3, 0
	global_store_b32 v[0:1], v3, off
.LBB20_1962:
	s_and_not1_b32 vcc_lo, exec_lo, s3
	s_cbranch_vccnz .LBB20_1964
; %bb.1963:
	global_store_b16 v[0:1], v3, off
.LBB20_1964:
	s_mov_b32 s3, 0
.LBB20_1965:
	s_delay_alu instid0(SALU_CYCLE_1)
	s_and_not1_b32 vcc_lo, exec_lo, s3
	s_cbranch_vccnz .LBB20_1973
; %bb.1966:
	v_and_b32_e32 v3, 0x7fffffff, v4
	v_mov_b32_e32 v5, 0x80
	s_mov_b32 s3, exec_lo
	s_delay_alu instid0(VALU_DEP_2)
	v_cmpx_gt_u32_e32 0x43800000, v3
	s_cbranch_execz .LBB20_1972
; %bb.1967:
	v_cmp_lt_u32_e32 vcc_lo, 0x3bffffff, v3
	s_mov_b32 s6, 0
                                        ; implicit-def: $vgpr3
	s_and_saveexec_b32 s7, vcc_lo
	s_delay_alu instid0(SALU_CYCLE_1)
	s_xor_b32 s7, exec_lo, s7
	s_cbranch_execz .LBB20_2156
; %bb.1968:
	v_bfe_u32 v3, v4, 20, 1
	s_mov_b32 s6, exec_lo
	s_delay_alu instid0(VALU_DEP_1) | instskip(NEXT) | instid1(VALU_DEP_1)
	v_add3_u32 v3, v4, v3, 0x487ffff
	v_lshrrev_b32_e32 v3, 20, v3
	s_or_saveexec_b32 s7, s7
                                        ; implicit-def: $sgpr11
	s_delay_alu instid0(SALU_CYCLE_1)
	s_xor_b32 exec_lo, exec_lo, s7
	s_cbranch_execnz .LBB20_2157
.LBB20_1969:
	s_or_b32 exec_lo, exec_lo, s7
	v_mov_b32_e32 v5, s11
	s_and_saveexec_b32 s7, s6
.LBB20_1970:
	v_lshrrev_b32_e32 v5, 24, v4
	s_delay_alu instid0(VALU_DEP_1)
	v_and_or_b32 v5, 0x80, v5, v3
.LBB20_1971:
	s_or_b32 exec_lo, exec_lo, s7
.LBB20_1972:
	s_delay_alu instid0(SALU_CYCLE_1)
	s_or_b32 exec_lo, exec_lo, s3
	global_store_b8 v[0:1], v5, off
.LBB20_1973:
	s_mov_b32 s3, -1
.LBB20_1974:
	s_mov_b32 s6, 0
.LBB20_1975:
	s_delay_alu instid0(SALU_CYCLE_1)
	s_and_b32 vcc_lo, exec_lo, s6
	s_cbranch_vccz .LBB20_2015
; %bb.1976:
	v_cmp_lt_i16_e32 vcc_lo, 22, v10
	s_mov_b32 s2, -1
	s_cbranch_vccz .LBB20_2008
; %bb.1977:
	v_cmp_gt_i16_e32 vcc_lo, 24, v10
	s_cbranch_vccnz .LBB20_1997
; %bb.1978:
	v_cmp_lt_i16_e32 vcc_lo, 24, v10
	s_cbranch_vccz .LBB20_1986
; %bb.1979:
	v_and_b32_e32 v3, 0x7fffffff, v4
	v_mov_b32_e32 v5, 0x80
	s_mov_b32 s2, exec_lo
	s_delay_alu instid0(VALU_DEP_2)
	v_cmpx_gt_u32_e32 0x47800000, v3
	s_cbranch_execz .LBB20_1985
; %bb.1980:
	v_cmp_lt_u32_e32 vcc_lo, 0x37ffffff, v3
	s_mov_b32 s3, 0
                                        ; implicit-def: $vgpr3
	s_and_saveexec_b32 s6, vcc_lo
	s_delay_alu instid0(SALU_CYCLE_1)
	s_xor_b32 s6, exec_lo, s6
	s_cbranch_execz .LBB20_2162
; %bb.1981:
	v_bfe_u32 v3, v4, 21, 1
	s_mov_b32 s3, exec_lo
	s_delay_alu instid0(VALU_DEP_1) | instskip(NEXT) | instid1(VALU_DEP_1)
	v_add3_u32 v3, v4, v3, 0x88fffff
	v_lshrrev_b32_e32 v3, 21, v3
	s_or_saveexec_b32 s6, s6
                                        ; implicit-def: $sgpr7
	s_delay_alu instid0(SALU_CYCLE_1)
	s_xor_b32 exec_lo, exec_lo, s6
	s_cbranch_execnz .LBB20_2163
.LBB20_1982:
	s_or_b32 exec_lo, exec_lo, s6
	v_mov_b32_e32 v5, s7
	s_and_saveexec_b32 s6, s3
.LBB20_1983:
	v_lshrrev_b32_e32 v5, 24, v4
	s_delay_alu instid0(VALU_DEP_1)
	v_and_or_b32 v5, 0x80, v5, v3
.LBB20_1984:
	s_or_b32 exec_lo, exec_lo, s6
.LBB20_1985:
	s_delay_alu instid0(SALU_CYCLE_1)
	s_or_b32 exec_lo, exec_lo, s2
	s_mov_b32 s2, 0
	global_store_b8 v[0:1], v5, off
.LBB20_1986:
	s_and_b32 vcc_lo, exec_lo, s2
	s_cbranch_vccz .LBB20_1996
; %bb.1987:
	v_and_b32_e32 v5, 0x7fffffff, v4
	s_mov_b32 s2, exec_lo
                                        ; implicit-def: $vgpr3
	s_delay_alu instid0(VALU_DEP_1)
	v_cmpx_gt_u32_e32 0x43f00000, v5
	s_xor_b32 s2, exec_lo, s2
	s_cbranch_execz .LBB20_1993
; %bb.1988:
	s_mov_b32 s3, exec_lo
                                        ; implicit-def: $vgpr3
	v_cmpx_lt_u32_e32 0x3c7fffff, v5
	s_xor_b32 s3, exec_lo, s3
; %bb.1989:
	v_bfe_u32 v3, v4, 20, 1
	s_delay_alu instid0(VALU_DEP_1) | instskip(NEXT) | instid1(VALU_DEP_1)
	v_add3_u32 v3, v4, v3, 0x407ffff
	v_and_b32_e32 v5, 0xff00000, v3
	v_lshrrev_b32_e32 v3, 20, v3
	s_delay_alu instid0(VALU_DEP_2) | instskip(NEXT) | instid1(VALU_DEP_2)
	v_cmp_ne_u32_e32 vcc_lo, 0x7f00000, v5
	v_cndmask_b32_e32 v3, 0x7e, v3, vcc_lo
; %bb.1990:
	s_and_not1_saveexec_b32 s3, s3
; %bb.1991:
	v_add_f32_e64 v3, 0x46800000, |v4|
; %bb.1992:
	s_or_b32 exec_lo, exec_lo, s3
                                        ; implicit-def: $vgpr5
.LBB20_1993:
	s_and_not1_saveexec_b32 s2, s2
; %bb.1994:
	v_mov_b32_e32 v3, 0x7f
	v_cmp_lt_u32_e32 vcc_lo, 0x7f800000, v5
	s_delay_alu instid0(VALU_DEP_2)
	v_cndmask_b32_e32 v3, 0x7e, v3, vcc_lo
; %bb.1995:
	s_or_b32 exec_lo, exec_lo, s2
	v_lshrrev_b32_e32 v5, 24, v4
	s_delay_alu instid0(VALU_DEP_1)
	v_and_or_b32 v3, 0x80, v5, v3
	global_store_b8 v[0:1], v3, off
.LBB20_1996:
	s_mov_b32 s2, 0
.LBB20_1997:
	s_delay_alu instid0(SALU_CYCLE_1)
	s_and_not1_b32 vcc_lo, exec_lo, s2
	s_cbranch_vccnz .LBB20_2007
; %bb.1998:
	v_and_b32_e32 v5, 0x7fffffff, v4
	s_mov_b32 s2, exec_lo
                                        ; implicit-def: $vgpr3
	s_delay_alu instid0(VALU_DEP_1)
	v_cmpx_gt_u32_e32 0x47800000, v5
	s_xor_b32 s2, exec_lo, s2
	s_cbranch_execz .LBB20_2004
; %bb.1999:
	s_mov_b32 s3, exec_lo
                                        ; implicit-def: $vgpr3
	v_cmpx_lt_u32_e32 0x387fffff, v5
	s_xor_b32 s3, exec_lo, s3
; %bb.2000:
	v_bfe_u32 v3, v4, 21, 1
	s_delay_alu instid0(VALU_DEP_1) | instskip(NEXT) | instid1(VALU_DEP_1)
	v_add3_u32 v3, v4, v3, 0x80fffff
	v_lshrrev_b32_e32 v3, 21, v3
; %bb.2001:
	s_and_not1_saveexec_b32 s3, s3
; %bb.2002:
	v_add_f32_e64 v3, 0x43000000, |v4|
; %bb.2003:
	s_or_b32 exec_lo, exec_lo, s3
                                        ; implicit-def: $vgpr5
.LBB20_2004:
	s_and_not1_saveexec_b32 s2, s2
; %bb.2005:
	v_mov_b32_e32 v3, 0x7f
	v_cmp_lt_u32_e32 vcc_lo, 0x7f800000, v5
	s_delay_alu instid0(VALU_DEP_2)
	v_cndmask_b32_e32 v3, 0x7c, v3, vcc_lo
; %bb.2006:
	s_or_b32 exec_lo, exec_lo, s2
	v_lshrrev_b32_e32 v5, 24, v4
	s_delay_alu instid0(VALU_DEP_1)
	v_and_or_b32 v3, 0x80, v5, v3
	global_store_b8 v[0:1], v3, off
.LBB20_2007:
	s_mov_b32 s2, 0
	s_mov_b32 s3, -1
.LBB20_2008:
	s_and_not1_b32 vcc_lo, exec_lo, s2
	s_mov_b32 s2, 0
	s_cbranch_vccnz .LBB20_2015
; %bb.2009:
	v_cmp_lt_i16_e32 vcc_lo, 14, v10
	s_mov_b32 s2, -1
	s_cbranch_vccz .LBB20_2013
; %bb.2010:
	v_cmp_eq_u16_e32 vcc_lo, 15, v10
	s_mov_b32 s0, -1
	s_cbranch_vccz .LBB20_2012
; %bb.2011:
	v_bfe_u32 v3, v4, 16, 1
	v_cmp_o_f32_e32 vcc_lo, v4, v4
	s_mov_b32 s0, 0
	s_mov_b32 s3, -1
	s_delay_alu instid0(VALU_DEP_2) | instskip(NEXT) | instid1(VALU_DEP_1)
	v_add3_u32 v3, v4, v3, 0x7fff
	v_lshrrev_b32_e32 v3, 16, v3
	s_delay_alu instid0(VALU_DEP_1)
	v_cndmask_b32_e32 v3, 0x7fc0, v3, vcc_lo
	global_store_b16 v[0:1], v3, off
.LBB20_2012:
	s_mov_b32 s2, 0
.LBB20_2013:
	s_delay_alu instid0(SALU_CYCLE_1)
	s_and_b32 vcc_lo, exec_lo, s2
	s_mov_b32 s2, 0
	s_cbranch_vccz .LBB20_2015
; %bb.2014:
	v_cmp_ne_u16_e64 s0, 11, v10
	s_mov_b32 s2, -1
.LBB20_2015:
	s_delay_alu instid0(VALU_DEP_1)
	s_and_b32 vcc_lo, exec_lo, s0
	s_cbranch_vccnz .LBB20_2160
; %bb.2016:
	s_and_not1_b32 vcc_lo, exec_lo, s2
	s_cbranch_vccnz .LBB20_2018
.LBB20_2017:
	v_cmp_neq_f32_e32 vcc_lo, 0, v4
	s_mov_b32 s3, -1
	v_cndmask_b32_e64 v3, 0, 1, vcc_lo
	global_store_b8 v[0:1], v3, off
.LBB20_2018:
	s_mov_b32 s0, 0
	s_branch .LBB20_2020
.LBB20_2019:
	s_mov_b32 s0, -1
	s_mov_b32 s3, 0
.LBB20_2020:
	s_and_b32 vcc_lo, exec_lo, s0
	s_cbranch_vccz .LBB20_2059
; %bb.2021:
	v_cmp_gt_i16_e32 vcc_lo, 5, v10
	s_mov_b32 s0, -1
	s_cbranch_vccnz .LBB20_2042
; %bb.2022:
	v_cmp_gt_i16_e32 vcc_lo, 8, v10
	s_cbranch_vccnz .LBB20_2032
; %bb.2023:
	v_cmp_gt_i16_e32 vcc_lo, 9, v10
	s_cbranch_vccnz .LBB20_2029
; %bb.2024:
	v_cmp_lt_i16_e32 vcc_lo, 9, v10
	s_cbranch_vccz .LBB20_2026
; %bb.2025:
	v_cvt_f64_f32_e32 v[11:12], v4
	v_mov_b32_e32 v13, 0
	s_mov_b32 s0, 0
	s_delay_alu instid0(VALU_DEP_1)
	v_mov_b32_e32 v14, v13
	global_store_b128 v[0:1], v[11:14], off
.LBB20_2026:
	s_and_not1_b32 vcc_lo, exec_lo, s0
	s_cbranch_vccnz .LBB20_2028
; %bb.2027:
	v_mov_b32_e32 v5, 0
	global_store_b64 v[0:1], v[4:5], off
.LBB20_2028:
	s_mov_b32 s0, 0
.LBB20_2029:
	s_delay_alu instid0(SALU_CYCLE_1)
	s_and_not1_b32 vcc_lo, exec_lo, s0
	s_cbranch_vccnz .LBB20_2031
; %bb.2030:
	v_cvt_f16_f32_e32 v3, v4
	s_delay_alu instid0(VALU_DEP_1)
	v_and_b32_e32 v3, 0xffff, v3
	global_store_b32 v[0:1], v3, off
.LBB20_2031:
	s_mov_b32 s0, 0
.LBB20_2032:
	s_delay_alu instid0(SALU_CYCLE_1)
	s_and_not1_b32 vcc_lo, exec_lo, s0
	s_cbranch_vccnz .LBB20_2041
; %bb.2033:
	v_cmp_gt_i16_e32 vcc_lo, 6, v10
	s_mov_b32 s0, -1
	s_cbranch_vccnz .LBB20_2039
; %bb.2034:
	v_cmp_lt_i16_e32 vcc_lo, 6, v10
	s_cbranch_vccz .LBB20_2036
; %bb.2035:
	v_cvt_f64_f32_e32 v[7:8], v4
	s_mov_b32 s0, 0
	global_store_b64 v[0:1], v[7:8], off
.LBB20_2036:
	s_and_not1_b32 vcc_lo, exec_lo, s0
	s_cbranch_vccnz .LBB20_2038
; %bb.2037:
	global_store_b32 v[0:1], v4, off
.LBB20_2038:
	s_mov_b32 s0, 0
.LBB20_2039:
	s_delay_alu instid0(SALU_CYCLE_1)
	s_and_not1_b32 vcc_lo, exec_lo, s0
	s_cbranch_vccnz .LBB20_2041
; %bb.2040:
	v_cvt_f16_f32_e32 v3, v4
	global_store_b16 v[0:1], v3, off
.LBB20_2041:
	s_mov_b32 s0, 0
.LBB20_2042:
	s_delay_alu instid0(SALU_CYCLE_1)
	s_and_not1_b32 vcc_lo, exec_lo, s0
	s_cbranch_vccnz .LBB20_2058
; %bb.2043:
	v_cmp_gt_i16_e32 vcc_lo, 2, v10
	s_mov_b32 s0, -1
	s_cbranch_vccnz .LBB20_2053
; %bb.2044:
	v_cmp_gt_i16_e32 vcc_lo, 3, v10
	s_cbranch_vccnz .LBB20_2050
; %bb.2045:
	v_cmp_lt_i16_e32 vcc_lo, 3, v10
	s_cbranch_vccz .LBB20_2047
; %bb.2046:
	v_trunc_f32_e32 v3, v4
	s_mov_b32 s0, 0
	s_delay_alu instid0(VALU_DEP_1) | instskip(NEXT) | instid1(VALU_DEP_1)
	v_mul_f32_e64 v5, 0x2f800000, |v3|
	v_floor_f32_e32 v5, v5
	s_delay_alu instid0(VALU_DEP_1) | instskip(SKIP_2) | instid1(VALU_DEP_3)
	v_fma_f32 v7, 0xcf800000, v5, |v3|
	v_ashrrev_i32_e32 v3, 31, v3
	v_cvt_u32_f32_e32 v5, v5
	v_cvt_u32_f32_e32 v7, v7
	s_delay_alu instid0(VALU_DEP_2) | instskip(NEXT) | instid1(VALU_DEP_2)
	v_xor_b32_e32 v5, v5, v3
	v_xor_b32_e32 v7, v7, v3
	s_delay_alu instid0(VALU_DEP_1) | instskip(NEXT) | instid1(VALU_DEP_3)
	v_sub_co_u32 v7, vcc_lo, v7, v3
	v_sub_co_ci_u32_e32 v8, vcc_lo, v5, v3, vcc_lo
	global_store_b64 v[0:1], v[7:8], off
.LBB20_2047:
	s_and_not1_b32 vcc_lo, exec_lo, s0
	s_cbranch_vccnz .LBB20_2049
; %bb.2048:
	v_cvt_i32_f32_e32 v3, v4
	global_store_b32 v[0:1], v3, off
.LBB20_2049:
	s_mov_b32 s0, 0
.LBB20_2050:
	s_delay_alu instid0(SALU_CYCLE_1)
	s_and_not1_b32 vcc_lo, exec_lo, s0
	s_cbranch_vccnz .LBB20_2052
; %bb.2051:
	v_cvt_i32_f32_e32 v3, v4
	global_store_b16 v[0:1], v3, off
.LBB20_2052:
	s_mov_b32 s0, 0
.LBB20_2053:
	s_delay_alu instid0(SALU_CYCLE_1)
	s_and_not1_b32 vcc_lo, exec_lo, s0
	s_cbranch_vccnz .LBB20_2058
; %bb.2054:
	v_cmp_lt_i16_e32 vcc_lo, 0, v10
	s_mov_b32 s0, -1
	s_cbranch_vccz .LBB20_2056
; %bb.2055:
	v_cvt_i32_f32_e32 v3, v4
	s_mov_b32 s0, 0
	global_store_b8 v[0:1], v3, off
.LBB20_2056:
	s_and_not1_b32 vcc_lo, exec_lo, s0
	s_cbranch_vccnz .LBB20_2058
; %bb.2057:
	v_trunc_f32_e32 v3, v4
	s_delay_alu instid0(VALU_DEP_1) | instskip(NEXT) | instid1(VALU_DEP_1)
	v_mul_f32_e64 v4, 0x2f800000, |v3|
	v_floor_f32_e32 v4, v4
	s_delay_alu instid0(VALU_DEP_1) | instskip(SKIP_1) | instid1(VALU_DEP_2)
	v_fma_f32 v4, 0xcf800000, v4, |v3|
	v_ashrrev_i32_e32 v3, 31, v3
	v_cvt_u32_f32_e32 v4, v4
	s_delay_alu instid0(VALU_DEP_1) | instskip(NEXT) | instid1(VALU_DEP_1)
	v_xor_b32_e32 v4, v4, v3
	v_sub_nc_u32_e32 v3, v4, v3
	global_store_b8 v[0:1], v3, off
.LBB20_2058:
	s_mov_b32 s3, -1
.LBB20_2059:
	s_delay_alu instid0(SALU_CYCLE_1)
	s_and_not1_b32 vcc_lo, exec_lo, s3
	s_cbranch_vccnz .LBB20_2136
; %bb.2060:
	v_add_nc_u32_e32 v0, s1, v2
	v_cmp_gt_i16_e32 vcc_lo, 11, v10
	s_delay_alu instid0(VALU_DEP_2) | instskip(SKIP_1) | instid1(VALU_DEP_1)
	v_ashrrev_i32_e32 v1, 31, v0
	v_add_co_u32 v0, s0, s4, v0
	v_add_co_ci_u32_e64 v1, s0, s5, v1, s0
	s_cbranch_vccnz .LBB20_2137
; %bb.2061:
	v_cmp_lt_i16_e32 vcc_lo, 25, v10
	s_mov_b32 s2, -1
	s_mov_b32 s1, 0
	s_mov_b32 s0, 0
	s_cbranch_vccz .LBB20_2094
; %bb.2062:
	v_cmp_lt_i16_e32 vcc_lo, 28, v10
	s_cbranch_vccz .LBB20_2078
; %bb.2063:
	v_cmp_lt_i16_e32 vcc_lo, 43, v10
	;; [unrolled: 3-line block ×3, first 2 shown]
	s_cbranch_vccz .LBB20_2068
; %bb.2065:
	v_cmp_eq_u16_e32 vcc_lo, 46, v10
	s_mov_b32 s0, -1
	s_cbranch_vccz .LBB20_2067
; %bb.2066:
	v_bfe_u32 v2, v6, 16, 1
	v_cmp_o_f32_e32 vcc_lo, v6, v6
	s_mov_b32 s0, 0
	s_delay_alu instid0(VALU_DEP_2) | instskip(NEXT) | instid1(VALU_DEP_1)
	v_add3_u32 v2, v6, v2, 0x7fff
	v_lshrrev_b32_e32 v2, 16, v2
	s_delay_alu instid0(VALU_DEP_1)
	v_cndmask_b32_e32 v2, 0x7fc0, v2, vcc_lo
	global_store_b32 v[0:1], v2, off
.LBB20_2067:
	s_mov_b32 s2, 0
.LBB20_2068:
	s_delay_alu instid0(SALU_CYCLE_1)
	s_and_b32 vcc_lo, exec_lo, s2
	s_cbranch_vccz .LBB20_2073
; %bb.2069:
	v_cmp_eq_u16_e32 vcc_lo, 44, v10
	s_mov_b32 s0, -1
	s_cbranch_vccz .LBB20_2073
; %bb.2070:
	v_bfe_u32 v3, v6, 23, 8
	v_mov_b32_e32 v2, 0xff
	s_mov_b32 s2, exec_lo
	s_delay_alu instid0(VALU_DEP_2)
	v_cmpx_ne_u32_e32 0xff, v3
; %bb.2071:
	v_and_b32_e32 v2, 0x400000, v6
	v_and_or_b32 v3, 0x3fffff, v6, v3
	s_delay_alu instid0(VALU_DEP_2) | instskip(NEXT) | instid1(VALU_DEP_2)
	v_cmp_ne_u32_e32 vcc_lo, 0, v2
	v_cmp_ne_u32_e64 s0, 0, v3
	v_lshrrev_b32_e32 v2, 23, v6
	s_delay_alu instid0(VALU_DEP_2) | instskip(NEXT) | instid1(SALU_CYCLE_1)
	s_and_b32 s0, vcc_lo, s0
	v_cndmask_b32_e64 v3, 0, 1, s0
	s_delay_alu instid0(VALU_DEP_1)
	v_add_nc_u32_e32 v2, v2, v3
; %bb.2072:
	s_or_b32 exec_lo, exec_lo, s2
	s_mov_b32 s0, 0
	global_store_b8 v[0:1], v2, off
.LBB20_2073:
	s_mov_b32 s2, 0
.LBB20_2074:
	s_delay_alu instid0(SALU_CYCLE_1)
	s_and_b32 vcc_lo, exec_lo, s2
	s_cbranch_vccz .LBB20_2077
; %bb.2075:
	v_cmp_eq_u16_e32 vcc_lo, 29, v10
	s_mov_b32 s0, -1
	s_cbranch_vccz .LBB20_2077
; %bb.2076:
	v_trunc_f32_e32 v2, v6
	s_mov_b32 s0, 0
	s_delay_alu instid0(VALU_DEP_1) | instskip(NEXT) | instid1(VALU_DEP_1)
	v_mul_f32_e32 v3, 0x2f800000, v2
	v_floor_f32_e32 v3, v3
	s_delay_alu instid0(VALU_DEP_1) | instskip(SKIP_1) | instid1(VALU_DEP_2)
	v_fmamk_f32 v2, v3, 0xcf800000, v2
	v_cvt_u32_f32_e32 v3, v3
	v_cvt_u32_f32_e32 v2, v2
	global_store_b64 v[0:1], v[2:3], off
.LBB20_2077:
	s_mov_b32 s2, 0
.LBB20_2078:
	s_delay_alu instid0(SALU_CYCLE_1)
	s_and_b32 vcc_lo, exec_lo, s2
	s_cbranch_vccz .LBB20_2093
; %bb.2079:
	v_cmp_gt_i16_e32 vcc_lo, 27, v10
	s_mov_b32 s2, -1
	s_cbranch_vccnz .LBB20_2085
; %bb.2080:
	v_cmp_lt_i16_e32 vcc_lo, 27, v10
	v_cvt_u32_f32_e32 v2, v6
	s_cbranch_vccz .LBB20_2082
; %bb.2081:
	s_mov_b32 s2, 0
	global_store_b32 v[0:1], v2, off
.LBB20_2082:
	s_and_not1_b32 vcc_lo, exec_lo, s2
	s_cbranch_vccnz .LBB20_2084
; %bb.2083:
	global_store_b16 v[0:1], v2, off
.LBB20_2084:
	s_mov_b32 s2, 0
.LBB20_2085:
	s_delay_alu instid0(SALU_CYCLE_1)
	s_and_not1_b32 vcc_lo, exec_lo, s2
	s_cbranch_vccnz .LBB20_2093
; %bb.2086:
	v_and_b32_e32 v2, 0x7fffffff, v6
	v_mov_b32_e32 v3, 0x80
	s_mov_b32 s2, exec_lo
	s_delay_alu instid0(VALU_DEP_2)
	v_cmpx_gt_u32_e32 0x43800000, v2
	s_cbranch_execz .LBB20_2092
; %bb.2087:
	v_cmp_lt_u32_e32 vcc_lo, 0x3bffffff, v2
	s_mov_b32 s3, 0
                                        ; implicit-def: $vgpr2
	s_and_saveexec_b32 s4, vcc_lo
	s_delay_alu instid0(SALU_CYCLE_1)
	s_xor_b32 s4, exec_lo, s4
	s_cbranch_execz .LBB20_2164
; %bb.2088:
	v_bfe_u32 v2, v6, 20, 1
	s_mov_b32 s3, exec_lo
	s_delay_alu instid0(VALU_DEP_1) | instskip(NEXT) | instid1(VALU_DEP_1)
	v_add3_u32 v2, v6, v2, 0x487ffff
	v_lshrrev_b32_e32 v2, 20, v2
	s_or_saveexec_b32 s4, s4
                                        ; implicit-def: $sgpr5
	s_delay_alu instid0(SALU_CYCLE_1)
	s_xor_b32 exec_lo, exec_lo, s4
	s_cbranch_execnz .LBB20_2165
.LBB20_2089:
	s_or_b32 exec_lo, exec_lo, s4
	v_mov_b32_e32 v3, s5
	s_and_saveexec_b32 s4, s3
.LBB20_2090:
	v_lshrrev_b32_e32 v3, 24, v6
	s_delay_alu instid0(VALU_DEP_1)
	v_and_or_b32 v3, 0x80, v3, v2
.LBB20_2091:
	s_or_b32 exec_lo, exec_lo, s4
.LBB20_2092:
	s_delay_alu instid0(SALU_CYCLE_1)
	s_or_b32 exec_lo, exec_lo, s2
	global_store_b8 v[0:1], v3, off
.LBB20_2093:
	s_mov_b32 s2, 0
.LBB20_2094:
	s_delay_alu instid0(SALU_CYCLE_1)
	s_and_b32 vcc_lo, exec_lo, s2
	s_cbranch_vccz .LBB20_2134
; %bb.2095:
	v_cmp_lt_i16_e32 vcc_lo, 22, v10
	s_mov_b32 s1, -1
	s_cbranch_vccz .LBB20_2127
; %bb.2096:
	v_cmp_gt_i16_e32 vcc_lo, 24, v10
	s_cbranch_vccnz .LBB20_2116
; %bb.2097:
	v_cmp_lt_i16_e32 vcc_lo, 24, v10
	s_cbranch_vccz .LBB20_2105
; %bb.2098:
	v_and_b32_e32 v2, 0x7fffffff, v6
	v_mov_b32_e32 v3, 0x80
	s_mov_b32 s1, exec_lo
	s_delay_alu instid0(VALU_DEP_2)
	v_cmpx_gt_u32_e32 0x47800000, v2
	s_cbranch_execz .LBB20_2104
; %bb.2099:
	v_cmp_lt_u32_e32 vcc_lo, 0x37ffffff, v2
	s_mov_b32 s2, 0
                                        ; implicit-def: $vgpr2
	s_and_saveexec_b32 s3, vcc_lo
	s_delay_alu instid0(SALU_CYCLE_1)
	s_xor_b32 s3, exec_lo, s3
	s_cbranch_execz .LBB20_2170
; %bb.2100:
	v_bfe_u32 v2, v6, 21, 1
	s_mov_b32 s2, exec_lo
	s_delay_alu instid0(VALU_DEP_1) | instskip(NEXT) | instid1(VALU_DEP_1)
	v_add3_u32 v2, v6, v2, 0x88fffff
	v_lshrrev_b32_e32 v2, 21, v2
	s_or_saveexec_b32 s3, s3
                                        ; implicit-def: $sgpr4
	s_delay_alu instid0(SALU_CYCLE_1)
	s_xor_b32 exec_lo, exec_lo, s3
	s_cbranch_execnz .LBB20_2171
.LBB20_2101:
	s_or_b32 exec_lo, exec_lo, s3
	v_mov_b32_e32 v3, s4
	s_and_saveexec_b32 s3, s2
.LBB20_2102:
	v_lshrrev_b32_e32 v3, 24, v6
	s_delay_alu instid0(VALU_DEP_1)
	v_and_or_b32 v3, 0x80, v3, v2
.LBB20_2103:
	s_or_b32 exec_lo, exec_lo, s3
.LBB20_2104:
	s_delay_alu instid0(SALU_CYCLE_1)
	s_or_b32 exec_lo, exec_lo, s1
	s_mov_b32 s1, 0
	global_store_b8 v[0:1], v3, off
.LBB20_2105:
	s_and_b32 vcc_lo, exec_lo, s1
	s_cbranch_vccz .LBB20_2115
; %bb.2106:
	v_and_b32_e32 v3, 0x7fffffff, v6
	s_mov_b32 s1, exec_lo
                                        ; implicit-def: $vgpr2
	s_delay_alu instid0(VALU_DEP_1)
	v_cmpx_gt_u32_e32 0x43f00000, v3
	s_xor_b32 s1, exec_lo, s1
	s_cbranch_execz .LBB20_2112
; %bb.2107:
	s_mov_b32 s2, exec_lo
                                        ; implicit-def: $vgpr2
	v_cmpx_lt_u32_e32 0x3c7fffff, v3
	s_xor_b32 s2, exec_lo, s2
; %bb.2108:
	v_bfe_u32 v2, v6, 20, 1
	s_delay_alu instid0(VALU_DEP_1) | instskip(NEXT) | instid1(VALU_DEP_1)
	v_add3_u32 v2, v6, v2, 0x407ffff
	v_and_b32_e32 v3, 0xff00000, v2
	v_lshrrev_b32_e32 v2, 20, v2
	s_delay_alu instid0(VALU_DEP_2) | instskip(NEXT) | instid1(VALU_DEP_2)
	v_cmp_ne_u32_e32 vcc_lo, 0x7f00000, v3
	v_cndmask_b32_e32 v2, 0x7e, v2, vcc_lo
; %bb.2109:
	s_and_not1_saveexec_b32 s2, s2
; %bb.2110:
	v_add_f32_e64 v2, 0x46800000, |v6|
; %bb.2111:
	s_or_b32 exec_lo, exec_lo, s2
                                        ; implicit-def: $vgpr3
.LBB20_2112:
	s_and_not1_saveexec_b32 s1, s1
; %bb.2113:
	v_mov_b32_e32 v2, 0x7f
	v_cmp_lt_u32_e32 vcc_lo, 0x7f800000, v3
	s_delay_alu instid0(VALU_DEP_2)
	v_cndmask_b32_e32 v2, 0x7e, v2, vcc_lo
; %bb.2114:
	s_or_b32 exec_lo, exec_lo, s1
	v_lshrrev_b32_e32 v3, 24, v6
	s_delay_alu instid0(VALU_DEP_1)
	v_and_or_b32 v2, 0x80, v3, v2
	global_store_b8 v[0:1], v2, off
.LBB20_2115:
	s_mov_b32 s1, 0
.LBB20_2116:
	s_delay_alu instid0(SALU_CYCLE_1)
	s_and_not1_b32 vcc_lo, exec_lo, s1
	s_cbranch_vccnz .LBB20_2126
; %bb.2117:
	v_and_b32_e32 v3, 0x7fffffff, v6
	s_mov_b32 s1, exec_lo
                                        ; implicit-def: $vgpr2
	s_delay_alu instid0(VALU_DEP_1)
	v_cmpx_gt_u32_e32 0x47800000, v3
	s_xor_b32 s1, exec_lo, s1
	s_cbranch_execz .LBB20_2123
; %bb.2118:
	s_mov_b32 s2, exec_lo
                                        ; implicit-def: $vgpr2
	v_cmpx_lt_u32_e32 0x387fffff, v3
	s_xor_b32 s2, exec_lo, s2
; %bb.2119:
	v_bfe_u32 v2, v6, 21, 1
	s_delay_alu instid0(VALU_DEP_1) | instskip(NEXT) | instid1(VALU_DEP_1)
	v_add3_u32 v2, v6, v2, 0x80fffff
	v_lshrrev_b32_e32 v2, 21, v2
; %bb.2120:
	s_and_not1_saveexec_b32 s2, s2
; %bb.2121:
	v_add_f32_e64 v2, 0x43000000, |v6|
; %bb.2122:
	s_or_b32 exec_lo, exec_lo, s2
                                        ; implicit-def: $vgpr3
.LBB20_2123:
	s_and_not1_saveexec_b32 s1, s1
; %bb.2124:
	v_mov_b32_e32 v2, 0x7f
	v_cmp_lt_u32_e32 vcc_lo, 0x7f800000, v3
	s_delay_alu instid0(VALU_DEP_2)
	v_cndmask_b32_e32 v2, 0x7c, v2, vcc_lo
; %bb.2125:
	s_or_b32 exec_lo, exec_lo, s1
	v_lshrrev_b32_e32 v3, 24, v6
	s_delay_alu instid0(VALU_DEP_1)
	v_and_or_b32 v2, 0x80, v3, v2
	global_store_b8 v[0:1], v2, off
.LBB20_2126:
	s_mov_b32 s1, 0
.LBB20_2127:
	s_delay_alu instid0(SALU_CYCLE_1)
	s_and_not1_b32 vcc_lo, exec_lo, s1
	s_mov_b32 s1, 0
	s_cbranch_vccnz .LBB20_2134
; %bb.2128:
	v_cmp_lt_i16_e32 vcc_lo, 14, v10
	s_mov_b32 s1, -1
	s_cbranch_vccz .LBB20_2132
; %bb.2129:
	v_cmp_eq_u16_e32 vcc_lo, 15, v10
	s_mov_b32 s0, -1
	s_cbranch_vccz .LBB20_2131
; %bb.2130:
	v_bfe_u32 v2, v6, 16, 1
	v_cmp_o_f32_e32 vcc_lo, v6, v6
	s_mov_b32 s0, 0
	s_delay_alu instid0(VALU_DEP_2) | instskip(NEXT) | instid1(VALU_DEP_1)
	v_add3_u32 v2, v6, v2, 0x7fff
	v_lshrrev_b32_e32 v2, 16, v2
	s_delay_alu instid0(VALU_DEP_1)
	v_cndmask_b32_e32 v2, 0x7fc0, v2, vcc_lo
	global_store_b16 v[0:1], v2, off
.LBB20_2131:
	s_mov_b32 s1, 0
.LBB20_2132:
	s_delay_alu instid0(SALU_CYCLE_1)
	s_and_b32 vcc_lo, exec_lo, s1
	s_mov_b32 s1, 0
	s_cbranch_vccz .LBB20_2134
; %bb.2133:
	v_cmp_ne_u16_e64 s0, 11, v10
	s_mov_b32 s1, -1
.LBB20_2134:
	s_delay_alu instid0(VALU_DEP_1)
	s_and_b32 vcc_lo, exec_lo, s0
	s_cbranch_vccnz .LBB20_2168
.LBB20_2135:
	s_mov_b32 s0, 0
	s_branch .LBB20_1737
.LBB20_2136:
	s_mov_b32 s0, 0
	s_mov_b32 s1, 0
                                        ; implicit-def: $vgpr10
                                        ; implicit-def: $vgpr0_vgpr1
	s_branch .LBB20_1737
.LBB20_2137:
	s_mov_b32 s1, 0
	s_mov_b32 s0, -1
	s_branch .LBB20_1737
.LBB20_2138:
	s_cbranch_execnz .LBB20_2142
; %bb.2139:
	s_or_b32 s8, s8, exec_lo
                                        ; implicit-def: $vgpr1
	s_cbranch_execz .LBB20_1594
	s_branch .LBB20_1595
.LBB20_2140:
	s_or_saveexec_b32 s7, s7
                                        ; implicit-def: $sgpr11
	s_delay_alu instid0(SALU_CYCLE_1)
	s_xor_b32 exec_lo, exec_lo, s7
	s_cbranch_execz .LBB20_1686
.LBB20_2141:
	v_add_f32_e64 v1, 0x46000000, |v0|
	s_and_not1_b32 s6, s6, exec_lo
	s_mov_b32 s11, 0
	s_delay_alu instid0(VALU_DEP_1) | instskip(NEXT) | instid1(VALU_DEP_1)
	v_and_b32_e32 v1, 0xff, v1
	v_cmp_ne_u32_e32 vcc_lo, 0, v1
	s_and_b32 s12, vcc_lo, exec_lo
	s_delay_alu instid0(SALU_CYCLE_1)
	s_or_b32 s6, s6, s12
	s_or_b32 exec_lo, exec_lo, s7
	v_mov_b32_e32 v5, s11
	s_and_saveexec_b32 s7, s6
	s_cbranch_execnz .LBB20_1687
	s_branch .LBB20_1688
.LBB20_2142:
	s_trap 2
	s_sendmsg_rtn_b32 s0, sendmsg(MSG_RTN_GET_DOORBELL)
	s_mov_b32 ttmp2, m0
	s_waitcnt lgkmcnt(0)
	s_and_b32 s0, s0, 0x3ff
	s_delay_alu instid0(SALU_CYCLE_1) | instskip(NEXT) | instid1(SALU_CYCLE_1)
	s_bitset1_b32 s0, 10
	s_mov_b32 m0, s0
	s_sendmsg sendmsg(MSG_INTERRUPT)
	s_mov_b32 m0, ttmp2
.LBB20_2143:                            ; =>This Inner Loop Header: Depth=1
	s_sethalt 5
	s_branch .LBB20_2143
.LBB20_2144:
	s_cbranch_execnz .LBB20_2150
; %bb.2145:
	s_or_b32 s8, s8, exec_lo
	s_cbranch_execz .LBB20_1734
	s_branch .LBB20_1735
.LBB20_2146:
	s_or_saveexec_b32 s6, s6
                                        ; implicit-def: $sgpr7
	s_delay_alu instid0(SALU_CYCLE_1)
	s_xor_b32 exec_lo, exec_lo, s6
	s_cbranch_execz .LBB20_1699
.LBB20_2147:
	v_add_f32_e64 v1, 0x42800000, |v0|
	s_and_not1_b32 s3, s3, exec_lo
	s_mov_b32 s7, 0
	s_delay_alu instid0(VALU_DEP_1) | instskip(NEXT) | instid1(VALU_DEP_1)
	v_and_b32_e32 v1, 0xff, v1
	v_cmp_ne_u32_e32 vcc_lo, 0, v1
	s_and_b32 s11, vcc_lo, exec_lo
	s_delay_alu instid0(SALU_CYCLE_1)
	s_or_b32 s3, s3, s11
	s_or_b32 exec_lo, exec_lo, s6
	v_mov_b32_e32 v5, s7
	s_and_saveexec_b32 s6, s3
	s_cbranch_execnz .LBB20_1700
	s_branch .LBB20_1701
.LBB20_2148:
	s_or_saveexec_b32 s7, s7
                                        ; implicit-def: $sgpr11
	s_delay_alu instid0(SALU_CYCLE_1)
	s_xor_b32 exec_lo, exec_lo, s7
	s_cbranch_execz .LBB20_1850
.LBB20_2149:
	v_add_f32_e64 v3, 0x46000000, |v2|
	s_and_not1_b32 s6, s6, exec_lo
	s_mov_b32 s11, 0
	s_delay_alu instid0(VALU_DEP_1) | instskip(NEXT) | instid1(VALU_DEP_1)
	v_and_b32_e32 v3, 0xff, v3
	v_cmp_ne_u32_e32 vcc_lo, 0, v3
	s_and_b32 s12, vcc_lo, exec_lo
	s_delay_alu instid0(SALU_CYCLE_1)
	s_or_b32 s6, s6, s12
	s_or_b32 exec_lo, exec_lo, s7
	v_mov_b32_e32 v7, s11
	s_and_saveexec_b32 s7, s6
	s_cbranch_execnz .LBB20_1851
	s_branch .LBB20_1852
.LBB20_2150:
	s_trap 2
	s_sendmsg_rtn_b32 s0, sendmsg(MSG_RTN_GET_DOORBELL)
	s_mov_b32 ttmp2, m0
	s_waitcnt lgkmcnt(0)
	s_and_b32 s0, s0, 0x3ff
	s_delay_alu instid0(SALU_CYCLE_1) | instskip(NEXT) | instid1(SALU_CYCLE_1)
	s_bitset1_b32 s0, 10
	s_mov_b32 m0, s0
	s_sendmsg sendmsg(MSG_INTERRUPT)
	s_mov_b32 m0, ttmp2
.LBB20_2151:                            ; =>This Inner Loop Header: Depth=1
	s_sethalt 5
	s_branch .LBB20_2151
.LBB20_2152:
	s_cbranch_execnz .LBB20_2158
; %bb.2153:
	s_or_b32 s8, s8, exec_lo
	s_cbranch_execz .LBB20_1898
	s_branch .LBB20_1899
.LBB20_2154:
	s_or_saveexec_b32 s6, s6
                                        ; implicit-def: $sgpr7
	s_delay_alu instid0(SALU_CYCLE_1)
	s_xor_b32 exec_lo, exec_lo, s6
	s_cbranch_execz .LBB20_1863
.LBB20_2155:
	v_add_f32_e64 v3, 0x42800000, |v2|
	s_and_not1_b32 s3, s3, exec_lo
	s_mov_b32 s7, 0
	s_delay_alu instid0(VALU_DEP_1) | instskip(NEXT) | instid1(VALU_DEP_1)
	v_and_b32_e32 v3, 0xff, v3
	v_cmp_ne_u32_e32 vcc_lo, 0, v3
	s_and_b32 s11, vcc_lo, exec_lo
	s_delay_alu instid0(SALU_CYCLE_1)
	s_or_b32 s3, s3, s11
	s_or_b32 exec_lo, exec_lo, s6
	v_mov_b32_e32 v7, s7
	s_and_saveexec_b32 s6, s3
	s_cbranch_execnz .LBB20_1864
	s_branch .LBB20_1865
.LBB20_2156:
	s_or_saveexec_b32 s7, s7
                                        ; implicit-def: $sgpr11
	s_delay_alu instid0(SALU_CYCLE_1)
	s_xor_b32 exec_lo, exec_lo, s7
	s_cbranch_execz .LBB20_1969
.LBB20_2157:
	v_add_f32_e64 v3, 0x46000000, |v4|
	s_and_not1_b32 s6, s6, exec_lo
	s_mov_b32 s11, 0
	s_delay_alu instid0(VALU_DEP_1) | instskip(NEXT) | instid1(VALU_DEP_1)
	v_and_b32_e32 v3, 0xff, v3
	v_cmp_ne_u32_e32 vcc_lo, 0, v3
	s_and_b32 s12, vcc_lo, exec_lo
	s_delay_alu instid0(SALU_CYCLE_1)
	s_or_b32 s6, s6, s12
	s_or_b32 exec_lo, exec_lo, s7
	v_mov_b32_e32 v5, s11
	s_and_saveexec_b32 s7, s6
	s_cbranch_execnz .LBB20_1970
	s_branch .LBB20_1971
.LBB20_2158:
	s_trap 2
	s_sendmsg_rtn_b32 s0, sendmsg(MSG_RTN_GET_DOORBELL)
	s_mov_b32 ttmp2, m0
	s_waitcnt lgkmcnt(0)
	s_and_b32 s0, s0, 0x3ff
	s_delay_alu instid0(SALU_CYCLE_1) | instskip(NEXT) | instid1(SALU_CYCLE_1)
	s_bitset1_b32 s0, 10
	s_mov_b32 m0, s0
	s_sendmsg sendmsg(MSG_INTERRUPT)
	s_mov_b32 m0, ttmp2
.LBB20_2159:                            ; =>This Inner Loop Header: Depth=1
	s_sethalt 5
	s_branch .LBB20_2159
.LBB20_2160:
	s_cbranch_execnz .LBB20_2166
; %bb.2161:
	s_or_b32 s8, s8, exec_lo
	s_cbranch_execz .LBB20_2017
	s_branch .LBB20_2018
.LBB20_2162:
	s_or_saveexec_b32 s6, s6
                                        ; implicit-def: $sgpr7
	s_delay_alu instid0(SALU_CYCLE_1)
	s_xor_b32 exec_lo, exec_lo, s6
	s_cbranch_execz .LBB20_1982
.LBB20_2163:
	v_add_f32_e64 v3, 0x42800000, |v4|
	s_and_not1_b32 s3, s3, exec_lo
	s_mov_b32 s7, 0
	s_delay_alu instid0(VALU_DEP_1) | instskip(NEXT) | instid1(VALU_DEP_1)
	v_and_b32_e32 v3, 0xff, v3
	v_cmp_ne_u32_e32 vcc_lo, 0, v3
	s_and_b32 s11, vcc_lo, exec_lo
	s_delay_alu instid0(SALU_CYCLE_1)
	s_or_b32 s3, s3, s11
	s_or_b32 exec_lo, exec_lo, s6
	v_mov_b32_e32 v5, s7
	s_and_saveexec_b32 s6, s3
	s_cbranch_execnz .LBB20_1983
	s_branch .LBB20_1984
.LBB20_2164:
	s_or_saveexec_b32 s4, s4
                                        ; implicit-def: $sgpr5
	s_delay_alu instid0(SALU_CYCLE_1)
	s_xor_b32 exec_lo, exec_lo, s4
	s_cbranch_execz .LBB20_2089
.LBB20_2165:
	v_add_f32_e64 v2, 0x46000000, |v6|
	s_and_not1_b32 s3, s3, exec_lo
	s_mov_b32 s5, 0
	s_delay_alu instid0(VALU_DEP_1) | instskip(NEXT) | instid1(VALU_DEP_1)
	v_and_b32_e32 v2, 0xff, v2
	v_cmp_ne_u32_e32 vcc_lo, 0, v2
	s_and_b32 s6, vcc_lo, exec_lo
	s_delay_alu instid0(SALU_CYCLE_1)
	s_or_b32 s3, s3, s6
	s_or_b32 exec_lo, exec_lo, s4
	v_mov_b32_e32 v3, s5
	s_and_saveexec_b32 s4, s3
	s_cbranch_execnz .LBB20_2090
	s_branch .LBB20_2091
.LBB20_2166:
	s_trap 2
	s_sendmsg_rtn_b32 s0, sendmsg(MSG_RTN_GET_DOORBELL)
	s_mov_b32 ttmp2, m0
	s_waitcnt lgkmcnt(0)
	s_and_b32 s0, s0, 0x3ff
	s_delay_alu instid0(SALU_CYCLE_1) | instskip(NEXT) | instid1(SALU_CYCLE_1)
	s_bitset1_b32 s0, 10
	s_mov_b32 m0, s0
	s_sendmsg sendmsg(MSG_INTERRUPT)
	s_mov_b32 m0, ttmp2
.LBB20_2167:                            ; =>This Inner Loop Header: Depth=1
	s_sethalt 5
	s_branch .LBB20_2167
.LBB20_2168:
	s_cbranch_execnz .LBB20_2172
; %bb.2169:
	s_mov_b32 s1, 0
	s_or_b32 s8, s8, exec_lo
	s_branch .LBB20_2135
.LBB20_2170:
	s_or_saveexec_b32 s3, s3
                                        ; implicit-def: $sgpr4
	s_delay_alu instid0(SALU_CYCLE_1)
	s_xor_b32 exec_lo, exec_lo, s3
	s_cbranch_execz .LBB20_2101
.LBB20_2171:
	v_add_f32_e64 v2, 0x42800000, |v6|
	s_and_not1_b32 s2, s2, exec_lo
	s_mov_b32 s4, 0
	s_delay_alu instid0(VALU_DEP_1) | instskip(NEXT) | instid1(VALU_DEP_1)
	v_and_b32_e32 v2, 0xff, v2
	v_cmp_ne_u32_e32 vcc_lo, 0, v2
	s_and_b32 s5, vcc_lo, exec_lo
	s_delay_alu instid0(SALU_CYCLE_1)
	s_or_b32 s2, s2, s5
	s_or_b32 exec_lo, exec_lo, s3
	v_mov_b32_e32 v3, s4
	s_and_saveexec_b32 s3, s2
	s_cbranch_execnz .LBB20_2102
	s_branch .LBB20_2103
.LBB20_2172:
	s_trap 2
	s_sendmsg_rtn_b32 s0, sendmsg(MSG_RTN_GET_DOORBELL)
	s_mov_b32 ttmp2, m0
	s_waitcnt lgkmcnt(0)
	s_and_b32 s0, s0, 0x3ff
	s_delay_alu instid0(SALU_CYCLE_1) | instskip(NEXT) | instid1(SALU_CYCLE_1)
	s_bitset1_b32 s0, 10
	s_mov_b32 m0, s0
	s_sendmsg sendmsg(MSG_INTERRUPT)
	s_mov_b32 m0, ttmp2
.LBB20_2173:                            ; =>This Inner Loop Header: Depth=1
	s_sethalt 5
	s_branch .LBB20_2173
	.section	.rodata,"a",@progbits
	.p2align	6, 0x0
	.amdhsa_kernel _ZN2at6native32elementwise_kernel_manual_unrollILi128ELi4EZNS0_15gpu_kernel_implIZZZNS0_12_GLOBAL__N_137scaled_modified_bessel_k1_kernel_cudaERNS_18TensorIteratorBaseEENKUlvE_clEvENKUlvE0_clEvEUlfE_EEvS5_RKT_EUlibE_EEviT1_
		.amdhsa_group_segment_fixed_size 0
		.amdhsa_private_segment_fixed_size 0
		.amdhsa_kernarg_size 40
		.amdhsa_user_sgpr_count 15
		.amdhsa_user_sgpr_dispatch_ptr 0
		.amdhsa_user_sgpr_queue_ptr 0
		.amdhsa_user_sgpr_kernarg_segment_ptr 1
		.amdhsa_user_sgpr_dispatch_id 0
		.amdhsa_user_sgpr_private_segment_size 0
		.amdhsa_wavefront_size32 1
		.amdhsa_uses_dynamic_stack 0
		.amdhsa_enable_private_segment 0
		.amdhsa_system_sgpr_workgroup_id_x 1
		.amdhsa_system_sgpr_workgroup_id_y 0
		.amdhsa_system_sgpr_workgroup_id_z 0
		.amdhsa_system_sgpr_workgroup_info 0
		.amdhsa_system_vgpr_workitem_id 0
		.amdhsa_next_free_vgpr 19
		.amdhsa_next_free_sgpr 24
		.amdhsa_reserve_vcc 1
		.amdhsa_float_round_mode_32 0
		.amdhsa_float_round_mode_16_64 0
		.amdhsa_float_denorm_mode_32 3
		.amdhsa_float_denorm_mode_16_64 3
		.amdhsa_dx10_clamp 1
		.amdhsa_ieee_mode 1
		.amdhsa_fp16_overflow 0
		.amdhsa_workgroup_processor_mode 1
		.amdhsa_memory_ordered 1
		.amdhsa_forward_progress 0
		.amdhsa_shared_vgpr_count 0
		.amdhsa_exception_fp_ieee_invalid_op 0
		.amdhsa_exception_fp_denorm_src 0
		.amdhsa_exception_fp_ieee_div_zero 0
		.amdhsa_exception_fp_ieee_overflow 0
		.amdhsa_exception_fp_ieee_underflow 0
		.amdhsa_exception_fp_ieee_inexact 0
		.amdhsa_exception_int_div_zero 0
	.end_amdhsa_kernel
	.section	.text._ZN2at6native32elementwise_kernel_manual_unrollILi128ELi4EZNS0_15gpu_kernel_implIZZZNS0_12_GLOBAL__N_137scaled_modified_bessel_k1_kernel_cudaERNS_18TensorIteratorBaseEENKUlvE_clEvENKUlvE0_clEvEUlfE_EEvS5_RKT_EUlibE_EEviT1_,"axG",@progbits,_ZN2at6native32elementwise_kernel_manual_unrollILi128ELi4EZNS0_15gpu_kernel_implIZZZNS0_12_GLOBAL__N_137scaled_modified_bessel_k1_kernel_cudaERNS_18TensorIteratorBaseEENKUlvE_clEvENKUlvE0_clEvEUlfE_EEvS5_RKT_EUlibE_EEviT1_,comdat
.Lfunc_end20:
	.size	_ZN2at6native32elementwise_kernel_manual_unrollILi128ELi4EZNS0_15gpu_kernel_implIZZZNS0_12_GLOBAL__N_137scaled_modified_bessel_k1_kernel_cudaERNS_18TensorIteratorBaseEENKUlvE_clEvENKUlvE0_clEvEUlfE_EEvS5_RKT_EUlibE_EEviT1_, .Lfunc_end20-_ZN2at6native32elementwise_kernel_manual_unrollILi128ELi4EZNS0_15gpu_kernel_implIZZZNS0_12_GLOBAL__N_137scaled_modified_bessel_k1_kernel_cudaERNS_18TensorIteratorBaseEENKUlvE_clEvENKUlvE0_clEvEUlfE_EEvS5_RKT_EUlibE_EEviT1_
                                        ; -- End function
	.section	.AMDGPU.csdata,"",@progbits
; Kernel info:
; codeLenInByte = 59428
; NumSgprs: 26
; NumVgprs: 19
; ScratchSize: 0
; MemoryBound: 1
; FloatMode: 240
; IeeeMode: 1
; LDSByteSize: 0 bytes/workgroup (compile time only)
; SGPRBlocks: 3
; VGPRBlocks: 2
; NumSGPRsForWavesPerEU: 26
; NumVGPRsForWavesPerEU: 19
; Occupancy: 16
; WaveLimiterHint : 0
; COMPUTE_PGM_RSRC2:SCRATCH_EN: 0
; COMPUTE_PGM_RSRC2:USER_SGPR: 15
; COMPUTE_PGM_RSRC2:TRAP_HANDLER: 0
; COMPUTE_PGM_RSRC2:TGID_X_EN: 1
; COMPUTE_PGM_RSRC2:TGID_Y_EN: 0
; COMPUTE_PGM_RSRC2:TGID_Z_EN: 0
; COMPUTE_PGM_RSRC2:TIDIG_COMP_CNT: 0
	.section	.text._ZN2at6native32elementwise_kernel_manual_unrollILi128ELi4EZNS0_15gpu_kernel_implIZZZNS0_12_GLOBAL__N_137scaled_modified_bessel_k1_kernel_cudaERNS_18TensorIteratorBaseEENKUlvE_clEvENKUlvE0_clEvEUlfE_EEvS5_RKT_EUlibE0_EEviT1_,"axG",@progbits,_ZN2at6native32elementwise_kernel_manual_unrollILi128ELi4EZNS0_15gpu_kernel_implIZZZNS0_12_GLOBAL__N_137scaled_modified_bessel_k1_kernel_cudaERNS_18TensorIteratorBaseEENKUlvE_clEvENKUlvE0_clEvEUlfE_EEvS5_RKT_EUlibE0_EEviT1_,comdat
	.globl	_ZN2at6native32elementwise_kernel_manual_unrollILi128ELi4EZNS0_15gpu_kernel_implIZZZNS0_12_GLOBAL__N_137scaled_modified_bessel_k1_kernel_cudaERNS_18TensorIteratorBaseEENKUlvE_clEvENKUlvE0_clEvEUlfE_EEvS5_RKT_EUlibE0_EEviT1_ ; -- Begin function _ZN2at6native32elementwise_kernel_manual_unrollILi128ELi4EZNS0_15gpu_kernel_implIZZZNS0_12_GLOBAL__N_137scaled_modified_bessel_k1_kernel_cudaERNS_18TensorIteratorBaseEENKUlvE_clEvENKUlvE0_clEvEUlfE_EEvS5_RKT_EUlibE0_EEviT1_
	.p2align	8
	.type	_ZN2at6native32elementwise_kernel_manual_unrollILi128ELi4EZNS0_15gpu_kernel_implIZZZNS0_12_GLOBAL__N_137scaled_modified_bessel_k1_kernel_cudaERNS_18TensorIteratorBaseEENKUlvE_clEvENKUlvE0_clEvEUlfE_EEvS5_RKT_EUlibE0_EEviT1_,@function
_ZN2at6native32elementwise_kernel_manual_unrollILi128ELi4EZNS0_15gpu_kernel_implIZZZNS0_12_GLOBAL__N_137scaled_modified_bessel_k1_kernel_cudaERNS_18TensorIteratorBaseEENKUlvE_clEvENKUlvE0_clEvEUlfE_EEvS5_RKT_EUlibE0_EEviT1_: ; @_ZN2at6native32elementwise_kernel_manual_unrollILi128ELi4EZNS0_15gpu_kernel_implIZZZNS0_12_GLOBAL__N_137scaled_modified_bessel_k1_kernel_cudaERNS_18TensorIteratorBaseEENKUlvE_clEvENKUlvE0_clEvEUlfE_EEvS5_RKT_EUlibE0_EEviT1_
; %bb.0:
	s_clause 0x1
	s_load_b32 s24, s[0:1], 0x8
	s_load_b32 s30, s[0:1], 0x0
	v_lshl_or_b32 v7, s15, 9, v0
	s_or_b32 s16, s0, 8
	s_mov_b32 s3, -1
	s_mov_b32 s26, 0
	s_mov_b32 s17, s1
	v_or_b32_e32 v8, 0x180, v7
	s_mov_b32 s8, 0
	s_mov_b32 s2, exec_lo
	s_waitcnt lgkmcnt(0)
	s_add_i32 s25, s24, -1
	s_delay_alu instid0(SALU_CYCLE_1)
	s_cmp_gt_u32 s25, 1
	s_cselect_b32 s27, -1, 0
	v_cmpx_le_i32_e64 s30, v8
	s_xor_b32 s28, exec_lo, s2
	s_cbranch_execz .LBB21_1124
; %bb.1:
	v_mov_b32_e32 v0, 0
	s_clause 0x3
	s_load_b128 s[12:15], s[16:17], 0x4
	s_load_b64 s[18:19], s[16:17], 0x14
	s_load_b128 s[8:11], s[16:17], 0xc4
	s_load_b128 s[4:7], s[16:17], 0x148
	s_cmp_lg_u32 s24, 0
	s_mov_b32 s37, 0
	s_cselect_b32 s33, -1, 0
	global_load_u16 v5, v0, s[16:17] offset:345
	s_add_u32 s20, s16, 0xc4
	s_addc_u32 s21, s17, 0
	s_min_u32 s31, s25, 15
	s_cmp_gt_u32 s24, 1
	s_mov_b32 s35, 0
	s_cselect_b32 s29, -1, 0
	s_mov_b32 s34, 0
	s_mov_b32 s36, exec_lo
	s_waitcnt vmcnt(0)
	v_lshrrev_b16 v6, 8, v5
	v_cmpx_gt_i32_e64 s30, v7
	s_cbranch_execz .LBB21_275
; %bb.2:
	s_and_not1_b32 vcc_lo, exec_lo, s27
	s_cbranch_vccnz .LBB21_7
; %bb.3:
	v_dual_mov_b32 v0, 0 :: v_dual_mov_b32 v1, 0
	s_and_not1_b32 vcc_lo, exec_lo, s33
	s_cbranch_vccnz .LBB21_12
; %bb.4:
	v_mov_b32_e32 v0, 0
	s_add_i32 s38, s31, 1
	s_cmp_eq_u32 s25, 2
	s_cbranch_scc1 .LBB21_8
; %bb.5:
	v_dual_mov_b32 v1, 0 :: v_dual_mov_b32 v0, 0
	v_mov_b32_e32 v2, v7
	s_and_b32 s35, s38, 28
	s_mov_b32 s39, 0
	s_mov_b64 s[2:3], s[20:21]
	s_mov_b64 s[22:23], s[16:17]
.LBB21_6:                               ; =>This Inner Loop Header: Depth=1
	s_clause 0x1
	s_load_b256 s[40:47], s[22:23], 0x4
	s_load_b128 s[56:59], s[22:23], 0x24
	s_load_b256 s[48:55], s[2:3], 0x0
	s_add_u32 s22, s22, 48
	s_addc_u32 s23, s23, 0
	s_add_i32 s39, s39, 4
	s_add_u32 s2, s2, 32
	s_addc_u32 s3, s3, 0
	s_cmp_lg_u32 s35, s39
	s_waitcnt lgkmcnt(0)
	v_mul_hi_u32 v3, s41, v2
	s_delay_alu instid0(VALU_DEP_1) | instskip(NEXT) | instid1(VALU_DEP_1)
	v_add_nc_u32_e32 v3, v2, v3
	v_lshrrev_b32_e32 v3, s42, v3
	s_delay_alu instid0(VALU_DEP_1) | instskip(SKIP_1) | instid1(VALU_DEP_2)
	v_mul_hi_u32 v4, s44, v3
	v_mul_lo_u32 v9, v3, s40
	v_add_nc_u32_e32 v4, v3, v4
	s_delay_alu instid0(VALU_DEP_2) | instskip(NEXT) | instid1(VALU_DEP_2)
	v_sub_nc_u32_e32 v2, v2, v9
	v_lshrrev_b32_e32 v4, s45, v4
	s_delay_alu instid0(VALU_DEP_2) | instskip(SKIP_1) | instid1(VALU_DEP_3)
	v_mul_lo_u32 v9, v2, s48
	v_mul_lo_u32 v11, v2, s49
	v_mul_hi_u32 v8, s47, v4
	s_delay_alu instid0(VALU_DEP_1) | instskip(NEXT) | instid1(VALU_DEP_1)
	v_add_nc_u32_e32 v8, v4, v8
	v_lshrrev_b32_e32 v8, s56, v8
	s_delay_alu instid0(VALU_DEP_1) | instskip(SKIP_1) | instid1(VALU_DEP_2)
	v_mul_hi_u32 v10, s58, v8
	v_mul_lo_u32 v12, v8, s46
	v_add_nc_u32_e32 v2, v8, v10
	v_mul_lo_u32 v10, v4, s43
	s_delay_alu instid0(VALU_DEP_3) | instskip(NEXT) | instid1(VALU_DEP_3)
	v_sub_nc_u32_e32 v4, v4, v12
	v_lshrrev_b32_e32 v2, s59, v2
	s_delay_alu instid0(VALU_DEP_2) | instskip(SKIP_2) | instid1(VALU_DEP_4)
	v_mul_lo_u32 v12, v4, s52
	v_mul_lo_u32 v4, v4, s53
	v_sub_nc_u32_e32 v3, v3, v10
	v_mul_lo_u32 v13, v2, s57
	s_delay_alu instid0(VALU_DEP_2) | instskip(SKIP_1) | instid1(VALU_DEP_3)
	v_mul_lo_u32 v10, v3, s50
	v_mul_lo_u32 v3, v3, s51
	v_sub_nc_u32_e32 v8, v8, v13
	s_delay_alu instid0(VALU_DEP_3) | instskip(NEXT) | instid1(VALU_DEP_2)
	v_add3_u32 v0, v9, v0, v10
	v_mul_lo_u32 v13, v8, s54
	v_mul_lo_u32 v8, v8, s55
	v_add3_u32 v1, v11, v1, v3
	s_delay_alu instid0(VALU_DEP_3) | instskip(NEXT) | instid1(VALU_DEP_2)
	v_add3_u32 v0, v12, v0, v13
	v_add3_u32 v1, v4, v1, v8
	s_cbranch_scc1 .LBB21_6
	s_branch .LBB21_9
.LBB21_7:
	s_mov_b32 s34, -1
                                        ; implicit-def: $vgpr0
                                        ; implicit-def: $vgpr1
	s_branch .LBB21_12
.LBB21_8:
	v_dual_mov_b32 v2, v7 :: v_dual_mov_b32 v1, 0
.LBB21_9:
	s_and_b32 s38, s38, 3
	s_delay_alu instid0(SALU_CYCLE_1)
	s_cmp_eq_u32 s38, 0
	s_cbranch_scc1 .LBB21_12
; %bb.10:
	s_lshl_b32 s2, s35, 3
	s_mul_i32 s22, s35, 12
	s_add_u32 s2, s2, s16
	s_addc_u32 s3, s17, 0
	s_add_u32 s2, s2, 0xc4
	s_addc_u32 s3, s3, 0
	;; [unrolled: 2-line block ×3, first 2 shown]
	.p2align	6
.LBB21_11:                              ; =>This Inner Loop Header: Depth=1
	s_clause 0x1
	s_load_b64 s[40:41], s[22:23], 0x4
	s_load_b32 s35, s[22:23], 0xc
	s_load_b64 s[42:43], s[2:3], 0x0
	s_add_u32 s22, s22, 12
	s_addc_u32 s23, s23, 0
	s_add_u32 s2, s2, 8
	s_addc_u32 s3, s3, 0
	s_add_i32 s38, s38, -1
	s_delay_alu instid0(SALU_CYCLE_1) | instskip(SKIP_2) | instid1(VALU_DEP_1)
	s_cmp_lg_u32 s38, 0
	s_waitcnt lgkmcnt(0)
	v_mul_hi_u32 v3, s41, v2
	v_add_nc_u32_e32 v3, v2, v3
	s_delay_alu instid0(VALU_DEP_1) | instskip(NEXT) | instid1(VALU_DEP_1)
	v_lshrrev_b32_e32 v10, s35, v3
	v_mul_lo_u32 v3, v10, s40
	s_delay_alu instid0(VALU_DEP_1) | instskip(NEXT) | instid1(VALU_DEP_1)
	v_sub_nc_u32_e32 v2, v2, v3
	v_mad_u64_u32 v[3:4], null, v2, s42, v[0:1]
	v_mad_u64_u32 v[8:9], null, v2, s43, v[1:2]
	v_mov_b32_e32 v2, v10
	s_delay_alu instid0(VALU_DEP_2)
	v_dual_mov_b32 v0, v3 :: v_dual_mov_b32 v1, v8
	s_cbranch_scc1 .LBB21_11
.LBB21_12:
	s_and_not1_b32 vcc_lo, exec_lo, s34
	s_cbranch_vccnz .LBB21_15
; %bb.13:
	s_waitcnt lgkmcnt(0)
	v_mul_hi_u32 v0, s13, v7
	s_and_not1_b32 vcc_lo, exec_lo, s29
	s_delay_alu instid0(VALU_DEP_1) | instskip(NEXT) | instid1(VALU_DEP_1)
	v_add_nc_u32_e32 v0, v7, v0
	v_lshrrev_b32_e32 v2, s14, v0
	s_delay_alu instid0(VALU_DEP_1) | instskip(NEXT) | instid1(VALU_DEP_1)
	v_mul_lo_u32 v0, v2, s12
	v_sub_nc_u32_e32 v1, v7, v0
	s_delay_alu instid0(VALU_DEP_1)
	v_mul_lo_u32 v0, v1, s8
	v_mul_lo_u32 v1, v1, s9
	s_cbranch_vccnz .LBB21_15
; %bb.14:
	v_mul_hi_u32 v3, s18, v2
	s_delay_alu instid0(VALU_DEP_1) | instskip(NEXT) | instid1(VALU_DEP_1)
	v_add_nc_u32_e32 v3, v2, v3
	v_lshrrev_b32_e32 v3, s19, v3
	s_delay_alu instid0(VALU_DEP_1) | instskip(NEXT) | instid1(VALU_DEP_1)
	v_mul_lo_u32 v3, v3, s15
	v_sub_nc_u32_e32 v8, v2, v3
	s_delay_alu instid0(VALU_DEP_1) | instskip(NEXT) | instid1(VALU_DEP_1)
	v_mad_u64_u32 v[2:3], null, v8, s10, v[0:1]
	v_mad_u64_u32 v[3:4], null, v8, s11, v[1:2]
	s_delay_alu instid0(VALU_DEP_1)
	v_dual_mov_b32 v0, v2 :: v_dual_mov_b32 v1, v3
.LBB21_15:
	v_cmp_gt_i16_e32 vcc_lo, 11, v6
	s_waitcnt lgkmcnt(0)
	s_delay_alu instid0(VALU_DEP_2) | instskip(NEXT) | instid1(VALU_DEP_1)
	v_add_co_u32 v1, s2, s6, v1
	v_add_co_ci_u32_e64 v2, null, s7, 0, s2
	s_mov_b32 s22, 0
	s_cbranch_vccnz .LBB21_22
; %bb.16:
	v_cmp_lt_i16_e32 vcc_lo, 25, v6
	s_cbranch_vccz .LBB21_153
; %bb.17:
	v_cmp_lt_i16_e32 vcc_lo, 28, v6
	s_cbranch_vccz .LBB21_154
	;; [unrolled: 3-line block ×4, first 2 shown]
; %bb.20:
	v_cmp_eq_u16_e32 vcc_lo, 46, v6
	s_mov_b32 s3, 0
	s_cbranch_vccz .LBB21_157
; %bb.21:
	global_load_b32 v3, v[1:2], off
	s_mov_b32 s2, -1
	s_waitcnt vmcnt(0)
	v_lshlrev_b32_e32 v3, 16, v3
	s_branch .LBB21_159
.LBB21_22:
	s_mov_b32 s2, 0
                                        ; implicit-def: $vgpr3
	s_cbranch_execnz .LBB21_225
.LBB21_23:
	s_and_not1_b32 vcc_lo, exec_lo, s2
	s_cbranch_vccnz .LBB21_272
.LBB21_24:
	v_mov_b32_e32 v1, 0x7f800000
	s_mov_b32 s23, exec_lo
	s_waitcnt vmcnt(0)
	s_delay_alu instid0(VALU_DEP_2)
	v_cmpx_neq_f32_e32 0, v3
	s_cbranch_execz .LBB21_36
; %bb.25:
	v_mov_b32_e32 v1, 0x7fc00000
	s_mov_b32 s34, exec_lo
	v_cmpx_ngt_f32_e32 0, v3
	s_cbranch_execz .LBB21_35
; %bb.26:
                                        ; implicit-def: $vgpr1
	s_mov_b32 s2, exec_lo
	v_cmpx_ge_f32_e32 2.0, v3
	s_xor_b32 s35, exec_lo, s2
	s_cbranch_execz .LBB21_32
; %bb.27:
	v_mul_f32_e32 v1, 0.5, v3
	v_mul_f32_e32 v2, 0x3fb8aa3b, v3
	s_mov_b32 s2, exec_lo
                                        ; implicit-def: $vgpr8
                                        ; implicit-def: $vgpr4
	v_cmpx_ge_f32_e32 0x41000000, v3
	s_xor_b32 s2, exec_lo, s2
	s_cbranch_execz .LBB21_29
; %bb.28:
	v_fma_f32 v11, 0x3fb8aa3b, v3, -v2
	v_add_f32_e32 v4, -2.0, v1
	s_mov_b32 s3, 0x224cf950
	v_rndne_f32_e32 v10, v2
	v_cmp_ngt_f32_e32 vcc_lo, 0xc2ce8ed0, v3
	v_fmamk_f32 v11, v3, 0x32a5705f, v11
	v_fmaak_f32 v8, s3, v4, 0xa3c2be86
	s_delay_alu instid0(VALU_DEP_1) | instskip(NEXT) | instid1(VALU_DEP_1)
	v_dual_sub_f32 v2, v2, v10 :: v_dual_fmaak_f32 v9, v4, v8, 0xa24cf950
	v_dual_add_f32 v2, v2, v11 :: v_dual_add_f32 v9, 0x25331f1f, v9
	s_delay_alu instid0(VALU_DEP_1) | instskip(NEXT) | instid1(VALU_DEP_1)
	v_exp_f32_e32 v2, v2
	v_fma_f32 v8, v4, v9, -v8
	s_delay_alu instid0(VALU_DEP_1) | instskip(NEXT) | instid1(VALU_DEP_1)
	v_add_f32_e32 v8, 0xa69f5554, v8
	v_fma_f32 v9, v4, v8, -v9
	s_delay_alu instid0(VALU_DEP_1) | instskip(NEXT) | instid1(VALU_DEP_1)
	v_add_f32_e32 v9, 0x2808ebf8, v9
	;; [unrolled: 3-line block ×25, first 2 shown]
	v_fma_f32 v4, v4, v8, -v9
	v_cvt_i32_f32_e32 v8, v10
	s_delay_alu instid0(VALU_DEP_2) | instskip(NEXT) | instid1(VALU_DEP_2)
	v_add_f32_e32 v4, 0x3e81531c, v4
	v_ldexp_f32 v2, v2, v8
	s_delay_alu instid0(VALU_DEP_2) | instskip(NEXT) | instid1(VALU_DEP_2)
	v_sub_f32_e32 v4, v4, v9
	v_cndmask_b32_e32 v2, 0, v2, vcc_lo
	v_cmp_nlt_f32_e32 vcc_lo, 0x42b17218, v3
	s_delay_alu instid0(VALU_DEP_3) | instskip(NEXT) | instid1(VALU_DEP_1)
	v_mul_f32_e32 v4, 0.5, v4
	v_mul_f32_e32 v8, v3, v4
	s_delay_alu instid0(VALU_DEP_4) | instskip(NEXT) | instid1(VALU_DEP_1)
	v_cndmask_b32_e32 v4, 0x7f800000, v2, vcc_lo
                                        ; implicit-def: $vgpr2
	v_mul_f32_e32 v8, v4, v8
.LBB21_29:
	s_and_not1_saveexec_b32 s3, s2
	s_cbranch_execz .LBB21_31
; %bb.30:
	v_div_scale_f32 v4, null, v3, v3, 0x42000000
	v_div_scale_f32 v10, vcc_lo, 0x42000000, v3, 0x42000000
	v_fma_f32 v12, 0x3fb8aa3b, v3, -v2
	s_delay_alu instid0(VALU_DEP_3) | instskip(SKIP_1) | instid1(VALU_DEP_1)
	v_rcp_f32_e32 v8, v4
	s_mov_b32 s2, 0x230aab6e
	v_fmamk_f32 v12, v3, 0x32a5705f, v12
	s_waitcnt_depctr 0xfff
	v_fma_f32 v9, -v4, v8, 1.0
	s_delay_alu instid0(VALU_DEP_1) | instskip(NEXT) | instid1(VALU_DEP_1)
	v_fmac_f32_e32 v8, v9, v8
	v_mul_f32_e32 v9, v10, v8
	s_delay_alu instid0(VALU_DEP_1) | instskip(NEXT) | instid1(VALU_DEP_1)
	v_fma_f32 v11, -v4, v9, v10
	v_fmac_f32_e32 v9, v11, v8
	v_rndne_f32_e32 v11, v2
	s_delay_alu instid0(VALU_DEP_1) | instskip(NEXT) | instid1(VALU_DEP_3)
	v_sub_f32_e32 v2, v2, v11
	v_fma_f32 v4, -v4, v9, v10
	v_mul_f32_e32 v10, 0x4f800000, v3
	v_cvt_i32_f32_e32 v11, v11
	s_delay_alu instid0(VALU_DEP_4) | instskip(NEXT) | instid1(VALU_DEP_4)
	v_add_f32_e32 v2, v2, v12
	v_div_fmas_f32 v4, v4, v8, v9
	v_cmp_gt_f32_e32 vcc_lo, 0xf800000, v3
	s_delay_alu instid0(VALU_DEP_3) | instskip(NEXT) | instid1(VALU_DEP_2)
	v_exp_f32_e32 v2, v2
	v_div_fixup_f32 v4, v4, v3, 0x42000000
	v_cndmask_b32_e32 v10, v3, v10, vcc_lo
	s_delay_alu instid0(VALU_DEP_2) | instskip(NEXT) | instid1(VALU_DEP_2)
	v_add_f32_e32 v4, -2.0, v4
	v_sqrt_f32_e32 v13, v10
	s_waitcnt_depctr 0xfff
	v_ldexp_f32 v2, v2, v11
	v_fmaak_f32 v8, s2, v4, 0x22a2dc57
	s_delay_alu instid0(VALU_DEP_1) | instskip(SKIP_1) | instid1(VALU_DEP_2)
	v_dual_fmaak_f32 v9, v4, v8, 0xa30aab6e :: v_dual_add_nc_u32 v12, -1, v13
	v_add_nc_u32_e32 v14, 1, v13
	v_add_f32_e32 v9, 0xa456751e, v9
	s_delay_alu instid0(VALU_DEP_3) | instskip(NEXT) | instid1(VALU_DEP_3)
	v_fma_f32 v15, -v12, v13, v10
	v_fma_f32 v16, -v14, v13, v10
	s_delay_alu instid0(VALU_DEP_3) | instskip(NEXT) | instid1(VALU_DEP_3)
	v_fma_f32 v8, v4, v9, -v8
	v_cmp_ge_f32_e64 s2, 0, v15
	s_delay_alu instid0(VALU_DEP_2) | instskip(NEXT) | instid1(VALU_DEP_2)
	v_add_f32_e32 v8, 0xa4140365, v8
	v_cndmask_b32_e64 v12, v13, v12, s2
	v_cmp_lt_f32_e64 s2, 0, v16
	s_delay_alu instid0(VALU_DEP_3) | instskip(NEXT) | instid1(VALU_DEP_1)
	v_fma_f32 v9, v4, v8, -v9
	v_add_f32_e32 v9, 0x25aac8b0, v9
	s_delay_alu instid0(VALU_DEP_1) | instskip(NEXT) | instid1(VALU_DEP_1)
	v_fma_f32 v8, v4, v9, -v8
	v_add_f32_e32 v8, 0x25beb473, v8
	s_delay_alu instid0(VALU_DEP_1) | instskip(NEXT) | instid1(VALU_DEP_1)
	;; [unrolled: 3-line block ×19, first 2 shown]
	v_fma_f32 v8, v4, v9, -v8
	v_add_f32_e32 v8, 0xbc1fed03, v8
	s_delay_alu instid0(VALU_DEP_1) | instskip(SKIP_2) | instid1(VALU_DEP_3)
	v_fma_f32 v4, v4, v8, -v9
	v_cndmask_b32_e64 v8, v12, v14, s2
	v_cmp_ngt_f32_e64 s2, 0xc2ce8ed0, v3
	v_add_f32_e32 v4, 0x3f4750c6, v4
	s_delay_alu instid0(VALU_DEP_3) | instskip(NEXT) | instid1(VALU_DEP_3)
	v_mul_f32_e32 v11, 0x37800000, v8
	v_cndmask_b32_e64 v2, 0, v2, s2
	v_cmp_nlt_f32_e64 s2, 0x42b17218, v3
	s_delay_alu instid0(VALU_DEP_4) | instskip(NEXT) | instid1(VALU_DEP_2)
	v_sub_f32_e32 v9, v4, v9
	v_cndmask_b32_e64 v4, 0x7f800000, v2, s2
	v_cndmask_b32_e32 v2, v8, v11, vcc_lo
	s_delay_alu instid0(VALU_DEP_3) | instskip(SKIP_1) | instid1(VALU_DEP_2)
	v_mul_f32_e32 v8, 0.5, v9
	v_cmp_class_f32_e64 vcc_lo, v10, 0x260
	v_mul_f32_e32 v8, v4, v8
	s_delay_alu instid0(VALU_DEP_4) | instskip(NEXT) | instid1(VALU_DEP_1)
	v_cndmask_b32_e32 v2, v2, v10, vcc_lo
	v_div_scale_f32 v9, null, v2, v2, v8
	s_delay_alu instid0(VALU_DEP_1) | instskip(SKIP_2) | instid1(VALU_DEP_1)
	v_rcp_f32_e32 v10, v9
	s_waitcnt_depctr 0xfff
	v_fma_f32 v11, -v9, v10, 1.0
	v_fmac_f32_e32 v10, v11, v10
	v_div_scale_f32 v11, vcc_lo, v8, v2, v8
	s_delay_alu instid0(VALU_DEP_1) | instskip(NEXT) | instid1(VALU_DEP_1)
	v_mul_f32_e32 v12, v11, v10
	v_fma_f32 v13, -v9, v12, v11
	s_delay_alu instid0(VALU_DEP_1) | instskip(NEXT) | instid1(VALU_DEP_1)
	v_fmac_f32_e32 v12, v13, v10
	v_fma_f32 v9, -v9, v12, v11
	s_delay_alu instid0(VALU_DEP_1) | instskip(NEXT) | instid1(VALU_DEP_1)
	v_div_fmas_f32 v9, v9, v10, v12
	v_div_fixup_f32 v8, v9, v2, v8
.LBB21_31:
	s_or_b32 exec_lo, exec_lo, s3
	v_fma_f32 v2, v3, v3, -2.0
	s_mov_b32 s2, 0xa3019142
	v_cmp_gt_f32_e32 vcc_lo, 0x800000, v1
	s_delay_alu instid0(VALU_DEP_2) | instskip(NEXT) | instid1(VALU_DEP_1)
	v_fmaak_f32 v9, s2, v2, 0xa72eea8c
	v_fmaak_f32 v10, v2, v9, 0x23019142
	s_delay_alu instid0(VALU_DEP_1) | instskip(NEXT) | instid1(VALU_DEP_1)
	v_add_f32_e32 v10, 0xab3ba817, v10
	v_fma_f32 v9, v2, v10, -v9
	s_delay_alu instid0(VALU_DEP_1) | instskip(NEXT) | instid1(VALU_DEP_1)
	v_add_f32_e32 v9, 0xaf1b31de, v9
	v_fma_f32 v10, v2, v9, -v10
	;; [unrolled: 3-line block ×8, first 2 shown]
	s_delay_alu instid0(VALU_DEP_1) | instskip(NEXT) | instid1(VALU_DEP_1)
	v_add_f32_e32 v2, 0x3fc33d0a, v2
	v_sub_f32_e32 v2, v2, v10
	v_cndmask_b32_e64 v10, 1.0, 0x4f800000, vcc_lo
	s_delay_alu instid0(VALU_DEP_2) | instskip(NEXT) | instid1(VALU_DEP_2)
	v_mul_f32_e32 v2, 0.5, v2
	v_mul_f32_e32 v1, v1, v10
	s_delay_alu instid0(VALU_DEP_2) | instskip(NEXT) | instid1(VALU_DEP_2)
	v_div_scale_f32 v9, null, v3, v3, v2
	v_log_f32_e32 v1, v1
	v_div_scale_f32 v12, s2, v2, v3, v2
	s_delay_alu instid0(VALU_DEP_2) | instskip(SKIP_3) | instid1(VALU_DEP_1)
	v_rcp_f32_e32 v11, v9
	s_waitcnt_depctr 0xfff
	v_cmp_gt_f32_e64 s3, 0x7f800000, |v1|
	v_fma_f32 v10, -v9, v11, 1.0
	v_dual_fmac_f32 v11, v10, v11 :: v_dual_mul_f32 v10, 0x3f317217, v1
	s_delay_alu instid0(VALU_DEP_1) | instskip(NEXT) | instid1(VALU_DEP_2)
	v_mul_f32_e32 v13, v12, v11
	v_fma_f32 v14, 0x3f317217, v1, -v10
	s_delay_alu instid0(VALU_DEP_2) | instskip(NEXT) | instid1(VALU_DEP_1)
	v_fma_f32 v15, -v9, v13, v12
	v_dual_fmamk_f32 v14, v1, 0x3377d1cf, v14 :: v_dual_fmac_f32 v13, v15, v11
	s_delay_alu instid0(VALU_DEP_1) | instskip(NEXT) | instid1(VALU_DEP_2)
	v_add_f32_e32 v10, v10, v14
	v_fma_f32 v9, -v9, v13, v12
	s_delay_alu instid0(VALU_DEP_2) | instskip(SKIP_2) | instid1(VALU_DEP_3)
	v_cndmask_b32_e64 v1, v1, v10, s3
	v_cndmask_b32_e64 v10, 0, 0x41b17218, vcc_lo
	s_mov_b32 vcc_lo, s2
	v_div_fmas_f32 v9, v9, v11, v13
	s_delay_alu instid0(VALU_DEP_2) | instskip(NEXT) | instid1(VALU_DEP_2)
	v_sub_f32_e32 v1, v1, v10
	v_div_fixup_f32 v2, v9, v3, v2
                                        ; implicit-def: $vgpr3
	s_delay_alu instid0(VALU_DEP_1) | instskip(NEXT) | instid1(VALU_DEP_1)
	v_fmac_f32_e32 v2, v1, v8
	v_mul_f32_e32 v1, v4, v2
.LBB21_32:
	s_and_not1_saveexec_b32 s3, s35
	s_cbranch_execz .LBB21_34
; %bb.33:
	v_div_scale_f32 v1, null, v3, v3, 0x41000000
	v_div_scale_f32 v8, vcc_lo, 0x41000000, v3, 0x41000000
	s_mov_b32 s2, 0xa2d462ea
	s_delay_alu instid0(VALU_DEP_2) | instskip(SKIP_2) | instid1(VALU_DEP_1)
	v_rcp_f32_e32 v2, v1
	s_waitcnt_depctr 0xfff
	v_fma_f32 v4, -v1, v2, 1.0
	v_fmac_f32_e32 v2, v4, v2
	s_delay_alu instid0(VALU_DEP_1) | instskip(NEXT) | instid1(VALU_DEP_1)
	v_mul_f32_e32 v4, v8, v2
	v_fma_f32 v9, -v1, v4, v8
	s_delay_alu instid0(VALU_DEP_1) | instskip(NEXT) | instid1(VALU_DEP_1)
	v_fmac_f32_e32 v4, v9, v2
	v_fma_f32 v1, -v1, v4, v8
	v_mul_f32_e32 v8, 0x4f800000, v3
	s_delay_alu instid0(VALU_DEP_2) | instskip(SKIP_1) | instid1(VALU_DEP_2)
	v_div_fmas_f32 v1, v1, v2, v4
	v_cmp_gt_f32_e32 vcc_lo, 0xf800000, v3
	v_div_fixup_f32 v1, v1, v3, 0x41000000
	s_delay_alu instid0(VALU_DEP_4) | instskip(NEXT) | instid1(VALU_DEP_2)
	v_cndmask_b32_e32 v3, v3, v8, vcc_lo
	v_add_f32_e32 v1, -2.0, v1
	s_delay_alu instid0(VALU_DEP_2) | instskip(NEXT) | instid1(VALU_DEP_1)
	v_sqrt_f32_e32 v8, v3
	v_fmaak_f32 v2, s2, v1, 0x23a578d4
	s_waitcnt_depctr 0xfff
	v_dual_fmaak_f32 v4, v1, v2, 0x22d462ea :: v_dual_add_nc_u32 v9, -1, v8
	s_delay_alu instid0(VALU_DEP_1) | instskip(NEXT) | instid1(VALU_DEP_2)
	v_add_f32_e32 v4, 0xa48330a9, v4
	v_fma_f32 v11, -v9, v8, v3
	s_delay_alu instid0(VALU_DEP_2) | instskip(NEXT) | instid1(VALU_DEP_2)
	v_fma_f32 v2, v1, v4, -v2
	v_cmp_ge_f32_e64 s2, 0, v11
	s_delay_alu instid0(VALU_DEP_2) | instskip(NEXT) | instid1(VALU_DEP_1)
	v_add_f32_e32 v2, 0x2553eaf2, v2
	v_fma_f32 v4, v1, v2, -v4
	s_delay_alu instid0(VALU_DEP_1) | instskip(NEXT) | instid1(VALU_DEP_1)
	v_add_f32_e32 v4, 0xa62e951f, v4
	v_fma_f32 v2, v1, v4, -v2
	s_delay_alu instid0(VALU_DEP_1) | instskip(NEXT) | instid1(VALU_DEP_1)
	;; [unrolled: 3-line block ×21, first 2 shown]
	v_dual_add_f32 v1, 0x402e1ebd, v1 :: v_dual_add_nc_u32 v10, 1, v8
	v_fma_f32 v12, -v10, v8, v3
	v_cndmask_b32_e64 v8, v8, v9, s2
	s_delay_alu instid0(VALU_DEP_3) | instskip(NEXT) | instid1(VALU_DEP_3)
	v_sub_f32_e32 v1, v1, v4
	v_cmp_lt_f32_e64 s2, 0, v12
	s_delay_alu instid0(VALU_DEP_2) | instskip(NEXT) | instid1(VALU_DEP_2)
	v_mul_f32_e32 v1, 0.5, v1
	v_cndmask_b32_e64 v8, v8, v10, s2
	s_delay_alu instid0(VALU_DEP_1) | instskip(NEXT) | instid1(VALU_DEP_1)
	v_mul_f32_e32 v2, 0x37800000, v8
	v_cndmask_b32_e32 v2, v8, v2, vcc_lo
	v_cmp_class_f32_e64 vcc_lo, v3, 0x260
	s_delay_alu instid0(VALU_DEP_2) | instskip(NEXT) | instid1(VALU_DEP_1)
	v_cndmask_b32_e32 v2, v2, v3, vcc_lo
	v_div_scale_f32 v3, null, v2, v2, v1
	s_delay_alu instid0(VALU_DEP_1) | instskip(SKIP_2) | instid1(VALU_DEP_1)
	v_rcp_f32_e32 v4, v3
	s_waitcnt_depctr 0xfff
	v_fma_f32 v8, -v3, v4, 1.0
	v_fmac_f32_e32 v4, v8, v4
	v_div_scale_f32 v8, vcc_lo, v1, v2, v1
	s_delay_alu instid0(VALU_DEP_1) | instskip(NEXT) | instid1(VALU_DEP_1)
	v_mul_f32_e32 v9, v8, v4
	v_fma_f32 v10, -v3, v9, v8
	s_delay_alu instid0(VALU_DEP_1) | instskip(NEXT) | instid1(VALU_DEP_1)
	v_fmac_f32_e32 v9, v10, v4
	v_fma_f32 v3, -v3, v9, v8
	s_delay_alu instid0(VALU_DEP_1) | instskip(NEXT) | instid1(VALU_DEP_1)
	v_div_fmas_f32 v3, v3, v4, v9
	v_div_fixup_f32 v1, v3, v2, v1
.LBB21_34:
	s_or_b32 exec_lo, exec_lo, s3
.LBB21_35:
	s_delay_alu instid0(SALU_CYCLE_1)
	s_or_b32 exec_lo, exec_lo, s34
.LBB21_36:
	s_delay_alu instid0(SALU_CYCLE_1) | instskip(SKIP_2) | instid1(VALU_DEP_1)
	s_or_b32 exec_lo, exec_lo, s23
	v_and_b32_e32 v8, 0xff, v5
	v_add_co_u32 v3, s3, s4, v0
	v_add_co_ci_u32_e64 v4, null, s5, 0, s3
	s_delay_alu instid0(VALU_DEP_3)
	v_cmp_gt_i16_e32 vcc_lo, 11, v8
	s_mov_b32 s2, 0
	s_mov_b32 s23, -1
	s_mov_b32 s3, 0
	s_cbranch_vccnz .LBB21_113
; %bb.37:
	v_cmp_lt_i16_e32 vcc_lo, 25, v8
	s_cbranch_vccz .LBB21_70
; %bb.38:
	v_cmp_lt_i16_e32 vcc_lo, 28, v8
	s_cbranch_vccz .LBB21_53
	;; [unrolled: 3-line block ×4, first 2 shown]
; %bb.41:
	v_cmp_eq_u16_e32 vcc_lo, 46, v8
	s_mov_b32 s23, 0
	s_mov_b32 s2, -1
	s_cbranch_vccz .LBB21_43
; %bb.42:
	v_bfe_u32 v0, v1, 16, 1
	v_cmp_o_f32_e32 vcc_lo, v1, v1
	s_mov_b32 s3, -1
	s_mov_b32 s2, 0
	s_delay_alu instid0(VALU_DEP_2) | instskip(NEXT) | instid1(VALU_DEP_1)
	v_add3_u32 v0, v1, v0, 0x7fff
	v_lshrrev_b32_e32 v0, 16, v0
	s_delay_alu instid0(VALU_DEP_1)
	v_cndmask_b32_e32 v0, 0x7fc0, v0, vcc_lo
	global_store_b32 v[3:4], v0, off
.LBB21_43:
	s_and_b32 vcc_lo, exec_lo, s23
	s_cbranch_vccz .LBB21_48
; %bb.44:
	v_cmp_eq_u16_e32 vcc_lo, 44, v8
	s_mov_b32 s2, -1
	s_cbranch_vccz .LBB21_48
; %bb.45:
	v_bfe_u32 v2, v1, 23, 8
	v_mov_b32_e32 v0, 0xff
	s_mov_b32 s3, exec_lo
	s_delay_alu instid0(VALU_DEP_2)
	v_cmpx_ne_u32_e32 0xff, v2
; %bb.46:
	v_and_b32_e32 v0, 0x400000, v1
	v_and_or_b32 v2, 0x3fffff, v1, v2
	s_delay_alu instid0(VALU_DEP_2) | instskip(NEXT) | instid1(VALU_DEP_2)
	v_cmp_ne_u32_e32 vcc_lo, 0, v0
	v_cmp_ne_u32_e64 s2, 0, v2
	v_lshrrev_b32_e32 v0, 23, v1
	s_delay_alu instid0(VALU_DEP_2) | instskip(NEXT) | instid1(SALU_CYCLE_1)
	s_and_b32 s2, vcc_lo, s2
	v_cndmask_b32_e64 v2, 0, 1, s2
	s_delay_alu instid0(VALU_DEP_1)
	v_add_nc_u32_e32 v0, v0, v2
; %bb.47:
	s_or_b32 exec_lo, exec_lo, s3
	s_mov_b32 s3, -1
	s_mov_b32 s2, 0
	global_store_b8 v[3:4], v0, off
.LBB21_48:
	s_mov_b32 s23, 0
.LBB21_49:
	s_delay_alu instid0(SALU_CYCLE_1)
	s_and_b32 vcc_lo, exec_lo, s23
	s_cbranch_vccz .LBB21_52
; %bb.50:
	v_cmp_eq_u16_e32 vcc_lo, 29, v8
	s_mov_b32 s2, -1
	s_cbranch_vccz .LBB21_52
; %bb.51:
	v_trunc_f32_e32 v0, v1
	s_mov_b32 s3, -1
	s_mov_b32 s2, 0
	s_delay_alu instid0(VALU_DEP_1) | instskip(NEXT) | instid1(VALU_DEP_1)
	v_mul_f32_e32 v2, 0x2f800000, v0
	v_floor_f32_e32 v2, v2
	s_delay_alu instid0(VALU_DEP_1) | instskip(SKIP_1) | instid1(VALU_DEP_2)
	v_fmamk_f32 v0, v2, 0xcf800000, v0
	v_cvt_u32_f32_e32 v10, v2
	v_cvt_u32_f32_e32 v9, v0
	global_store_b64 v[3:4], v[9:10], off
.LBB21_52:
	s_mov_b32 s23, 0
.LBB21_53:
	s_delay_alu instid0(SALU_CYCLE_1)
	s_and_b32 vcc_lo, exec_lo, s23
	s_cbranch_vccz .LBB21_69
; %bb.54:
	v_cmp_gt_i16_e32 vcc_lo, 27, v8
	s_mov_b32 s3, -1
	s_cbranch_vccnz .LBB21_60
; %bb.55:
	v_cmp_lt_i16_e32 vcc_lo, 27, v8
	s_cbranch_vccz .LBB21_57
; %bb.56:
	v_cvt_u32_f32_e32 v0, v1
	s_mov_b32 s3, 0
	global_store_b32 v[3:4], v0, off
.LBB21_57:
	s_and_not1_b32 vcc_lo, exec_lo, s3
	s_cbranch_vccnz .LBB21_59
; %bb.58:
	v_cvt_u32_f32_e32 v0, v1
	global_store_b16 v[3:4], v0, off
.LBB21_59:
	s_mov_b32 s3, 0
.LBB21_60:
	s_delay_alu instid0(SALU_CYCLE_1)
	s_and_not1_b32 vcc_lo, exec_lo, s3
	s_cbranch_vccnz .LBB21_68
; %bb.61:
	v_and_b32_e32 v0, 0x7fffffff, v1
	v_mov_b32_e32 v2, 0x80
	s_mov_b32 s3, exec_lo
	s_delay_alu instid0(VALU_DEP_2)
	v_cmpx_gt_u32_e32 0x43800000, v0
	s_cbranch_execz .LBB21_67
; %bb.62:
	v_cmp_lt_u32_e32 vcc_lo, 0x3bffffff, v0
	s_mov_b32 s23, 0
                                        ; implicit-def: $vgpr0
	s_and_saveexec_b32 s34, vcc_lo
	s_delay_alu instid0(SALU_CYCLE_1)
	s_xor_b32 s34, exec_lo, s34
	s_cbranch_execz .LBB21_162
; %bb.63:
	v_bfe_u32 v0, v1, 20, 1
	s_mov_b32 s23, exec_lo
	s_delay_alu instid0(VALU_DEP_1) | instskip(NEXT) | instid1(VALU_DEP_1)
	v_add3_u32 v0, v1, v0, 0x487ffff
	v_lshrrev_b32_e32 v0, 20, v0
	s_or_saveexec_b32 s34, s34
                                        ; implicit-def: $sgpr35
	s_delay_alu instid0(SALU_CYCLE_1)
	s_xor_b32 exec_lo, exec_lo, s34
	s_cbranch_execnz .LBB21_163
.LBB21_64:
	s_or_b32 exec_lo, exec_lo, s34
	v_mov_b32_e32 v2, s35
	s_and_saveexec_b32 s34, s23
.LBB21_65:
	v_lshrrev_b32_e32 v2, 24, v1
	s_delay_alu instid0(VALU_DEP_1)
	v_and_or_b32 v2, 0x80, v2, v0
.LBB21_66:
	s_or_b32 exec_lo, exec_lo, s34
.LBB21_67:
	s_delay_alu instid0(SALU_CYCLE_1)
	s_or_b32 exec_lo, exec_lo, s3
	global_store_b8 v[3:4], v2, off
.LBB21_68:
	s_mov_b32 s3, -1
.LBB21_69:
	s_mov_b32 s23, 0
.LBB21_70:
	s_delay_alu instid0(SALU_CYCLE_1)
	s_and_b32 vcc_lo, exec_lo, s23
	s_cbranch_vccz .LBB21_111
; %bb.71:
	v_cmp_lt_i16_e32 vcc_lo, 22, v8
	s_mov_b32 s23, -1
	s_cbranch_vccz .LBB21_103
; %bb.72:
	v_cmp_gt_i16_e32 vcc_lo, 24, v8
	s_mov_b32 s3, -1
	s_cbranch_vccnz .LBB21_92
; %bb.73:
	v_cmp_lt_i16_e32 vcc_lo, 24, v8
	s_cbranch_vccz .LBB21_81
; %bb.74:
	v_and_b32_e32 v0, 0x7fffffff, v1
	v_mov_b32_e32 v2, 0x80
	s_mov_b32 s3, exec_lo
	s_delay_alu instid0(VALU_DEP_2)
	v_cmpx_gt_u32_e32 0x47800000, v0
	s_cbranch_execz .LBB21_80
; %bb.75:
	v_cmp_lt_u32_e32 vcc_lo, 0x37ffffff, v0
	s_mov_b32 s23, 0
                                        ; implicit-def: $vgpr0
	s_and_saveexec_b32 s34, vcc_lo
	s_delay_alu instid0(SALU_CYCLE_1)
	s_xor_b32 s34, exec_lo, s34
	s_cbranch_execz .LBB21_365
; %bb.76:
	v_bfe_u32 v0, v1, 21, 1
	s_mov_b32 s23, exec_lo
	s_delay_alu instid0(VALU_DEP_1) | instskip(NEXT) | instid1(VALU_DEP_1)
	v_add3_u32 v0, v1, v0, 0x88fffff
	v_lshrrev_b32_e32 v0, 21, v0
	s_or_saveexec_b32 s34, s34
                                        ; implicit-def: $sgpr35
	s_delay_alu instid0(SALU_CYCLE_1)
	s_xor_b32 exec_lo, exec_lo, s34
	s_cbranch_execnz .LBB21_366
.LBB21_77:
	s_or_b32 exec_lo, exec_lo, s34
	v_mov_b32_e32 v2, s35
	s_and_saveexec_b32 s34, s23
.LBB21_78:
	v_lshrrev_b32_e32 v2, 24, v1
	s_delay_alu instid0(VALU_DEP_1)
	v_and_or_b32 v2, 0x80, v2, v0
.LBB21_79:
	s_or_b32 exec_lo, exec_lo, s34
.LBB21_80:
	s_delay_alu instid0(SALU_CYCLE_1)
	s_or_b32 exec_lo, exec_lo, s3
	s_mov_b32 s3, 0
	global_store_b8 v[3:4], v2, off
.LBB21_81:
	s_and_b32 vcc_lo, exec_lo, s3
	s_cbranch_vccz .LBB21_91
; %bb.82:
	v_and_b32_e32 v2, 0x7fffffff, v1
	s_mov_b32 s3, exec_lo
                                        ; implicit-def: $vgpr0
	s_delay_alu instid0(VALU_DEP_1)
	v_cmpx_gt_u32_e32 0x43f00000, v2
	s_xor_b32 s3, exec_lo, s3
	s_cbranch_execz .LBB21_88
; %bb.83:
	s_mov_b32 s23, exec_lo
                                        ; implicit-def: $vgpr0
	v_cmpx_lt_u32_e32 0x3c7fffff, v2
	s_xor_b32 s23, exec_lo, s23
; %bb.84:
	v_bfe_u32 v0, v1, 20, 1
	s_delay_alu instid0(VALU_DEP_1) | instskip(NEXT) | instid1(VALU_DEP_1)
	v_add3_u32 v0, v1, v0, 0x407ffff
	v_and_b32_e32 v2, 0xff00000, v0
	v_lshrrev_b32_e32 v0, 20, v0
	s_delay_alu instid0(VALU_DEP_2) | instskip(NEXT) | instid1(VALU_DEP_2)
	v_cmp_ne_u32_e32 vcc_lo, 0x7f00000, v2
	v_cndmask_b32_e32 v0, 0x7e, v0, vcc_lo
; %bb.85:
	s_and_not1_saveexec_b32 s23, s23
; %bb.86:
	v_add_f32_e64 v0, 0x46800000, |v1|
; %bb.87:
	s_or_b32 exec_lo, exec_lo, s23
                                        ; implicit-def: $vgpr2
.LBB21_88:
	s_and_not1_saveexec_b32 s3, s3
; %bb.89:
	v_mov_b32_e32 v0, 0x7f
	v_cmp_lt_u32_e32 vcc_lo, 0x7f800000, v2
	s_delay_alu instid0(VALU_DEP_2)
	v_cndmask_b32_e32 v0, 0x7e, v0, vcc_lo
; %bb.90:
	s_or_b32 exec_lo, exec_lo, s3
	v_lshrrev_b32_e32 v2, 24, v1
	s_delay_alu instid0(VALU_DEP_1)
	v_and_or_b32 v0, 0x80, v2, v0
	global_store_b8 v[3:4], v0, off
.LBB21_91:
	s_mov_b32 s3, 0
.LBB21_92:
	s_delay_alu instid0(SALU_CYCLE_1)
	s_and_not1_b32 vcc_lo, exec_lo, s3
	s_cbranch_vccnz .LBB21_102
; %bb.93:
	v_and_b32_e32 v2, 0x7fffffff, v1
	s_mov_b32 s3, exec_lo
                                        ; implicit-def: $vgpr0
	s_delay_alu instid0(VALU_DEP_1)
	v_cmpx_gt_u32_e32 0x47800000, v2
	s_xor_b32 s3, exec_lo, s3
	s_cbranch_execz .LBB21_99
; %bb.94:
	s_mov_b32 s23, exec_lo
                                        ; implicit-def: $vgpr0
	v_cmpx_lt_u32_e32 0x387fffff, v2
	s_xor_b32 s23, exec_lo, s23
; %bb.95:
	v_bfe_u32 v0, v1, 21, 1
	s_delay_alu instid0(VALU_DEP_1) | instskip(NEXT) | instid1(VALU_DEP_1)
	v_add3_u32 v0, v1, v0, 0x80fffff
	v_lshrrev_b32_e32 v0, 21, v0
; %bb.96:
	s_and_not1_saveexec_b32 s23, s23
; %bb.97:
	v_add_f32_e64 v0, 0x43000000, |v1|
; %bb.98:
	s_or_b32 exec_lo, exec_lo, s23
                                        ; implicit-def: $vgpr2
.LBB21_99:
	s_and_not1_saveexec_b32 s3, s3
; %bb.100:
	v_mov_b32_e32 v0, 0x7f
	v_cmp_lt_u32_e32 vcc_lo, 0x7f800000, v2
	s_delay_alu instid0(VALU_DEP_2)
	v_cndmask_b32_e32 v0, 0x7c, v0, vcc_lo
; %bb.101:
	s_or_b32 exec_lo, exec_lo, s3
	v_lshrrev_b32_e32 v2, 24, v1
	s_delay_alu instid0(VALU_DEP_1)
	v_and_or_b32 v0, 0x80, v2, v0
	global_store_b8 v[3:4], v0, off
.LBB21_102:
	s_mov_b32 s23, 0
	s_mov_b32 s3, -1
.LBB21_103:
	s_and_not1_b32 vcc_lo, exec_lo, s23
	s_cbranch_vccnz .LBB21_111
; %bb.104:
	v_cmp_lt_i16_e32 vcc_lo, 14, v8
	s_mov_b32 s23, -1
	s_cbranch_vccz .LBB21_108
; %bb.105:
	v_cmp_eq_u16_e32 vcc_lo, 15, v8
	s_mov_b32 s2, -1
	s_cbranch_vccz .LBB21_107
; %bb.106:
	v_bfe_u32 v0, v1, 16, 1
	v_cmp_o_f32_e32 vcc_lo, v1, v1
	s_mov_b32 s3, -1
	s_mov_b32 s2, 0
	s_delay_alu instid0(VALU_DEP_2) | instskip(NEXT) | instid1(VALU_DEP_1)
	v_add3_u32 v0, v1, v0, 0x7fff
	v_lshrrev_b32_e32 v0, 16, v0
	s_delay_alu instid0(VALU_DEP_1)
	v_cndmask_b32_e32 v0, 0x7fc0, v0, vcc_lo
	global_store_b16 v[3:4], v0, off
.LBB21_107:
	s_mov_b32 s23, 0
.LBB21_108:
	s_delay_alu instid0(SALU_CYCLE_1)
	s_and_b32 vcc_lo, exec_lo, s23
	s_cbranch_vccz .LBB21_111
; %bb.109:
	v_cmp_eq_u16_e32 vcc_lo, 11, v8
	s_mov_b32 s2, -1
	s_cbranch_vccz .LBB21_111
; %bb.110:
	v_cmp_neq_f32_e32 vcc_lo, 0, v1
	s_mov_b32 s2, 0
	s_mov_b32 s3, -1
	v_cndmask_b32_e64 v0, 0, 1, vcc_lo
	global_store_b8 v[3:4], v0, off
.LBB21_111:
.LBB21_112:
	s_and_not1_b32 vcc_lo, exec_lo, s3
	s_cbranch_vccz .LBB21_152
	s_branch .LBB21_273
.LBB21_113:
	s_and_b32 vcc_lo, exec_lo, s23
	s_cbranch_vccz .LBB21_112
; %bb.114:
	v_cmp_gt_i16_e32 vcc_lo, 5, v8
	s_mov_b32 s3, -1
	s_cbranch_vccnz .LBB21_135
; %bb.115:
	v_cmp_gt_i16_e32 vcc_lo, 8, v8
	s_cbranch_vccnz .LBB21_125
; %bb.116:
	v_cmp_gt_i16_e32 vcc_lo, 9, v8
	s_cbranch_vccnz .LBB21_122
; %bb.117:
	v_cmp_lt_i16_e32 vcc_lo, 9, v8
	s_cbranch_vccz .LBB21_119
; %bb.118:
	v_cvt_f64_f32_e32 v[9:10], v1
	v_mov_b32_e32 v11, 0
	s_mov_b32 s3, 0
	s_delay_alu instid0(VALU_DEP_1)
	v_mov_b32_e32 v12, v11
	global_store_b128 v[3:4], v[9:12], off
.LBB21_119:
	s_and_not1_b32 vcc_lo, exec_lo, s3
	s_cbranch_vccnz .LBB21_121
; %bb.120:
	v_mov_b32_e32 v2, 0
	global_store_b64 v[3:4], v[1:2], off
.LBB21_121:
	s_mov_b32 s3, 0
.LBB21_122:
	s_delay_alu instid0(SALU_CYCLE_1)
	s_and_not1_b32 vcc_lo, exec_lo, s3
	s_cbranch_vccnz .LBB21_124
; %bb.123:
	v_cvt_f16_f32_e32 v0, v1
	s_delay_alu instid0(VALU_DEP_1)
	v_and_b32_e32 v0, 0xffff, v0
	global_store_b32 v[3:4], v0, off
.LBB21_124:
	s_mov_b32 s3, 0
.LBB21_125:
	s_delay_alu instid0(SALU_CYCLE_1)
	s_and_not1_b32 vcc_lo, exec_lo, s3
	s_cbranch_vccnz .LBB21_134
; %bb.126:
	v_cmp_gt_i16_e32 vcc_lo, 6, v8
	s_mov_b32 s3, -1
	s_cbranch_vccnz .LBB21_132
; %bb.127:
	v_cmp_lt_i16_e32 vcc_lo, 6, v8
	s_cbranch_vccz .LBB21_129
; %bb.128:
	v_cvt_f64_f32_e32 v[9:10], v1
	s_mov_b32 s3, 0
	global_store_b64 v[3:4], v[9:10], off
.LBB21_129:
	s_and_not1_b32 vcc_lo, exec_lo, s3
	s_cbranch_vccnz .LBB21_131
; %bb.130:
	global_store_b32 v[3:4], v1, off
.LBB21_131:
	s_mov_b32 s3, 0
.LBB21_132:
	s_delay_alu instid0(SALU_CYCLE_1)
	s_and_not1_b32 vcc_lo, exec_lo, s3
	s_cbranch_vccnz .LBB21_134
; %bb.133:
	v_cvt_f16_f32_e32 v0, v1
	global_store_b16 v[3:4], v0, off
.LBB21_134:
	s_mov_b32 s3, 0
.LBB21_135:
	s_delay_alu instid0(SALU_CYCLE_1)
	s_and_not1_b32 vcc_lo, exec_lo, s3
	s_cbranch_vccnz .LBB21_151
; %bb.136:
	v_cmp_gt_i16_e32 vcc_lo, 2, v8
	s_mov_b32 s3, -1
	s_cbranch_vccnz .LBB21_146
; %bb.137:
	v_cmp_gt_i16_e32 vcc_lo, 3, v8
	s_cbranch_vccnz .LBB21_143
; %bb.138:
	v_cmp_lt_i16_e32 vcc_lo, 3, v8
	s_cbranch_vccz .LBB21_140
; %bb.139:
	v_trunc_f32_e32 v0, v1
	s_mov_b32 s3, 0
	s_delay_alu instid0(VALU_DEP_1) | instskip(NEXT) | instid1(VALU_DEP_1)
	v_mul_f32_e64 v2, 0x2f800000, |v0|
	v_floor_f32_e32 v2, v2
	s_delay_alu instid0(VALU_DEP_1) | instskip(SKIP_2) | instid1(VALU_DEP_3)
	v_fma_f32 v9, 0xcf800000, v2, |v0|
	v_ashrrev_i32_e32 v0, 31, v0
	v_cvt_u32_f32_e32 v2, v2
	v_cvt_u32_f32_e32 v9, v9
	s_delay_alu instid0(VALU_DEP_2) | instskip(NEXT) | instid1(VALU_DEP_2)
	v_xor_b32_e32 v2, v2, v0
	v_xor_b32_e32 v9, v9, v0
	s_delay_alu instid0(VALU_DEP_1) | instskip(NEXT) | instid1(VALU_DEP_3)
	v_sub_co_u32 v9, vcc_lo, v9, v0
	v_sub_co_ci_u32_e32 v10, vcc_lo, v2, v0, vcc_lo
	global_store_b64 v[3:4], v[9:10], off
.LBB21_140:
	s_and_not1_b32 vcc_lo, exec_lo, s3
	s_cbranch_vccnz .LBB21_142
; %bb.141:
	v_cvt_i32_f32_e32 v0, v1
	global_store_b32 v[3:4], v0, off
.LBB21_142:
	s_mov_b32 s3, 0
.LBB21_143:
	s_delay_alu instid0(SALU_CYCLE_1)
	s_and_not1_b32 vcc_lo, exec_lo, s3
	s_cbranch_vccnz .LBB21_145
; %bb.144:
	v_cvt_i32_f32_e32 v0, v1
	global_store_b16 v[3:4], v0, off
.LBB21_145:
	s_mov_b32 s3, 0
.LBB21_146:
	s_delay_alu instid0(SALU_CYCLE_1)
	s_and_not1_b32 vcc_lo, exec_lo, s3
	s_cbranch_vccnz .LBB21_151
; %bb.147:
	v_cmp_lt_i16_e32 vcc_lo, 0, v8
	s_mov_b32 s3, -1
	s_cbranch_vccz .LBB21_149
; %bb.148:
	v_cvt_i32_f32_e32 v0, v1
	s_mov_b32 s3, 0
	global_store_b8 v[3:4], v0, off
.LBB21_149:
	s_and_not1_b32 vcc_lo, exec_lo, s3
	s_cbranch_vccnz .LBB21_151
; %bb.150:
	v_trunc_f32_e32 v0, v1
	s_delay_alu instid0(VALU_DEP_1) | instskip(NEXT) | instid1(VALU_DEP_1)
	v_mul_f32_e64 v1, 0x2f800000, |v0|
	v_floor_f32_e32 v1, v1
	s_delay_alu instid0(VALU_DEP_1) | instskip(SKIP_1) | instid1(VALU_DEP_2)
	v_fma_f32 v1, 0xcf800000, v1, |v0|
	v_ashrrev_i32_e32 v0, 31, v0
	v_cvt_u32_f32_e32 v1, v1
	s_delay_alu instid0(VALU_DEP_1) | instskip(NEXT) | instid1(VALU_DEP_1)
	v_xor_b32_e32 v1, v1, v0
	v_sub_nc_u32_e32 v0, v1, v0
	global_store_b8 v[3:4], v0, off
.LBB21_151:
.LBB21_152:
	v_add_nc_u32_e32 v7, 0x80, v7
	s_mov_b32 s3, -1
	s_branch .LBB21_274
.LBB21_153:
	s_mov_b32 s2, 0
                                        ; implicit-def: $vgpr3
	s_cbranch_execnz .LBB21_190
	s_branch .LBB21_224
.LBB21_154:
	s_mov_b32 s3, -1
	s_mov_b32 s2, 0
                                        ; implicit-def: $vgpr3
	s_branch .LBB21_171
.LBB21_155:
	s_mov_b32 s3, -1
	s_mov_b32 s2, 0
                                        ; implicit-def: $vgpr3
	s_branch .LBB21_166
.LBB21_156:
	s_mov_b32 s3, -1
	s_branch .LBB21_158
.LBB21_157:
	s_mov_b32 s22, -1
.LBB21_158:
	s_mov_b32 s2, 0
                                        ; implicit-def: $vgpr3
.LBB21_159:
	s_and_b32 vcc_lo, exec_lo, s3
	s_cbranch_vccz .LBB21_165
; %bb.160:
	v_cmp_eq_u16_e32 vcc_lo, 44, v6
	s_cbranch_vccz .LBB21_164
; %bb.161:
	global_load_u8 v3, v[1:2], off
	s_mov_b32 s22, 0
	s_mov_b32 s2, -1
	s_waitcnt vmcnt(0)
	v_lshlrev_b32_e32 v4, 23, v3
	v_cmp_ne_u32_e32 vcc_lo, 0xff, v3
	s_delay_alu instid0(VALU_DEP_2) | instskip(SKIP_1) | instid1(VALU_DEP_2)
	v_cndmask_b32_e32 v4, 0x7f800001, v4, vcc_lo
	v_cmp_ne_u32_e32 vcc_lo, 0, v3
	v_cndmask_b32_e32 v3, 0x400000, v4, vcc_lo
	s_branch .LBB21_165
.LBB21_162:
	s_or_saveexec_b32 s34, s34
                                        ; implicit-def: $sgpr35
	s_delay_alu instid0(SALU_CYCLE_1)
	s_xor_b32 exec_lo, exec_lo, s34
	s_cbranch_execz .LBB21_64
.LBB21_163:
	v_add_f32_e64 v0, 0x46000000, |v1|
	s_and_not1_b32 s23, s23, exec_lo
	s_mov_b32 s35, 0
	s_delay_alu instid0(VALU_DEP_1) | instskip(NEXT) | instid1(VALU_DEP_1)
	v_and_b32_e32 v0, 0xff, v0
	v_cmp_ne_u32_e32 vcc_lo, 0, v0
	s_and_b32 s38, vcc_lo, exec_lo
	s_delay_alu instid0(SALU_CYCLE_1)
	s_or_b32 s23, s23, s38
	s_or_b32 exec_lo, exec_lo, s34
	v_mov_b32_e32 v2, s35
	s_and_saveexec_b32 s34, s23
	s_cbranch_execnz .LBB21_65
	s_branch .LBB21_66
.LBB21_164:
	s_mov_b32 s22, -1
                                        ; implicit-def: $vgpr3
.LBB21_165:
	s_mov_b32 s3, 0
.LBB21_166:
	s_delay_alu instid0(SALU_CYCLE_1)
	s_and_b32 vcc_lo, exec_lo, s3
	s_cbranch_vccz .LBB21_170
; %bb.167:
	v_cmp_eq_u16_e32 vcc_lo, 29, v6
	s_cbranch_vccz .LBB21_169
; %bb.168:
	global_load_b64 v[3:4], v[1:2], off
	s_mov_b32 s2, -1
	s_mov_b32 s22, 0
	s_mov_b32 s3, 0
	s_waitcnt vmcnt(0)
	v_clz_i32_u32_e32 v8, v4
	s_delay_alu instid0(VALU_DEP_1) | instskip(NEXT) | instid1(VALU_DEP_1)
	v_min_u32_e32 v8, 32, v8
	v_lshlrev_b64 v[3:4], v8, v[3:4]
	s_delay_alu instid0(VALU_DEP_1) | instskip(NEXT) | instid1(VALU_DEP_1)
	v_min_u32_e32 v3, 1, v3
	v_or_b32_e32 v3, v4, v3
	v_sub_nc_u32_e32 v4, 32, v8
	s_delay_alu instid0(VALU_DEP_2) | instskip(NEXT) | instid1(VALU_DEP_1)
	v_cvt_f32_u32_e32 v3, v3
	v_ldexp_f32 v3, v3, v4
	s_branch .LBB21_171
.LBB21_169:
	s_mov_b32 s22, -1
                                        ; implicit-def: $vgpr3
.LBB21_170:
	s_mov_b32 s3, 0
.LBB21_171:
	s_delay_alu instid0(SALU_CYCLE_1)
	s_and_b32 vcc_lo, exec_lo, s3
	s_cbranch_vccz .LBB21_189
; %bb.172:
	v_cmp_gt_i16_e32 vcc_lo, 27, v6
	s_cbranch_vccnz .LBB21_175
; %bb.173:
	v_cmp_lt_i16_e32 vcc_lo, 27, v6
	s_cbranch_vccz .LBB21_176
; %bb.174:
	global_load_b32 v3, v[1:2], off
	s_mov_b32 s2, 0
	s_waitcnt vmcnt(0)
	v_cvt_f32_u32_e32 v3, v3
	s_branch .LBB21_177
.LBB21_175:
	s_mov_b32 s2, -1
                                        ; implicit-def: $vgpr3
	s_branch .LBB21_180
.LBB21_176:
	s_mov_b32 s2, -1
                                        ; implicit-def: $vgpr3
.LBB21_177:
	s_delay_alu instid0(SALU_CYCLE_1)
	s_and_not1_b32 vcc_lo, exec_lo, s2
	s_cbranch_vccnz .LBB21_179
; %bb.178:
	global_load_u16 v3, v[1:2], off
	s_waitcnt vmcnt(0)
	v_cvt_f32_u32_e32 v3, v3
.LBB21_179:
	s_mov_b32 s2, 0
.LBB21_180:
	s_delay_alu instid0(SALU_CYCLE_1)
	s_and_not1_b32 vcc_lo, exec_lo, s2
	s_cbranch_vccnz .LBB21_188
; %bb.181:
	global_load_u8 v4, v[1:2], off
	s_mov_b32 s2, 0
	s_mov_b32 s23, exec_lo
                                        ; implicit-def: $sgpr3
	s_waitcnt vmcnt(0)
	v_cmpx_lt_i16_e32 0x7f, v4
	s_xor_b32 s23, exec_lo, s23
	s_cbranch_execz .LBB21_201
; %bb.182:
	s_mov_b32 s2, -1
	s_mov_b32 s34, exec_lo
                                        ; implicit-def: $sgpr3
	v_cmpx_eq_u16_e32 0x80, v4
; %bb.183:
	s_mov_b32 s3, 0x7f800001
	s_xor_b32 s2, exec_lo, -1
; %bb.184:
	s_or_b32 exec_lo, exec_lo, s34
	s_delay_alu instid0(SALU_CYCLE_1)
	s_and_b32 s2, s2, exec_lo
	s_or_saveexec_b32 s23, s23
	v_mov_b32_e32 v3, s3
	s_xor_b32 exec_lo, exec_lo, s23
	s_cbranch_execnz .LBB21_202
.LBB21_185:
	s_or_b32 exec_lo, exec_lo, s23
	s_and_saveexec_b32 s3, s2
	s_cbranch_execz .LBB21_187
.LBB21_186:
	v_and_b32_e32 v3, 0xffff, v4
	v_lshlrev_b32_e32 v4, 24, v4
	s_delay_alu instid0(VALU_DEP_2) | instskip(NEXT) | instid1(VALU_DEP_2)
	v_and_b32_e32 v8, 7, v3
	v_and_b32_e32 v4, 0x80000000, v4
	s_delay_alu instid0(VALU_DEP_2) | instskip(NEXT) | instid1(VALU_DEP_1)
	v_clz_i32_u32_e32 v9, v8
	v_min_u32_e32 v9, 32, v9
	s_delay_alu instid0(VALU_DEP_1) | instskip(SKIP_1) | instid1(VALU_DEP_2)
	v_subrev_nc_u32_e32 v10, 28, v9
	v_sub_nc_u32_e32 v9, 29, v9
	v_lshlrev_b32_e32 v10, v10, v3
	v_bfe_u32 v3, v3, 3, 4
	s_delay_alu instid0(VALU_DEP_2) | instskip(NEXT) | instid1(VALU_DEP_2)
	v_and_b32_e32 v10, 7, v10
	v_cmp_eq_u32_e32 vcc_lo, 0, v3
	s_delay_alu instid0(VALU_DEP_2) | instskip(NEXT) | instid1(VALU_DEP_1)
	v_dual_cndmask_b32 v3, v3, v9 :: v_dual_cndmask_b32 v8, v8, v10
	v_lshl_add_u32 v3, v3, 23, 0x3b800000
	s_delay_alu instid0(VALU_DEP_2) | instskip(NEXT) | instid1(VALU_DEP_1)
	v_lshlrev_b32_e32 v8, 20, v8
	v_or3_b32 v3, v4, v3, v8
.LBB21_187:
	s_or_b32 exec_lo, exec_lo, s3
.LBB21_188:
	s_mov_b32 s2, -1
.LBB21_189:
	s_branch .LBB21_224
.LBB21_190:
	v_cmp_lt_i16_e32 vcc_lo, 22, v6
	s_cbranch_vccz .LBB21_200
; %bb.191:
	v_cmp_gt_i16_e32 vcc_lo, 24, v6
	s_cbranch_vccnz .LBB21_203
; %bb.192:
	v_cmp_lt_i16_e32 vcc_lo, 24, v6
	s_cbranch_vccz .LBB21_204
; %bb.193:
	global_load_u8 v4, v[1:2], off
	s_mov_b32 s2, 0
	s_mov_b32 s23, exec_lo
                                        ; implicit-def: $sgpr3
	s_waitcnt vmcnt(0)
	v_cmpx_lt_i16_e32 0x7f, v4
	s_xor_b32 s23, exec_lo, s23
	s_cbranch_execz .LBB21_216
; %bb.194:
	s_mov_b32 s2, -1
	s_mov_b32 s34, exec_lo
                                        ; implicit-def: $sgpr3
	v_cmpx_eq_u16_e32 0x80, v4
; %bb.195:
	s_mov_b32 s3, 0x7f800001
	s_xor_b32 s2, exec_lo, -1
; %bb.196:
	s_or_b32 exec_lo, exec_lo, s34
	s_delay_alu instid0(SALU_CYCLE_1)
	s_and_b32 s2, s2, exec_lo
	s_or_saveexec_b32 s23, s23
	v_mov_b32_e32 v3, s3
	s_xor_b32 exec_lo, exec_lo, s23
	s_cbranch_execnz .LBB21_217
.LBB21_197:
	s_or_b32 exec_lo, exec_lo, s23
	s_and_saveexec_b32 s3, s2
	s_cbranch_execz .LBB21_199
.LBB21_198:
	v_and_b32_e32 v3, 0xffff, v4
	v_lshlrev_b32_e32 v4, 24, v4
	s_delay_alu instid0(VALU_DEP_2) | instskip(NEXT) | instid1(VALU_DEP_2)
	v_and_b32_e32 v8, 3, v3
	v_and_b32_e32 v4, 0x80000000, v4
	s_delay_alu instid0(VALU_DEP_2) | instskip(NEXT) | instid1(VALU_DEP_1)
	v_clz_i32_u32_e32 v9, v8
	v_min_u32_e32 v9, 32, v9
	s_delay_alu instid0(VALU_DEP_1) | instskip(SKIP_1) | instid1(VALU_DEP_2)
	v_subrev_nc_u32_e32 v10, 29, v9
	v_sub_nc_u32_e32 v9, 30, v9
	v_lshlrev_b32_e32 v10, v10, v3
	v_bfe_u32 v3, v3, 2, 5
	s_delay_alu instid0(VALU_DEP_2) | instskip(NEXT) | instid1(VALU_DEP_2)
	v_and_b32_e32 v10, 3, v10
	v_cmp_eq_u32_e32 vcc_lo, 0, v3
	s_delay_alu instid0(VALU_DEP_2) | instskip(NEXT) | instid1(VALU_DEP_1)
	v_dual_cndmask_b32 v3, v3, v9 :: v_dual_cndmask_b32 v8, v8, v10
	v_lshl_add_u32 v3, v3, 23, 0x37800000
	s_delay_alu instid0(VALU_DEP_2) | instskip(NEXT) | instid1(VALU_DEP_1)
	v_lshlrev_b32_e32 v8, 21, v8
	v_or3_b32 v3, v4, v3, v8
.LBB21_199:
	s_or_b32 exec_lo, exec_lo, s3
	s_mov_b32 s2, 0
	s_branch .LBB21_205
.LBB21_200:
	s_mov_b32 s3, -1
                                        ; implicit-def: $vgpr3
	s_branch .LBB21_211
.LBB21_201:
	s_or_saveexec_b32 s23, s23
	v_mov_b32_e32 v3, s3
	s_xor_b32 exec_lo, exec_lo, s23
	s_cbranch_execz .LBB21_185
.LBB21_202:
	v_cmp_ne_u16_e32 vcc_lo, 0, v4
	v_mov_b32_e32 v3, 0
	s_and_not1_b32 s2, s2, exec_lo
	s_and_b32 s3, vcc_lo, exec_lo
	s_delay_alu instid0(SALU_CYCLE_1)
	s_or_b32 s2, s2, s3
	s_or_b32 exec_lo, exec_lo, s23
	s_and_saveexec_b32 s3, s2
	s_cbranch_execnz .LBB21_186
	s_branch .LBB21_187
.LBB21_203:
	s_mov_b32 s2, -1
                                        ; implicit-def: $vgpr3
	s_branch .LBB21_208
.LBB21_204:
	s_mov_b32 s2, -1
                                        ; implicit-def: $vgpr3
.LBB21_205:
	s_delay_alu instid0(SALU_CYCLE_1)
	s_and_b32 vcc_lo, exec_lo, s2
	s_cbranch_vccz .LBB21_207
; %bb.206:
	global_load_u8 v3, v[1:2], off
	s_waitcnt vmcnt(0)
	v_lshlrev_b32_e32 v3, 24, v3
	s_delay_alu instid0(VALU_DEP_1) | instskip(NEXT) | instid1(VALU_DEP_1)
	v_and_b32_e32 v4, 0x7f000000, v3
	v_clz_i32_u32_e32 v8, v4
	v_add_nc_u32_e32 v10, 0x1000000, v4
	v_cmp_ne_u32_e32 vcc_lo, 0, v4
	s_delay_alu instid0(VALU_DEP_3) | instskip(NEXT) | instid1(VALU_DEP_1)
	v_min_u32_e32 v8, 32, v8
	v_sub_nc_u32_e64 v8, v8, 4 clamp
	s_delay_alu instid0(VALU_DEP_1) | instskip(SKIP_1) | instid1(VALU_DEP_2)
	v_lshlrev_b32_e32 v9, v8, v4
	v_lshlrev_b32_e32 v8, 23, v8
	v_lshrrev_b32_e32 v9, 4, v9
	s_delay_alu instid0(VALU_DEP_1) | instskip(SKIP_1) | instid1(VALU_DEP_2)
	v_sub_nc_u32_e32 v8, v9, v8
	v_ashrrev_i32_e32 v9, 8, v10
	v_add_nc_u32_e32 v8, 0x3c000000, v8
	s_delay_alu instid0(VALU_DEP_1) | instskip(NEXT) | instid1(VALU_DEP_1)
	v_and_or_b32 v8, 0x7f800000, v9, v8
	v_cndmask_b32_e32 v4, 0, v8, vcc_lo
	s_delay_alu instid0(VALU_DEP_1)
	v_and_or_b32 v3, 0x80000000, v3, v4
.LBB21_207:
	s_mov_b32 s2, 0
.LBB21_208:
	s_delay_alu instid0(SALU_CYCLE_1)
	s_and_not1_b32 vcc_lo, exec_lo, s2
	s_cbranch_vccnz .LBB21_210
; %bb.209:
	global_load_u8 v3, v[1:2], off
	s_waitcnt vmcnt(0)
	v_lshlrev_b32_e32 v4, 25, v3
	v_lshlrev_b16 v3, 8, v3
	s_delay_alu instid0(VALU_DEP_1) | instskip(SKIP_1) | instid1(VALU_DEP_2)
	v_and_or_b32 v9, 0x7f00, v3, 0.5
	v_bfe_i32 v3, v3, 0, 16
	v_add_f32_e32 v9, -0.5, v9
	v_lshrrev_b32_e32 v8, 4, v4
	v_cmp_gt_u32_e32 vcc_lo, 0x8000000, v4
	s_delay_alu instid0(VALU_DEP_2) | instskip(NEXT) | instid1(VALU_DEP_1)
	v_or_b32_e32 v8, 0x70000000, v8
	v_mul_f32_e32 v8, 0x7800000, v8
	s_delay_alu instid0(VALU_DEP_1) | instskip(NEXT) | instid1(VALU_DEP_1)
	v_cndmask_b32_e32 v4, v8, v9, vcc_lo
	v_and_or_b32 v3, 0x80000000, v3, v4
.LBB21_210:
	s_mov_b32 s3, 0
	s_mov_b32 s2, -1
.LBB21_211:
	s_and_not1_b32 vcc_lo, exec_lo, s3
	s_cbranch_vccnz .LBB21_224
; %bb.212:
	v_cmp_lt_i16_e32 vcc_lo, 14, v6
	s_cbranch_vccz .LBB21_215
; %bb.213:
	v_cmp_eq_u16_e32 vcc_lo, 15, v6
	s_cbranch_vccz .LBB21_218
; %bb.214:
	global_load_u16 v3, v[1:2], off
	s_mov_b32 s2, -1
	s_mov_b32 s22, 0
	s_waitcnt vmcnt(0)
	v_lshlrev_b32_e32 v3, 16, v3
	s_branch .LBB21_219
.LBB21_215:
	s_mov_b32 s3, -1
                                        ; implicit-def: $vgpr3
	s_branch .LBB21_220
.LBB21_216:
	s_or_saveexec_b32 s23, s23
	v_mov_b32_e32 v3, s3
	s_xor_b32 exec_lo, exec_lo, s23
	s_cbranch_execz .LBB21_197
.LBB21_217:
	v_cmp_ne_u16_e32 vcc_lo, 0, v4
	v_mov_b32_e32 v3, 0
	s_and_not1_b32 s2, s2, exec_lo
	s_and_b32 s3, vcc_lo, exec_lo
	s_delay_alu instid0(SALU_CYCLE_1)
	s_or_b32 s2, s2, s3
	s_or_b32 exec_lo, exec_lo, s23
	s_and_saveexec_b32 s3, s2
	s_cbranch_execnz .LBB21_198
	s_branch .LBB21_199
.LBB21_218:
	s_mov_b32 s22, -1
                                        ; implicit-def: $vgpr3
.LBB21_219:
	s_mov_b32 s3, 0
.LBB21_220:
	s_delay_alu instid0(SALU_CYCLE_1)
	s_and_b32 vcc_lo, exec_lo, s3
	s_cbranch_vccz .LBB21_224
; %bb.221:
	v_cmp_eq_u16_e32 vcc_lo, 11, v6
	s_cbranch_vccz .LBB21_223
; %bb.222:
	global_load_u8 v3, v[1:2], off
	s_mov_b32 s22, 0
	s_mov_b32 s2, -1
	s_waitcnt vmcnt(0)
	v_cmp_ne_u16_e32 vcc_lo, 0, v3
	v_cndmask_b32_e64 v3, 0, 1.0, vcc_lo
	s_branch .LBB21_224
.LBB21_223:
	s_mov_b32 s22, -1
                                        ; implicit-def: $vgpr3
.LBB21_224:
	s_branch .LBB21_23
.LBB21_225:
	v_cmp_gt_i16_e32 vcc_lo, 5, v6
	s_cbranch_vccnz .LBB21_230
; %bb.226:
	v_cmp_gt_i16_e32 vcc_lo, 8, v6
	s_cbranch_vccnz .LBB21_231
; %bb.227:
	;; [unrolled: 3-line block ×3, first 2 shown]
	v_cmp_lt_i16_e32 vcc_lo, 9, v6
	s_cbranch_vccz .LBB21_233
; %bb.229:
	global_load_b64 v[3:4], v[1:2], off
	s_mov_b32 s2, 0
	s_waitcnt vmcnt(0)
	v_cvt_f32_f64_e32 v3, v[3:4]
	s_branch .LBB21_234
.LBB21_230:
                                        ; implicit-def: $vgpr3
	s_branch .LBB21_252
.LBB21_231:
	s_mov_b32 s2, -1
                                        ; implicit-def: $vgpr3
	s_branch .LBB21_240
.LBB21_232:
	s_mov_b32 s2, -1
                                        ; implicit-def: $vgpr3
	s_branch .LBB21_237
.LBB21_233:
	s_mov_b32 s2, -1
                                        ; implicit-def: $vgpr3
.LBB21_234:
	s_delay_alu instid0(SALU_CYCLE_1)
	s_and_not1_b32 vcc_lo, exec_lo, s2
	s_cbranch_vccnz .LBB21_236
; %bb.235:
	global_load_b32 v3, v[1:2], off
.LBB21_236:
	s_mov_b32 s2, 0
.LBB21_237:
	s_delay_alu instid0(SALU_CYCLE_1)
	s_and_not1_b32 vcc_lo, exec_lo, s2
	s_cbranch_vccnz .LBB21_239
; %bb.238:
	global_load_b32 v3, v[1:2], off
	s_waitcnt vmcnt(0)
	v_cvt_f32_f16_e32 v3, v3
.LBB21_239:
	s_mov_b32 s2, 0
.LBB21_240:
	s_delay_alu instid0(SALU_CYCLE_1)
	s_and_not1_b32 vcc_lo, exec_lo, s2
	s_cbranch_vccnz .LBB21_251
; %bb.241:
	v_cmp_gt_i16_e32 vcc_lo, 6, v6
	s_cbranch_vccnz .LBB21_244
; %bb.242:
	v_cmp_lt_i16_e32 vcc_lo, 6, v6
	s_cbranch_vccz .LBB21_245
; %bb.243:
	global_load_b64 v[3:4], v[1:2], off
	s_mov_b32 s2, 0
	s_waitcnt vmcnt(0)
	v_cvt_f32_f64_e32 v3, v[3:4]
	s_branch .LBB21_246
.LBB21_244:
	s_mov_b32 s2, -1
                                        ; implicit-def: $vgpr3
	s_branch .LBB21_249
.LBB21_245:
	s_mov_b32 s2, -1
                                        ; implicit-def: $vgpr3
.LBB21_246:
	s_delay_alu instid0(SALU_CYCLE_1)
	s_and_not1_b32 vcc_lo, exec_lo, s2
	s_cbranch_vccnz .LBB21_248
; %bb.247:
	global_load_b32 v3, v[1:2], off
.LBB21_248:
	s_mov_b32 s2, 0
.LBB21_249:
	s_delay_alu instid0(SALU_CYCLE_1)
	s_and_not1_b32 vcc_lo, exec_lo, s2
	s_cbranch_vccnz .LBB21_251
; %bb.250:
	global_load_u16 v3, v[1:2], off
	s_waitcnt vmcnt(0)
	v_cvt_f32_f16_e32 v3, v3
.LBB21_251:
	s_cbranch_execnz .LBB21_271
.LBB21_252:
	v_cmp_gt_i16_e32 vcc_lo, 2, v6
	s_cbranch_vccnz .LBB21_256
; %bb.253:
	v_cmp_gt_i16_e32 vcc_lo, 3, v6
	s_cbranch_vccnz .LBB21_257
; %bb.254:
	v_cmp_lt_i16_e32 vcc_lo, 3, v6
	s_cbranch_vccz .LBB21_258
; %bb.255:
	global_load_b64 v[3:4], v[1:2], off
	s_mov_b32 s2, 0
	s_waitcnt vmcnt(0)
	v_xor_b32_e32 v8, v3, v4
	v_cls_i32_e32 v9, v4
	s_delay_alu instid0(VALU_DEP_2) | instskip(NEXT) | instid1(VALU_DEP_2)
	v_ashrrev_i32_e32 v8, 31, v8
	v_add_nc_u32_e32 v9, -1, v9
	s_delay_alu instid0(VALU_DEP_2) | instskip(NEXT) | instid1(VALU_DEP_1)
	v_add_nc_u32_e32 v8, 32, v8
	v_min_u32_e32 v8, v9, v8
	s_delay_alu instid0(VALU_DEP_1) | instskip(NEXT) | instid1(VALU_DEP_1)
	v_lshlrev_b64 v[3:4], v8, v[3:4]
	v_min_u32_e32 v3, 1, v3
	s_delay_alu instid0(VALU_DEP_1) | instskip(SKIP_1) | instid1(VALU_DEP_2)
	v_or_b32_e32 v3, v4, v3
	v_sub_nc_u32_e32 v4, 32, v8
	v_cvt_f32_i32_e32 v3, v3
	s_delay_alu instid0(VALU_DEP_1)
	v_ldexp_f32 v3, v3, v4
	s_branch .LBB21_259
.LBB21_256:
	s_mov_b32 s2, -1
                                        ; implicit-def: $vgpr3
	s_branch .LBB21_265
.LBB21_257:
	s_mov_b32 s2, -1
                                        ; implicit-def: $vgpr3
	s_branch .LBB21_262
.LBB21_258:
	s_mov_b32 s2, -1
                                        ; implicit-def: $vgpr3
.LBB21_259:
	s_delay_alu instid0(SALU_CYCLE_1)
	s_and_not1_b32 vcc_lo, exec_lo, s2
	s_cbranch_vccnz .LBB21_261
; %bb.260:
	global_load_b32 v3, v[1:2], off
	s_waitcnt vmcnt(0)
	v_cvt_f32_i32_e32 v3, v3
.LBB21_261:
	s_mov_b32 s2, 0
.LBB21_262:
	s_delay_alu instid0(SALU_CYCLE_1)
	s_and_not1_b32 vcc_lo, exec_lo, s2
	s_cbranch_vccnz .LBB21_264
; %bb.263:
	global_load_i16 v3, v[1:2], off
	s_waitcnt vmcnt(0)
	v_cvt_f32_i32_e32 v3, v3
.LBB21_264:
	s_mov_b32 s2, 0
.LBB21_265:
	s_delay_alu instid0(SALU_CYCLE_1)
	s_and_not1_b32 vcc_lo, exec_lo, s2
	s_cbranch_vccnz .LBB21_271
; %bb.266:
	v_cmp_lt_i16_e32 vcc_lo, 0, v6
	s_mov_b32 s2, 0
	s_cbranch_vccz .LBB21_268
; %bb.267:
	global_load_i8 v3, v[1:2], off
	s_waitcnt vmcnt(0)
	v_cvt_f32_i32_e32 v3, v3
	s_branch .LBB21_269
.LBB21_268:
	s_mov_b32 s2, -1
                                        ; implicit-def: $vgpr3
.LBB21_269:
	s_delay_alu instid0(SALU_CYCLE_1)
	s_and_not1_b32 vcc_lo, exec_lo, s2
	s_cbranch_vccnz .LBB21_271
; %bb.270:
	global_load_u8 v1, v[1:2], off
	s_waitcnt vmcnt(0)
	v_cvt_f32_ubyte0_e32 v3, v1
.LBB21_271:
	s_branch .LBB21_24
.LBB21_272:
	s_mov_b32 s2, 0
.LBB21_273:
	s_mov_b32 s3, 0
                                        ; implicit-def: $vgpr7
.LBB21_274:
	s_and_b32 s34, s2, exec_lo
	s_and_b32 s35, s22, exec_lo
	s_or_not1_b32 s3, s3, exec_lo
.LBB21_275:
	s_or_b32 exec_lo, exec_lo, s36
	s_mov_b32 s22, 0
	s_mov_b32 s2, 0
                                        ; implicit-def: $vgpr1_vgpr2
                                        ; implicit-def: $vgpr0
                                        ; implicit-def: $vgpr8
	s_and_saveexec_b32 s36, s3
	s_cbranch_execz .LBB21_942
; %bb.276:
	s_mov_b32 s2, -1
	s_mov_b32 s37, s35
	s_mov_b32 s38, s34
	s_mov_b32 s39, exec_lo
	v_cmpx_gt_i32_e64 s30, v7
	s_cbranch_execz .LBB21_557
; %bb.277:
	s_and_not1_b32 vcc_lo, exec_lo, s27
	s_cbranch_vccnz .LBB21_282
; %bb.278:
	v_dual_mov_b32 v0, 0 :: v_dual_mov_b32 v1, 0
	s_and_not1_b32 vcc_lo, exec_lo, s33
	s_mov_b32 s37, 0
	s_cbranch_vccnz .LBB21_287
; %bb.279:
	v_mov_b32_e32 v0, 0
	s_add_i32 s40, s31, 1
	s_cmp_eq_u32 s25, 2
	s_mov_b32 s38, 0
	s_cbranch_scc1 .LBB21_283
; %bb.280:
	v_dual_mov_b32 v1, 0 :: v_dual_mov_b32 v0, 0
	v_mov_b32_e32 v2, v7
	s_and_b32 s38, s40, 28
	s_mov_b32 s41, 0
	s_mov_b64 s[2:3], s[20:21]
	s_mov_b64 s[22:23], s[16:17]
.LBB21_281:                             ; =>This Inner Loop Header: Depth=1
	s_clause 0x1
	s_load_b256 s[44:51], s[22:23], 0x4
	s_load_b128 s[60:63], s[22:23], 0x24
	s_load_b256 s[52:59], s[2:3], 0x0
	s_add_u32 s22, s22, 48
	s_addc_u32 s23, s23, 0
	s_add_i32 s41, s41, 4
	s_add_u32 s2, s2, 32
	s_addc_u32 s3, s3, 0
	s_cmp_eq_u32 s38, s41
	s_waitcnt vmcnt(0) lgkmcnt(0)
	v_mul_hi_u32 v3, s45, v2
	s_delay_alu instid0(VALU_DEP_1) | instskip(NEXT) | instid1(VALU_DEP_1)
	v_add_nc_u32_e32 v3, v2, v3
	v_lshrrev_b32_e32 v3, s46, v3
	s_delay_alu instid0(VALU_DEP_1) | instskip(SKIP_1) | instid1(VALU_DEP_2)
	v_mul_hi_u32 v4, s48, v3
	v_mul_lo_u32 v9, v3, s44
	v_add_nc_u32_e32 v4, v3, v4
	s_delay_alu instid0(VALU_DEP_2) | instskip(NEXT) | instid1(VALU_DEP_2)
	v_sub_nc_u32_e32 v2, v2, v9
	v_lshrrev_b32_e32 v4, s49, v4
	s_delay_alu instid0(VALU_DEP_2) | instskip(SKIP_1) | instid1(VALU_DEP_3)
	v_mul_lo_u32 v9, v2, s52
	v_mul_lo_u32 v11, v2, s53
	v_mul_hi_u32 v8, s51, v4
	s_delay_alu instid0(VALU_DEP_1) | instskip(NEXT) | instid1(VALU_DEP_1)
	v_add_nc_u32_e32 v8, v4, v8
	v_lshrrev_b32_e32 v8, s60, v8
	s_delay_alu instid0(VALU_DEP_1) | instskip(SKIP_1) | instid1(VALU_DEP_2)
	v_mul_hi_u32 v10, s62, v8
	v_mul_lo_u32 v12, v8, s50
	v_add_nc_u32_e32 v2, v8, v10
	v_mul_lo_u32 v10, v4, s47
	s_delay_alu instid0(VALU_DEP_3) | instskip(NEXT) | instid1(VALU_DEP_3)
	v_sub_nc_u32_e32 v4, v4, v12
	v_lshrrev_b32_e32 v2, s63, v2
	s_delay_alu instid0(VALU_DEP_2) | instskip(SKIP_2) | instid1(VALU_DEP_4)
	v_mul_lo_u32 v12, v4, s56
	v_mul_lo_u32 v4, v4, s57
	v_sub_nc_u32_e32 v3, v3, v10
	v_mul_lo_u32 v13, v2, s61
	s_delay_alu instid0(VALU_DEP_2) | instskip(SKIP_1) | instid1(VALU_DEP_3)
	v_mul_lo_u32 v10, v3, s54
	v_mul_lo_u32 v3, v3, s55
	v_sub_nc_u32_e32 v8, v8, v13
	s_delay_alu instid0(VALU_DEP_3) | instskip(NEXT) | instid1(VALU_DEP_2)
	v_add3_u32 v0, v9, v0, v10
	v_mul_lo_u32 v13, v8, s58
	v_mul_lo_u32 v8, v8, s59
	v_add3_u32 v1, v11, v1, v3
	s_delay_alu instid0(VALU_DEP_3) | instskip(NEXT) | instid1(VALU_DEP_2)
	v_add3_u32 v0, v12, v0, v13
	v_add3_u32 v1, v4, v1, v8
	s_cbranch_scc0 .LBB21_281
	s_branch .LBB21_284
.LBB21_282:
	s_mov_b32 s37, -1
                                        ; implicit-def: $vgpr0
                                        ; implicit-def: $vgpr1
	s_branch .LBB21_287
.LBB21_283:
	v_dual_mov_b32 v2, v7 :: v_dual_mov_b32 v1, 0
.LBB21_284:
	s_and_b32 s40, s40, 3
	s_delay_alu instid0(SALU_CYCLE_1)
	s_cmp_eq_u32 s40, 0
	s_cbranch_scc1 .LBB21_287
; %bb.285:
	s_lshl_b32 s2, s38, 3
	s_mul_i32 s22, s38, 12
	s_add_u32 s2, s2, s16
	s_addc_u32 s3, s17, 0
	s_add_u32 s2, s2, 0xc4
	s_addc_u32 s3, s3, 0
	;; [unrolled: 2-line block ×3, first 2 shown]
	.p2align	6
.LBB21_286:                             ; =>This Inner Loop Header: Depth=1
	s_clause 0x1
	s_load_b64 s[42:43], s[22:23], 0x4
	s_load_b32 s38, s[22:23], 0xc
	s_load_b64 s[44:45], s[2:3], 0x0
	s_add_u32 s22, s22, 12
	s_addc_u32 s23, s23, 0
	s_add_u32 s2, s2, 8
	s_addc_u32 s3, s3, 0
	s_add_i32 s40, s40, -1
	s_delay_alu instid0(SALU_CYCLE_1) | instskip(SKIP_2) | instid1(VALU_DEP_1)
	s_cmp_lg_u32 s40, 0
	s_waitcnt vmcnt(0) lgkmcnt(0)
	v_mul_hi_u32 v3, s43, v2
	v_add_nc_u32_e32 v3, v2, v3
	s_delay_alu instid0(VALU_DEP_1) | instskip(NEXT) | instid1(VALU_DEP_1)
	v_lshrrev_b32_e32 v10, s38, v3
	v_mul_lo_u32 v3, v10, s42
	s_delay_alu instid0(VALU_DEP_1) | instskip(NEXT) | instid1(VALU_DEP_1)
	v_sub_nc_u32_e32 v2, v2, v3
	v_mad_u64_u32 v[3:4], null, v2, s44, v[0:1]
	v_mad_u64_u32 v[8:9], null, v2, s45, v[1:2]
	v_mov_b32_e32 v2, v10
	s_delay_alu instid0(VALU_DEP_2)
	v_dual_mov_b32 v0, v3 :: v_dual_mov_b32 v1, v8
	s_cbranch_scc1 .LBB21_286
.LBB21_287:
	s_and_not1_b32 vcc_lo, exec_lo, s37
	s_cbranch_vccnz .LBB21_290
; %bb.288:
	s_waitcnt lgkmcnt(0)
	v_mul_hi_u32 v0, s13, v7
	s_and_not1_b32 vcc_lo, exec_lo, s29
	s_delay_alu instid0(VALU_DEP_1) | instskip(NEXT) | instid1(VALU_DEP_1)
	v_add_nc_u32_e32 v0, v7, v0
	v_lshrrev_b32_e32 v2, s14, v0
	s_delay_alu instid0(VALU_DEP_1) | instskip(NEXT) | instid1(VALU_DEP_1)
	v_mul_lo_u32 v0, v2, s12
	v_sub_nc_u32_e32 v1, v7, v0
	s_delay_alu instid0(VALU_DEP_1)
	v_mul_lo_u32 v0, v1, s8
	v_mul_lo_u32 v1, v1, s9
	s_cbranch_vccnz .LBB21_290
; %bb.289:
	s_waitcnt vmcnt(0)
	v_mul_hi_u32 v3, s18, v2
	s_delay_alu instid0(VALU_DEP_1) | instskip(NEXT) | instid1(VALU_DEP_1)
	v_add_nc_u32_e32 v3, v2, v3
	v_lshrrev_b32_e32 v3, s19, v3
	s_delay_alu instid0(VALU_DEP_1) | instskip(NEXT) | instid1(VALU_DEP_1)
	v_mul_lo_u32 v3, v3, s15
	v_sub_nc_u32_e32 v8, v2, v3
	s_delay_alu instid0(VALU_DEP_1) | instskip(NEXT) | instid1(VALU_DEP_1)
	v_mad_u64_u32 v[2:3], null, v8, s10, v[0:1]
	v_mad_u64_u32 v[3:4], null, v8, s11, v[1:2]
	s_delay_alu instid0(VALU_DEP_1)
	v_dual_mov_b32 v0, v2 :: v_dual_mov_b32 v1, v3
.LBB21_290:
	v_cmp_gt_i16_e32 vcc_lo, 11, v6
	s_waitcnt lgkmcnt(0)
	s_delay_alu instid0(VALU_DEP_2) | instskip(NEXT) | instid1(VALU_DEP_1)
	v_add_co_u32 v1, s2, s6, v1
	v_add_co_ci_u32_e64 v2, null, s7, 0, s2
	s_mov_b32 s2, 0
	s_cbranch_vccnz .LBB21_297
; %bb.291:
	v_cmp_lt_i16_e32 vcc_lo, 25, v6
	s_cbranch_vccz .LBB21_358
; %bb.292:
	v_cmp_lt_i16_e32 vcc_lo, 28, v6
	s_cbranch_vccz .LBB21_359
	;; [unrolled: 3-line block ×4, first 2 shown]
; %bb.295:
	v_cmp_eq_u16_e32 vcc_lo, 46, v6
	s_mov_b32 s3, 0
	s_cbranch_vccz .LBB21_367
; %bb.296:
	global_load_b32 v3, v[1:2], off
	s_mov_b32 s2, -1
	s_mov_b32 s22, 0
	s_waitcnt vmcnt(0)
	v_lshlrev_b32_e32 v3, 16, v3
	s_branch .LBB21_369
.LBB21_297:
	s_mov_b32 s22, s35
                                        ; implicit-def: $vgpr3
	s_cbranch_execnz .LBB21_506
.LBB21_298:
	s_and_not1_b32 vcc_lo, exec_lo, s2
	s_cbranch_vccnz .LBB21_554
.LBB21_299:
	v_mov_b32_e32 v1, 0x7f800000
	s_mov_b32 s23, exec_lo
	s_waitcnt vmcnt(0)
	s_delay_alu instid0(VALU_DEP_2)
	v_cmpx_neq_f32_e32 0, v3
	s_cbranch_execz .LBB21_311
; %bb.300:
	v_mov_b32_e32 v1, 0x7fc00000
	s_mov_b32 s37, exec_lo
	v_cmpx_ngt_f32_e32 0, v3
	s_cbranch_execz .LBB21_310
; %bb.301:
                                        ; implicit-def: $vgpr1
	s_mov_b32 s2, exec_lo
	v_cmpx_ge_f32_e32 2.0, v3
	s_xor_b32 s38, exec_lo, s2
	s_cbranch_execz .LBB21_307
; %bb.302:
	v_mul_f32_e32 v1, 0.5, v3
	s_mov_b32 s2, exec_lo
                                        ; implicit-def: $vgpr4
                                        ; implicit-def: $vgpr2
	v_cmpx_ge_f32_e32 0x41000000, v3
	s_xor_b32 s2, exec_lo, s2
	s_cbranch_execz .LBB21_304
; %bb.303:
	v_dual_add_f32 v2, -2.0, v1 :: v_dual_mul_f32 v9, 0x3fb8aa3b, v3
	s_mov_b32 s3, 0x224cf950
	v_cmp_ngt_f32_e32 vcc_lo, 0xc2ce8ed0, v3
	s_delay_alu instid0(VALU_DEP_2) | instskip(SKIP_1) | instid1(VALU_DEP_2)
	v_rndne_f32_e32 v10, v9
	v_fma_f32 v11, 0x3fb8aa3b, v3, -v9
	v_sub_f32_e32 v9, v9, v10
	s_delay_alu instid0(VALU_DEP_2) | instskip(NEXT) | instid1(VALU_DEP_1)
	v_fmamk_f32 v11, v3, 0x32a5705f, v11
	v_dual_fmaak_f32 v4, s3, v2, 0xa3c2be86 :: v_dual_add_f32 v9, v9, v11
	s_delay_alu instid0(VALU_DEP_1) | instskip(NEXT) | instid1(VALU_DEP_1)
	v_fmaak_f32 v8, v2, v4, 0xa24cf950
	v_add_f32_e32 v8, 0x25331f1f, v8
	s_delay_alu instid0(VALU_DEP_1) | instskip(NEXT) | instid1(VALU_DEP_1)
	v_fma_f32 v4, v2, v8, -v4
	v_add_f32_e32 v4, 0xa69f5554, v4
	s_delay_alu instid0(VALU_DEP_1) | instskip(NEXT) | instid1(VALU_DEP_1)
	v_fma_f32 v8, v2, v4, -v8
	;; [unrolled: 3-line block ×25, first 2 shown]
	v_add_f32_e32 v4, 0xbe34a688, v4
	s_delay_alu instid0(VALU_DEP_1) | instskip(SKIP_2) | instid1(VALU_DEP_2)
	v_fma_f32 v2, v2, v4, -v8
	v_exp_f32_e32 v4, v9
	v_cvt_i32_f32_e32 v9, v10
	v_add_f32_e32 v2, 0x3e81531c, v2
	s_delay_alu instid0(VALU_DEP_1) | instskip(SKIP_3) | instid1(VALU_DEP_2)
	v_sub_f32_e32 v2, v2, v8
	s_waitcnt_depctr 0xfff
	v_ldexp_f32 v4, v4, v9
	v_mul_f32_e32 v2, 0.5, v2
	v_cndmask_b32_e32 v4, 0, v4, vcc_lo
	v_cmp_nlt_f32_e32 vcc_lo, 0x42b17218, v3
	s_delay_alu instid0(VALU_DEP_3) | instskip(NEXT) | instid1(VALU_DEP_3)
	v_mul_f32_e32 v8, v3, v2
	v_cndmask_b32_e32 v2, 0x7f800000, v4, vcc_lo
	s_delay_alu instid0(VALU_DEP_1)
	v_mul_f32_e32 v4, v2, v8
.LBB21_304:
	s_and_not1_saveexec_b32 s3, s2
	s_cbranch_execz .LBB21_306
; %bb.305:
	v_div_scale_f32 v2, null, v3, v3, 0x42000000
	v_div_scale_f32 v9, vcc_lo, 0x42000000, v3, 0x42000000
	s_mov_b32 s2, 0x230aab6e
	s_delay_alu instid0(VALU_DEP_2) | instskip(SKIP_2) | instid1(VALU_DEP_1)
	v_rcp_f32_e32 v4, v2
	s_waitcnt_depctr 0xfff
	v_fma_f32 v8, -v2, v4, 1.0
	v_fmac_f32_e32 v4, v8, v4
	s_delay_alu instid0(VALU_DEP_1) | instskip(NEXT) | instid1(VALU_DEP_1)
	v_mul_f32_e32 v8, v9, v4
	v_fma_f32 v10, -v2, v8, v9
	s_delay_alu instid0(VALU_DEP_1) | instskip(SKIP_1) | instid1(VALU_DEP_2)
	v_fmac_f32_e32 v8, v10, v4
	v_mul_f32_e32 v10, 0x3fb8aa3b, v3
	v_fma_f32 v2, -v2, v8, v9
	v_mul_f32_e32 v9, 0x4f800000, v3
	s_delay_alu instid0(VALU_DEP_3) | instskip(SKIP_1) | instid1(VALU_DEP_4)
	v_rndne_f32_e32 v11, v10
	v_fma_f32 v12, 0x3fb8aa3b, v3, -v10
	v_div_fmas_f32 v2, v2, v4, v8
	v_cmp_gt_f32_e32 vcc_lo, 0xf800000, v3
	s_delay_alu instid0(VALU_DEP_4) | instskip(NEXT) | instid1(VALU_DEP_4)
	v_sub_f32_e32 v10, v10, v11
	v_fmamk_f32 v12, v3, 0x32a5705f, v12
	v_cvt_i32_f32_e32 v11, v11
	v_div_fixup_f32 v2, v2, v3, 0x42000000
	s_delay_alu instid0(VALU_DEP_3) | instskip(NEXT) | instid1(VALU_DEP_2)
	v_dual_cndmask_b32 v9, v3, v9 :: v_dual_add_f32 v10, v10, v12
	v_add_f32_e32 v2, -2.0, v2
	s_delay_alu instid0(VALU_DEP_2) | instskip(NEXT) | instid1(VALU_DEP_2)
	v_sqrt_f32_e32 v13, v9
	v_exp_f32_e32 v10, v10
	s_delay_alu instid0(VALU_DEP_1) | instskip(NEXT) | instid1(VALU_DEP_1)
	v_fmaak_f32 v4, s2, v2, 0x22a2dc57
	v_fmaak_f32 v8, v2, v4, 0xa30aab6e
	s_waitcnt_depctr 0xfff
	v_add_nc_u32_e32 v12, -1, v13
	v_add_nc_u32_e32 v14, 1, v13
	v_add_f32_e32 v8, 0xa456751e, v8
	s_delay_alu instid0(VALU_DEP_3) | instskip(NEXT) | instid1(VALU_DEP_3)
	v_fma_f32 v15, -v12, v13, v9
	v_fma_f32 v16, -v14, v13, v9
	s_delay_alu instid0(VALU_DEP_3) | instskip(NEXT) | instid1(VALU_DEP_3)
	v_fma_f32 v4, v2, v8, -v4
	v_cmp_ge_f32_e64 s2, 0, v15
	s_delay_alu instid0(VALU_DEP_2) | instskip(NEXT) | instid1(VALU_DEP_2)
	v_add_f32_e32 v4, 0xa4140365, v4
	v_cndmask_b32_e64 v12, v13, v12, s2
	v_cmp_lt_f32_e64 s2, 0, v16
	s_delay_alu instid0(VALU_DEP_3) | instskip(NEXT) | instid1(VALU_DEP_1)
	v_fma_f32 v8, v2, v4, -v8
	v_add_f32_e32 v8, 0x25aac8b0, v8
	s_delay_alu instid0(VALU_DEP_1) | instskip(NEXT) | instid1(VALU_DEP_1)
	v_fma_f32 v4, v2, v8, -v4
	v_add_f32_e32 v4, 0x25beb473, v4
	s_delay_alu instid0(VALU_DEP_1) | instskip(NEXT) | instid1(VALU_DEP_1)
	;; [unrolled: 3-line block ×19, first 2 shown]
	v_fma_f32 v4, v2, v8, -v4
	v_add_f32_e32 v4, 0xbc1fed03, v4
	s_delay_alu instid0(VALU_DEP_1) | instskip(SKIP_3) | instid1(VALU_DEP_4)
	v_fma_f32 v2, v2, v4, -v8
	v_ldexp_f32 v4, v10, v11
	v_cndmask_b32_e64 v10, v12, v14, s2
	v_cmp_ngt_f32_e64 s2, 0xc2ce8ed0, v3
	v_add_f32_e32 v2, 0x3f4750c6, v2
	s_delay_alu instid0(VALU_DEP_3) | instskip(NEXT) | instid1(VALU_DEP_3)
	v_mul_f32_e32 v11, 0x37800000, v10
	v_cndmask_b32_e64 v4, 0, v4, s2
	v_cmp_nlt_f32_e64 s2, 0x42b17218, v3
	s_delay_alu instid0(VALU_DEP_4) | instskip(NEXT) | instid1(VALU_DEP_2)
	v_sub_f32_e32 v8, v2, v8
	v_cndmask_b32_e64 v2, 0x7f800000, v4, s2
	v_cndmask_b32_e32 v4, v10, v11, vcc_lo
	s_delay_alu instid0(VALU_DEP_3) | instskip(SKIP_1) | instid1(VALU_DEP_2)
	v_mul_f32_e32 v8, 0.5, v8
	v_cmp_class_f32_e64 vcc_lo, v9, 0x260
	v_mul_f32_e32 v8, v2, v8
	s_delay_alu instid0(VALU_DEP_4) | instskip(NEXT) | instid1(VALU_DEP_1)
	v_cndmask_b32_e32 v4, v4, v9, vcc_lo
	v_div_scale_f32 v9, null, v4, v4, v8
	s_delay_alu instid0(VALU_DEP_1) | instskip(SKIP_2) | instid1(VALU_DEP_1)
	v_rcp_f32_e32 v10, v9
	s_waitcnt_depctr 0xfff
	v_fma_f32 v11, -v9, v10, 1.0
	v_fmac_f32_e32 v10, v11, v10
	v_div_scale_f32 v11, vcc_lo, v8, v4, v8
	s_delay_alu instid0(VALU_DEP_1) | instskip(NEXT) | instid1(VALU_DEP_1)
	v_mul_f32_e32 v12, v11, v10
	v_fma_f32 v13, -v9, v12, v11
	s_delay_alu instid0(VALU_DEP_1) | instskip(NEXT) | instid1(VALU_DEP_1)
	v_fmac_f32_e32 v12, v13, v10
	v_fma_f32 v9, -v9, v12, v11
	s_delay_alu instid0(VALU_DEP_1) | instskip(NEXT) | instid1(VALU_DEP_1)
	v_div_fmas_f32 v9, v9, v10, v12
	v_div_fixup_f32 v4, v9, v4, v8
.LBB21_306:
	s_or_b32 exec_lo, exec_lo, s3
	v_fma_f32 v8, v3, v3, -2.0
	s_mov_b32 s2, 0xa3019142
	v_cmp_gt_f32_e32 vcc_lo, 0x800000, v1
	s_delay_alu instid0(VALU_DEP_2) | instskip(NEXT) | instid1(VALU_DEP_1)
	v_fmaak_f32 v9, s2, v8, 0xa72eea8c
	v_fmaak_f32 v10, v8, v9, 0x23019142
	s_delay_alu instid0(VALU_DEP_1) | instskip(NEXT) | instid1(VALU_DEP_1)
	v_add_f32_e32 v10, 0xab3ba817, v10
	v_fma_f32 v9, v8, v10, -v9
	s_delay_alu instid0(VALU_DEP_1) | instskip(NEXT) | instid1(VALU_DEP_1)
	v_add_f32_e32 v9, 0xaf1b31de, v9
	v_fma_f32 v10, v8, v9, -v10
	;; [unrolled: 3-line block ×8, first 2 shown]
	s_delay_alu instid0(VALU_DEP_1) | instskip(NEXT) | instid1(VALU_DEP_1)
	v_add_f32_e32 v8, 0x3fc33d0a, v8
	v_sub_f32_e32 v8, v8, v10
	v_cndmask_b32_e64 v10, 1.0, 0x4f800000, vcc_lo
	s_delay_alu instid0(VALU_DEP_1) | instskip(NEXT) | instid1(VALU_DEP_1)
	v_dual_mul_f32 v8, 0.5, v8 :: v_dual_mul_f32 v1, v1, v10
	v_div_scale_f32 v9, null, v3, v3, v8
	s_delay_alu instid0(VALU_DEP_2) | instskip(SKIP_1) | instid1(VALU_DEP_2)
	v_log_f32_e32 v1, v1
	v_div_scale_f32 v12, s2, v8, v3, v8
	v_rcp_f32_e32 v11, v9
	s_waitcnt_depctr 0xfff
	v_cmp_gt_f32_e64 s3, 0x7f800000, |v1|
	v_fma_f32 v10, -v9, v11, 1.0
	s_delay_alu instid0(VALU_DEP_1) | instskip(NEXT) | instid1(VALU_DEP_1)
	v_dual_fmac_f32 v11, v10, v11 :: v_dual_mul_f32 v10, 0x3f317217, v1
	v_mul_f32_e32 v13, v12, v11
	s_delay_alu instid0(VALU_DEP_2) | instskip(NEXT) | instid1(VALU_DEP_2)
	v_fma_f32 v14, 0x3f317217, v1, -v10
	v_fma_f32 v15, -v9, v13, v12
	s_delay_alu instid0(VALU_DEP_1) | instskip(NEXT) | instid1(VALU_DEP_1)
	v_dual_fmamk_f32 v14, v1, 0x3377d1cf, v14 :: v_dual_fmac_f32 v13, v15, v11
	v_add_f32_e32 v10, v10, v14
	s_delay_alu instid0(VALU_DEP_2) | instskip(NEXT) | instid1(VALU_DEP_2)
	v_fma_f32 v9, -v9, v13, v12
	v_cndmask_b32_e64 v1, v1, v10, s3
	v_cndmask_b32_e64 v10, 0, 0x41b17218, vcc_lo
	s_mov_b32 vcc_lo, s2
	s_delay_alu instid0(VALU_DEP_3) | instskip(NEXT) | instid1(VALU_DEP_2)
	v_div_fmas_f32 v9, v9, v11, v13
	v_sub_f32_e32 v1, v1, v10
	s_delay_alu instid0(VALU_DEP_2) | instskip(NEXT) | instid1(VALU_DEP_1)
	v_div_fixup_f32 v3, v9, v3, v8
	v_fmac_f32_e32 v3, v1, v4
	s_delay_alu instid0(VALU_DEP_1)
	v_mul_f32_e32 v1, v2, v3
                                        ; implicit-def: $vgpr3
.LBB21_307:
	s_and_not1_saveexec_b32 s3, s38
	s_cbranch_execz .LBB21_309
; %bb.308:
	v_div_scale_f32 v1, null, v3, v3, 0x41000000
	v_div_scale_f32 v8, vcc_lo, 0x41000000, v3, 0x41000000
	s_mov_b32 s2, 0xa2d462ea
	s_delay_alu instid0(VALU_DEP_2) | instskip(SKIP_2) | instid1(VALU_DEP_1)
	v_rcp_f32_e32 v2, v1
	s_waitcnt_depctr 0xfff
	v_fma_f32 v4, -v1, v2, 1.0
	v_fmac_f32_e32 v2, v4, v2
	s_delay_alu instid0(VALU_DEP_1) | instskip(NEXT) | instid1(VALU_DEP_1)
	v_mul_f32_e32 v4, v8, v2
	v_fma_f32 v9, -v1, v4, v8
	s_delay_alu instid0(VALU_DEP_1) | instskip(NEXT) | instid1(VALU_DEP_1)
	v_fmac_f32_e32 v4, v9, v2
	v_fma_f32 v1, -v1, v4, v8
	v_mul_f32_e32 v8, 0x4f800000, v3
	s_delay_alu instid0(VALU_DEP_2) | instskip(SKIP_1) | instid1(VALU_DEP_2)
	v_div_fmas_f32 v1, v1, v2, v4
	v_cmp_gt_f32_e32 vcc_lo, 0xf800000, v3
	v_div_fixup_f32 v1, v1, v3, 0x41000000
	s_delay_alu instid0(VALU_DEP_4) | instskip(NEXT) | instid1(VALU_DEP_2)
	v_cndmask_b32_e32 v3, v3, v8, vcc_lo
	v_add_f32_e32 v1, -2.0, v1
	s_delay_alu instid0(VALU_DEP_2) | instskip(NEXT) | instid1(VALU_DEP_1)
	v_sqrt_f32_e32 v8, v3
	v_fmaak_f32 v2, s2, v1, 0x23a578d4
	s_waitcnt_depctr 0xfff
	v_dual_fmaak_f32 v4, v1, v2, 0x22d462ea :: v_dual_add_nc_u32 v9, -1, v8
	s_delay_alu instid0(VALU_DEP_1) | instskip(NEXT) | instid1(VALU_DEP_2)
	v_add_f32_e32 v4, 0xa48330a9, v4
	v_fma_f32 v11, -v9, v8, v3
	s_delay_alu instid0(VALU_DEP_2) | instskip(NEXT) | instid1(VALU_DEP_2)
	v_fma_f32 v2, v1, v4, -v2
	v_cmp_ge_f32_e64 s2, 0, v11
	s_delay_alu instid0(VALU_DEP_2) | instskip(NEXT) | instid1(VALU_DEP_1)
	v_add_f32_e32 v2, 0x2553eaf2, v2
	v_fma_f32 v4, v1, v2, -v4
	s_delay_alu instid0(VALU_DEP_1) | instskip(NEXT) | instid1(VALU_DEP_1)
	v_add_f32_e32 v4, 0xa62e951f, v4
	v_fma_f32 v2, v1, v4, -v2
	s_delay_alu instid0(VALU_DEP_1) | instskip(NEXT) | instid1(VALU_DEP_1)
	;; [unrolled: 3-line block ×21, first 2 shown]
	v_dual_add_f32 v1, 0x402e1ebd, v1 :: v_dual_add_nc_u32 v10, 1, v8
	v_fma_f32 v12, -v10, v8, v3
	v_cndmask_b32_e64 v8, v8, v9, s2
	s_delay_alu instid0(VALU_DEP_3) | instskip(NEXT) | instid1(VALU_DEP_3)
	v_sub_f32_e32 v1, v1, v4
	v_cmp_lt_f32_e64 s2, 0, v12
	s_delay_alu instid0(VALU_DEP_2) | instskip(NEXT) | instid1(VALU_DEP_2)
	v_mul_f32_e32 v1, 0.5, v1
	v_cndmask_b32_e64 v8, v8, v10, s2
	s_delay_alu instid0(VALU_DEP_1) | instskip(NEXT) | instid1(VALU_DEP_1)
	v_mul_f32_e32 v2, 0x37800000, v8
	v_cndmask_b32_e32 v2, v8, v2, vcc_lo
	v_cmp_class_f32_e64 vcc_lo, v3, 0x260
	s_delay_alu instid0(VALU_DEP_2) | instskip(NEXT) | instid1(VALU_DEP_1)
	v_cndmask_b32_e32 v2, v2, v3, vcc_lo
	v_div_scale_f32 v3, null, v2, v2, v1
	s_delay_alu instid0(VALU_DEP_1) | instskip(SKIP_2) | instid1(VALU_DEP_1)
	v_rcp_f32_e32 v4, v3
	s_waitcnt_depctr 0xfff
	v_fma_f32 v8, -v3, v4, 1.0
	v_fmac_f32_e32 v4, v8, v4
	v_div_scale_f32 v8, vcc_lo, v1, v2, v1
	s_delay_alu instid0(VALU_DEP_1) | instskip(NEXT) | instid1(VALU_DEP_1)
	v_mul_f32_e32 v9, v8, v4
	v_fma_f32 v10, -v3, v9, v8
	s_delay_alu instid0(VALU_DEP_1) | instskip(NEXT) | instid1(VALU_DEP_1)
	v_fmac_f32_e32 v9, v10, v4
	v_fma_f32 v3, -v3, v9, v8
	s_delay_alu instid0(VALU_DEP_1) | instskip(NEXT) | instid1(VALU_DEP_1)
	v_div_fmas_f32 v3, v3, v4, v9
	v_div_fixup_f32 v1, v3, v2, v1
.LBB21_309:
	s_or_b32 exec_lo, exec_lo, s3
.LBB21_310:
	s_delay_alu instid0(SALU_CYCLE_1)
	s_or_b32 exec_lo, exec_lo, s37
.LBB21_311:
	s_delay_alu instid0(SALU_CYCLE_1) | instskip(SKIP_2) | instid1(VALU_DEP_1)
	s_or_b32 exec_lo, exec_lo, s23
	v_and_b32_e32 v8, 0xff, v5
	v_add_co_u32 v3, s2, s4, v0
	v_add_co_ci_u32_e64 v4, null, s5, 0, s2
	s_delay_alu instid0(VALU_DEP_3)
	v_cmp_gt_i16_e32 vcc_lo, 11, v8
	s_mov_b32 s3, 0
	s_mov_b32 s23, -1
	s_mov_b32 s2, s34
	s_cbranch_vccnz .LBB21_318
; %bb.312:
	v_cmp_lt_i16_e32 vcc_lo, 25, v8
	s_cbranch_vccz .LBB21_360
; %bb.313:
	v_cmp_lt_i16_e32 vcc_lo, 28, v8
	s_cbranch_vccz .LBB21_362
	;; [unrolled: 3-line block ×4, first 2 shown]
; %bb.316:
	v_cmp_eq_u16_e32 vcc_lo, 46, v8
	s_mov_b32 s23, 0
	s_mov_b32 s2, -1
	s_cbranch_vccz .LBB21_373
; %bb.317:
	v_bfe_u32 v0, v1, 16, 1
	v_cmp_o_f32_e32 vcc_lo, v1, v1
	s_mov_b32 s3, -1
	s_mov_b32 s2, 0
	s_delay_alu instid0(VALU_DEP_2) | instskip(NEXT) | instid1(VALU_DEP_1)
	v_add3_u32 v0, v1, v0, 0x7fff
	v_lshrrev_b32_e32 v0, 16, v0
	s_delay_alu instid0(VALU_DEP_1)
	v_cndmask_b32_e32 v0, 0x7fc0, v0, vcc_lo
	global_store_b32 v[3:4], v0, off
	s_branch .LBB21_373
.LBB21_318:
	s_and_b32 vcc_lo, exec_lo, s23
	s_cbranch_vccz .LBB21_442
; %bb.319:
	v_cmp_gt_i16_e32 vcc_lo, 5, v8
	s_mov_b32 s3, -1
	s_cbranch_vccnz .LBB21_340
; %bb.320:
	v_cmp_gt_i16_e32 vcc_lo, 8, v8
	s_cbranch_vccnz .LBB21_330
; %bb.321:
	v_cmp_gt_i16_e32 vcc_lo, 9, v8
	s_cbranch_vccnz .LBB21_327
; %bb.322:
	v_cmp_lt_i16_e32 vcc_lo, 9, v8
	s_cbranch_vccz .LBB21_324
; %bb.323:
	v_cvt_f64_f32_e32 v[9:10], v1
	v_mov_b32_e32 v11, 0
	s_mov_b32 s3, 0
	s_delay_alu instid0(VALU_DEP_1)
	v_mov_b32_e32 v12, v11
	global_store_b128 v[3:4], v[9:12], off
.LBB21_324:
	s_and_not1_b32 vcc_lo, exec_lo, s3
	s_cbranch_vccnz .LBB21_326
; %bb.325:
	v_mov_b32_e32 v2, 0
	global_store_b64 v[3:4], v[1:2], off
.LBB21_326:
	s_mov_b32 s3, 0
.LBB21_327:
	s_delay_alu instid0(SALU_CYCLE_1)
	s_and_not1_b32 vcc_lo, exec_lo, s3
	s_cbranch_vccnz .LBB21_329
; %bb.328:
	v_cvt_f16_f32_e32 v0, v1
	s_delay_alu instid0(VALU_DEP_1)
	v_and_b32_e32 v0, 0xffff, v0
	global_store_b32 v[3:4], v0, off
.LBB21_329:
	s_mov_b32 s3, 0
.LBB21_330:
	s_delay_alu instid0(SALU_CYCLE_1)
	s_and_not1_b32 vcc_lo, exec_lo, s3
	s_cbranch_vccnz .LBB21_339
; %bb.331:
	v_cmp_gt_i16_e32 vcc_lo, 6, v8
	s_mov_b32 s3, -1
	s_cbranch_vccnz .LBB21_337
; %bb.332:
	v_cmp_lt_i16_e32 vcc_lo, 6, v8
	s_cbranch_vccz .LBB21_334
; %bb.333:
	v_cvt_f64_f32_e32 v[9:10], v1
	s_mov_b32 s3, 0
	global_store_b64 v[3:4], v[9:10], off
.LBB21_334:
	s_and_not1_b32 vcc_lo, exec_lo, s3
	s_cbranch_vccnz .LBB21_336
; %bb.335:
	global_store_b32 v[3:4], v1, off
.LBB21_336:
	s_mov_b32 s3, 0
.LBB21_337:
	s_delay_alu instid0(SALU_CYCLE_1)
	s_and_not1_b32 vcc_lo, exec_lo, s3
	s_cbranch_vccnz .LBB21_339
; %bb.338:
	v_cvt_f16_f32_e32 v0, v1
	global_store_b16 v[3:4], v0, off
.LBB21_339:
	s_mov_b32 s3, 0
.LBB21_340:
	s_delay_alu instid0(SALU_CYCLE_1)
	s_and_not1_b32 vcc_lo, exec_lo, s3
	s_cbranch_vccnz .LBB21_356
; %bb.341:
	v_cmp_gt_i16_e32 vcc_lo, 2, v8
	s_mov_b32 s3, -1
	s_cbranch_vccnz .LBB21_351
; %bb.342:
	v_cmp_gt_i16_e32 vcc_lo, 3, v8
	s_cbranch_vccnz .LBB21_348
; %bb.343:
	v_cmp_lt_i16_e32 vcc_lo, 3, v8
	s_cbranch_vccz .LBB21_345
; %bb.344:
	v_trunc_f32_e32 v0, v1
	s_mov_b32 s3, 0
	s_delay_alu instid0(VALU_DEP_1) | instskip(NEXT) | instid1(VALU_DEP_1)
	v_mul_f32_e64 v2, 0x2f800000, |v0|
	v_floor_f32_e32 v2, v2
	s_delay_alu instid0(VALU_DEP_1) | instskip(SKIP_2) | instid1(VALU_DEP_3)
	v_fma_f32 v9, 0xcf800000, v2, |v0|
	v_ashrrev_i32_e32 v0, 31, v0
	v_cvt_u32_f32_e32 v2, v2
	v_cvt_u32_f32_e32 v9, v9
	s_delay_alu instid0(VALU_DEP_2) | instskip(NEXT) | instid1(VALU_DEP_2)
	v_xor_b32_e32 v2, v2, v0
	v_xor_b32_e32 v9, v9, v0
	s_delay_alu instid0(VALU_DEP_1) | instskip(NEXT) | instid1(VALU_DEP_3)
	v_sub_co_u32 v9, vcc_lo, v9, v0
	v_sub_co_ci_u32_e32 v10, vcc_lo, v2, v0, vcc_lo
	global_store_b64 v[3:4], v[9:10], off
.LBB21_345:
	s_and_not1_b32 vcc_lo, exec_lo, s3
	s_cbranch_vccnz .LBB21_347
; %bb.346:
	v_cvt_i32_f32_e32 v0, v1
	global_store_b32 v[3:4], v0, off
.LBB21_347:
	s_mov_b32 s3, 0
.LBB21_348:
	s_delay_alu instid0(SALU_CYCLE_1)
	s_and_not1_b32 vcc_lo, exec_lo, s3
	s_cbranch_vccnz .LBB21_350
; %bb.349:
	v_cvt_i32_f32_e32 v0, v1
	global_store_b16 v[3:4], v0, off
.LBB21_350:
	s_mov_b32 s3, 0
.LBB21_351:
	s_delay_alu instid0(SALU_CYCLE_1)
	s_and_not1_b32 vcc_lo, exec_lo, s3
	s_cbranch_vccnz .LBB21_356
; %bb.352:
	v_cmp_lt_i16_e32 vcc_lo, 0, v8
	s_mov_b32 s3, -1
	s_cbranch_vccz .LBB21_354
; %bb.353:
	v_cvt_i32_f32_e32 v0, v1
	s_mov_b32 s3, 0
	global_store_b8 v[3:4], v0, off
.LBB21_354:
	s_and_not1_b32 vcc_lo, exec_lo, s3
	s_cbranch_vccnz .LBB21_356
; %bb.355:
	v_trunc_f32_e32 v0, v1
	s_delay_alu instid0(VALU_DEP_1) | instskip(NEXT) | instid1(VALU_DEP_1)
	v_mul_f32_e64 v1, 0x2f800000, |v0|
	v_floor_f32_e32 v1, v1
	s_delay_alu instid0(VALU_DEP_1) | instskip(SKIP_1) | instid1(VALU_DEP_2)
	v_fma_f32 v1, 0xcf800000, v1, |v0|
	v_ashrrev_i32_e32 v0, 31, v0
	v_cvt_u32_f32_e32 v1, v1
	s_delay_alu instid0(VALU_DEP_1) | instskip(NEXT) | instid1(VALU_DEP_1)
	v_xor_b32_e32 v1, v1, v0
	v_sub_nc_u32_e32 v0, v1, v0
	global_store_b8 v[3:4], v0, off
.LBB21_356:
	s_branch .LBB21_443
.LBB21_357:
	s_mov_b32 s3, 0
	s_branch .LBB21_555
.LBB21_358:
	s_mov_b32 s3, -1
	s_mov_b32 s22, s35
                                        ; implicit-def: $vgpr3
	s_branch .LBB21_470
.LBB21_359:
	s_mov_b32 s3, -1
	s_mov_b32 s22, s35
                                        ; implicit-def: $vgpr3
	s_branch .LBB21_451
.LBB21_360:
	s_mov_b32 s2, s34
	s_branch .LBB21_400
.LBB21_361:
	s_mov_b32 s3, -1
	s_mov_b32 s22, s35
                                        ; implicit-def: $vgpr3
	s_branch .LBB21_446
.LBB21_362:
	s_mov_b32 s2, s34
	s_branch .LBB21_383
.LBB21_363:
	s_mov_b32 s3, -1
	s_mov_b32 s22, s35
	s_branch .LBB21_368
.LBB21_364:
	s_mov_b32 s2, s34
	s_branch .LBB21_379
.LBB21_365:
	s_or_saveexec_b32 s34, s34
                                        ; implicit-def: $sgpr35
	s_delay_alu instid0(SALU_CYCLE_1)
	s_xor_b32 exec_lo, exec_lo, s34
	s_cbranch_execz .LBB21_77
.LBB21_366:
	v_add_f32_e64 v0, 0x42800000, |v1|
	s_and_not1_b32 s23, s23, exec_lo
	s_mov_b32 s35, 0
	s_delay_alu instid0(VALU_DEP_1) | instskip(NEXT) | instid1(VALU_DEP_1)
	v_and_b32_e32 v0, 0xff, v0
	v_cmp_ne_u32_e32 vcc_lo, 0, v0
	s_and_b32 s38, vcc_lo, exec_lo
	s_delay_alu instid0(SALU_CYCLE_1)
	s_or_b32 s23, s23, s38
	s_or_b32 exec_lo, exec_lo, s34
	v_mov_b32_e32 v2, s35
	s_and_saveexec_b32 s34, s23
	s_cbranch_execnz .LBB21_78
	s_branch .LBB21_79
.LBB21_367:
	s_mov_b32 s22, -1
.LBB21_368:
                                        ; implicit-def: $vgpr3
.LBB21_369:
	s_and_b32 vcc_lo, exec_lo, s3
	s_cbranch_vccz .LBB21_445
; %bb.370:
	v_cmp_eq_u16_e32 vcc_lo, 44, v6
	s_cbranch_vccz .LBB21_444
; %bb.371:
	global_load_u8 v3, v[1:2], off
	s_mov_b32 s22, 0
	s_mov_b32 s2, -1
	s_waitcnt vmcnt(0)
	v_lshlrev_b32_e32 v4, 23, v3
	v_cmp_ne_u32_e32 vcc_lo, 0xff, v3
	s_delay_alu instid0(VALU_DEP_2) | instskip(SKIP_1) | instid1(VALU_DEP_2)
	v_cndmask_b32_e32 v4, 0x7f800001, v4, vcc_lo
	v_cmp_ne_u32_e32 vcc_lo, 0, v3
	v_cndmask_b32_e32 v3, 0x400000, v4, vcc_lo
	s_branch .LBB21_445
.LBB21_372:
	s_mov_b32 s2, s34
.LBB21_373:
	s_and_b32 vcc_lo, exec_lo, s23
	s_cbranch_vccz .LBB21_378
; %bb.374:
	v_cmp_eq_u16_e32 vcc_lo, 44, v8
	s_mov_b32 s2, -1
	s_cbranch_vccz .LBB21_378
; %bb.375:
	v_bfe_u32 v2, v1, 23, 8
	v_mov_b32_e32 v0, 0xff
	s_mov_b32 s3, exec_lo
	s_delay_alu instid0(VALU_DEP_2)
	v_cmpx_ne_u32_e32 0xff, v2
; %bb.376:
	v_and_b32_e32 v0, 0x400000, v1
	v_and_or_b32 v2, 0x3fffff, v1, v2
	s_delay_alu instid0(VALU_DEP_2) | instskip(NEXT) | instid1(VALU_DEP_2)
	v_cmp_ne_u32_e32 vcc_lo, 0, v0
	v_cmp_ne_u32_e64 s2, 0, v2
	v_lshrrev_b32_e32 v0, 23, v1
	s_delay_alu instid0(VALU_DEP_2) | instskip(NEXT) | instid1(SALU_CYCLE_1)
	s_and_b32 s2, vcc_lo, s2
	v_cndmask_b32_e64 v2, 0, 1, s2
	s_delay_alu instid0(VALU_DEP_1)
	v_add_nc_u32_e32 v0, v0, v2
; %bb.377:
	s_or_b32 exec_lo, exec_lo, s3
	s_mov_b32 s3, -1
	s_mov_b32 s2, 0
	global_store_b8 v[3:4], v0, off
.LBB21_378:
	s_mov_b32 s23, 0
.LBB21_379:
	s_delay_alu instid0(SALU_CYCLE_1)
	s_and_b32 vcc_lo, exec_lo, s23
	s_cbranch_vccz .LBB21_382
; %bb.380:
	v_cmp_eq_u16_e32 vcc_lo, 29, v8
	s_mov_b32 s2, -1
	s_cbranch_vccz .LBB21_382
; %bb.381:
	v_trunc_f32_e32 v0, v1
	s_mov_b32 s3, -1
	s_mov_b32 s2, 0
	s_mov_b32 s23, 0
	s_delay_alu instid0(VALU_DEP_1) | instskip(NEXT) | instid1(VALU_DEP_1)
	v_mul_f32_e32 v2, 0x2f800000, v0
	v_floor_f32_e32 v2, v2
	s_delay_alu instid0(VALU_DEP_1) | instskip(SKIP_1) | instid1(VALU_DEP_2)
	v_fmamk_f32 v0, v2, 0xcf800000, v0
	v_cvt_u32_f32_e32 v10, v2
	v_cvt_u32_f32_e32 v9, v0
	global_store_b64 v[3:4], v[9:10], off
	s_branch .LBB21_383
.LBB21_382:
	s_mov_b32 s23, 0
.LBB21_383:
	s_delay_alu instid0(SALU_CYCLE_1)
	s_and_b32 vcc_lo, exec_lo, s23
	s_cbranch_vccz .LBB21_399
; %bb.384:
	v_cmp_gt_i16_e32 vcc_lo, 27, v8
	s_mov_b32 s3, -1
	s_cbranch_vccnz .LBB21_390
; %bb.385:
	v_cmp_lt_i16_e32 vcc_lo, 27, v8
	s_cbranch_vccz .LBB21_387
; %bb.386:
	v_cvt_u32_f32_e32 v0, v1
	s_mov_b32 s3, 0
	global_store_b32 v[3:4], v0, off
.LBB21_387:
	s_and_not1_b32 vcc_lo, exec_lo, s3
	s_cbranch_vccnz .LBB21_389
; %bb.388:
	v_cvt_u32_f32_e32 v0, v1
	global_store_b16 v[3:4], v0, off
.LBB21_389:
	s_mov_b32 s3, 0
.LBB21_390:
	s_delay_alu instid0(SALU_CYCLE_1)
	s_and_not1_b32 vcc_lo, exec_lo, s3
	s_cbranch_vccnz .LBB21_398
; %bb.391:
	v_and_b32_e32 v0, 0x7fffffff, v1
	v_mov_b32_e32 v2, 0x80
	s_mov_b32 s3, exec_lo
	s_delay_alu instid0(VALU_DEP_2)
	v_cmpx_gt_u32_e32 0x43800000, v0
	s_cbranch_execz .LBB21_397
; %bb.392:
	v_cmp_lt_u32_e32 vcc_lo, 0x3bffffff, v0
	s_mov_b32 s23, 0
                                        ; implicit-def: $vgpr0
	s_and_saveexec_b32 s37, vcc_lo
	s_delay_alu instid0(SALU_CYCLE_1)
	s_xor_b32 s37, exec_lo, s37
	s_cbranch_execz .LBB21_583
; %bb.393:
	v_bfe_u32 v0, v1, 20, 1
	s_mov_b32 s23, exec_lo
	s_delay_alu instid0(VALU_DEP_1) | instskip(NEXT) | instid1(VALU_DEP_1)
	v_add3_u32 v0, v1, v0, 0x487ffff
	v_lshrrev_b32_e32 v0, 20, v0
	s_or_saveexec_b32 s37, s37
                                        ; implicit-def: $sgpr38
	s_delay_alu instid0(SALU_CYCLE_1)
	s_xor_b32 exec_lo, exec_lo, s37
	s_cbranch_execnz .LBB21_584
.LBB21_394:
	s_or_b32 exec_lo, exec_lo, s37
	v_mov_b32_e32 v2, s38
	s_and_saveexec_b32 s37, s23
.LBB21_395:
	v_lshrrev_b32_e32 v2, 24, v1
	s_delay_alu instid0(VALU_DEP_1)
	v_and_or_b32 v2, 0x80, v2, v0
.LBB21_396:
	s_or_b32 exec_lo, exec_lo, s37
.LBB21_397:
	s_delay_alu instid0(SALU_CYCLE_1)
	s_or_b32 exec_lo, exec_lo, s3
	global_store_b8 v[3:4], v2, off
.LBB21_398:
	s_mov_b32 s3, -1
.LBB21_399:
	s_mov_b32 s23, 0
.LBB21_400:
	s_delay_alu instid0(SALU_CYCLE_1)
	s_and_b32 vcc_lo, exec_lo, s23
	s_cbranch_vccz .LBB21_441
; %bb.401:
	v_cmp_lt_i16_e32 vcc_lo, 22, v8
	s_mov_b32 s23, -1
	s_cbranch_vccz .LBB21_433
; %bb.402:
	v_cmp_gt_i16_e32 vcc_lo, 24, v8
	s_mov_b32 s3, -1
	s_cbranch_vccnz .LBB21_422
; %bb.403:
	v_cmp_lt_i16_e32 vcc_lo, 24, v8
	s_cbranch_vccz .LBB21_411
; %bb.404:
	v_and_b32_e32 v0, 0x7fffffff, v1
	v_mov_b32_e32 v2, 0x80
	s_mov_b32 s3, exec_lo
	s_delay_alu instid0(VALU_DEP_2)
	v_cmpx_gt_u32_e32 0x47800000, v0
	s_cbranch_execz .LBB21_410
; %bb.405:
	v_cmp_lt_u32_e32 vcc_lo, 0x37ffffff, v0
	s_mov_b32 s23, 0
                                        ; implicit-def: $vgpr0
	s_and_saveexec_b32 s37, vcc_lo
	s_delay_alu instid0(SALU_CYCLE_1)
	s_xor_b32 s37, exec_lo, s37
	s_cbranch_execz .LBB21_586
; %bb.406:
	v_bfe_u32 v0, v1, 21, 1
	s_mov_b32 s23, exec_lo
	s_delay_alu instid0(VALU_DEP_1) | instskip(NEXT) | instid1(VALU_DEP_1)
	v_add3_u32 v0, v1, v0, 0x88fffff
	v_lshrrev_b32_e32 v0, 21, v0
	s_or_saveexec_b32 s37, s37
                                        ; implicit-def: $sgpr38
	s_delay_alu instid0(SALU_CYCLE_1)
	s_xor_b32 exec_lo, exec_lo, s37
	s_cbranch_execnz .LBB21_587
.LBB21_407:
	s_or_b32 exec_lo, exec_lo, s37
	v_mov_b32_e32 v2, s38
	s_and_saveexec_b32 s37, s23
.LBB21_408:
	v_lshrrev_b32_e32 v2, 24, v1
	s_delay_alu instid0(VALU_DEP_1)
	v_and_or_b32 v2, 0x80, v2, v0
.LBB21_409:
	s_or_b32 exec_lo, exec_lo, s37
.LBB21_410:
	s_delay_alu instid0(SALU_CYCLE_1)
	s_or_b32 exec_lo, exec_lo, s3
	s_mov_b32 s3, 0
	global_store_b8 v[3:4], v2, off
.LBB21_411:
	s_and_b32 vcc_lo, exec_lo, s3
	s_cbranch_vccz .LBB21_421
; %bb.412:
	v_and_b32_e32 v2, 0x7fffffff, v1
	s_mov_b32 s3, exec_lo
                                        ; implicit-def: $vgpr0
	s_delay_alu instid0(VALU_DEP_1)
	v_cmpx_gt_u32_e32 0x43f00000, v2
	s_xor_b32 s3, exec_lo, s3
	s_cbranch_execz .LBB21_418
; %bb.413:
	s_mov_b32 s23, exec_lo
                                        ; implicit-def: $vgpr0
	v_cmpx_lt_u32_e32 0x3c7fffff, v2
	s_xor_b32 s23, exec_lo, s23
; %bb.414:
	v_bfe_u32 v0, v1, 20, 1
	s_delay_alu instid0(VALU_DEP_1) | instskip(NEXT) | instid1(VALU_DEP_1)
	v_add3_u32 v0, v1, v0, 0x407ffff
	v_and_b32_e32 v2, 0xff00000, v0
	v_lshrrev_b32_e32 v0, 20, v0
	s_delay_alu instid0(VALU_DEP_2) | instskip(NEXT) | instid1(VALU_DEP_2)
	v_cmp_ne_u32_e32 vcc_lo, 0x7f00000, v2
	v_cndmask_b32_e32 v0, 0x7e, v0, vcc_lo
; %bb.415:
	s_and_not1_saveexec_b32 s23, s23
; %bb.416:
	v_add_f32_e64 v0, 0x46800000, |v1|
; %bb.417:
	s_or_b32 exec_lo, exec_lo, s23
                                        ; implicit-def: $vgpr2
.LBB21_418:
	s_and_not1_saveexec_b32 s3, s3
; %bb.419:
	v_mov_b32_e32 v0, 0x7f
	v_cmp_lt_u32_e32 vcc_lo, 0x7f800000, v2
	s_delay_alu instid0(VALU_DEP_2)
	v_cndmask_b32_e32 v0, 0x7e, v0, vcc_lo
; %bb.420:
	s_or_b32 exec_lo, exec_lo, s3
	v_lshrrev_b32_e32 v2, 24, v1
	s_delay_alu instid0(VALU_DEP_1)
	v_and_or_b32 v0, 0x80, v2, v0
	global_store_b8 v[3:4], v0, off
.LBB21_421:
	s_mov_b32 s3, 0
.LBB21_422:
	s_delay_alu instid0(SALU_CYCLE_1)
	s_and_not1_b32 vcc_lo, exec_lo, s3
	s_cbranch_vccnz .LBB21_432
; %bb.423:
	v_and_b32_e32 v2, 0x7fffffff, v1
	s_mov_b32 s3, exec_lo
                                        ; implicit-def: $vgpr0
	s_delay_alu instid0(VALU_DEP_1)
	v_cmpx_gt_u32_e32 0x47800000, v2
	s_xor_b32 s3, exec_lo, s3
	s_cbranch_execz .LBB21_429
; %bb.424:
	s_mov_b32 s23, exec_lo
                                        ; implicit-def: $vgpr0
	v_cmpx_lt_u32_e32 0x387fffff, v2
	s_xor_b32 s23, exec_lo, s23
; %bb.425:
	v_bfe_u32 v0, v1, 21, 1
	s_delay_alu instid0(VALU_DEP_1) | instskip(NEXT) | instid1(VALU_DEP_1)
	v_add3_u32 v0, v1, v0, 0x80fffff
	v_lshrrev_b32_e32 v0, 21, v0
; %bb.426:
	s_and_not1_saveexec_b32 s23, s23
; %bb.427:
	v_add_f32_e64 v0, 0x43000000, |v1|
; %bb.428:
	s_or_b32 exec_lo, exec_lo, s23
                                        ; implicit-def: $vgpr2
.LBB21_429:
	s_and_not1_saveexec_b32 s3, s3
; %bb.430:
	v_mov_b32_e32 v0, 0x7f
	v_cmp_lt_u32_e32 vcc_lo, 0x7f800000, v2
	s_delay_alu instid0(VALU_DEP_2)
	v_cndmask_b32_e32 v0, 0x7c, v0, vcc_lo
; %bb.431:
	s_or_b32 exec_lo, exec_lo, s3
	v_lshrrev_b32_e32 v2, 24, v1
	s_delay_alu instid0(VALU_DEP_1)
	v_and_or_b32 v0, 0x80, v2, v0
	global_store_b8 v[3:4], v0, off
.LBB21_432:
	s_mov_b32 s23, 0
	s_mov_b32 s3, -1
.LBB21_433:
	s_and_not1_b32 vcc_lo, exec_lo, s23
	s_cbranch_vccnz .LBB21_441
; %bb.434:
	v_cmp_lt_i16_e32 vcc_lo, 14, v8
	s_mov_b32 s23, -1
	s_cbranch_vccz .LBB21_438
; %bb.435:
	v_cmp_eq_u16_e32 vcc_lo, 15, v8
	s_mov_b32 s2, -1
	s_cbranch_vccz .LBB21_437
; %bb.436:
	v_bfe_u32 v0, v1, 16, 1
	v_cmp_o_f32_e32 vcc_lo, v1, v1
	s_mov_b32 s3, -1
	s_mov_b32 s2, 0
	s_delay_alu instid0(VALU_DEP_2) | instskip(NEXT) | instid1(VALU_DEP_1)
	v_add3_u32 v0, v1, v0, 0x7fff
	v_lshrrev_b32_e32 v0, 16, v0
	s_delay_alu instid0(VALU_DEP_1)
	v_cndmask_b32_e32 v0, 0x7fc0, v0, vcc_lo
	global_store_b16 v[3:4], v0, off
.LBB21_437:
	s_mov_b32 s23, 0
.LBB21_438:
	s_delay_alu instid0(SALU_CYCLE_1)
	s_and_b32 vcc_lo, exec_lo, s23
	s_cbranch_vccz .LBB21_441
; %bb.439:
	v_cmp_eq_u16_e32 vcc_lo, 11, v8
	s_mov_b32 s2, -1
	s_cbranch_vccz .LBB21_441
; %bb.440:
	v_cmp_neq_f32_e32 vcc_lo, 0, v1
	s_mov_b32 s2, 0
	s_mov_b32 s3, -1
	v_cndmask_b32_e64 v0, 0, 1, vcc_lo
	global_store_b8 v[3:4], v0, off
.LBB21_441:
.LBB21_442:
	s_and_not1_b32 vcc_lo, exec_lo, s3
	s_cbranch_vccnz .LBB21_357
.LBB21_443:
	v_add_nc_u32_e32 v7, 0x80, v7
	s_mov_b32 s3, -1
	s_branch .LBB21_556
.LBB21_444:
	s_mov_b32 s22, -1
                                        ; implicit-def: $vgpr3
.LBB21_445:
	s_mov_b32 s3, 0
.LBB21_446:
	s_delay_alu instid0(SALU_CYCLE_1)
	s_and_b32 vcc_lo, exec_lo, s3
	s_cbranch_vccz .LBB21_450
; %bb.447:
	v_cmp_eq_u16_e32 vcc_lo, 29, v6
	s_cbranch_vccz .LBB21_449
; %bb.448:
	global_load_b64 v[3:4], v[1:2], off
	s_mov_b32 s2, -1
	s_mov_b32 s22, 0
	s_mov_b32 s3, 0
	s_waitcnt vmcnt(0)
	v_clz_i32_u32_e32 v8, v4
	s_delay_alu instid0(VALU_DEP_1) | instskip(NEXT) | instid1(VALU_DEP_1)
	v_min_u32_e32 v8, 32, v8
	v_lshlrev_b64 v[3:4], v8, v[3:4]
	s_delay_alu instid0(VALU_DEP_1) | instskip(NEXT) | instid1(VALU_DEP_1)
	v_min_u32_e32 v3, 1, v3
	v_or_b32_e32 v3, v4, v3
	v_sub_nc_u32_e32 v4, 32, v8
	s_delay_alu instid0(VALU_DEP_2) | instskip(NEXT) | instid1(VALU_DEP_1)
	v_cvt_f32_u32_e32 v3, v3
	v_ldexp_f32 v3, v3, v4
	s_branch .LBB21_451
.LBB21_449:
	s_mov_b32 s22, -1
                                        ; implicit-def: $vgpr3
.LBB21_450:
	s_mov_b32 s3, 0
.LBB21_451:
	s_delay_alu instid0(SALU_CYCLE_1)
	s_and_b32 vcc_lo, exec_lo, s3
	s_cbranch_vccz .LBB21_469
; %bb.452:
	v_cmp_gt_i16_e32 vcc_lo, 27, v6
	s_cbranch_vccnz .LBB21_455
; %bb.453:
	v_cmp_lt_i16_e32 vcc_lo, 27, v6
	s_cbranch_vccz .LBB21_456
; %bb.454:
	global_load_b32 v3, v[1:2], off
	s_mov_b32 s2, 0
	s_waitcnt vmcnt(0)
	v_cvt_f32_u32_e32 v3, v3
	s_branch .LBB21_457
.LBB21_455:
	s_mov_b32 s2, -1
                                        ; implicit-def: $vgpr3
	s_branch .LBB21_460
.LBB21_456:
	s_mov_b32 s2, -1
                                        ; implicit-def: $vgpr3
.LBB21_457:
	s_delay_alu instid0(SALU_CYCLE_1)
	s_and_not1_b32 vcc_lo, exec_lo, s2
	s_cbranch_vccnz .LBB21_459
; %bb.458:
	global_load_u16 v3, v[1:2], off
	s_waitcnt vmcnt(0)
	v_cvt_f32_u32_e32 v3, v3
.LBB21_459:
	s_mov_b32 s2, 0
.LBB21_460:
	s_delay_alu instid0(SALU_CYCLE_1)
	s_and_not1_b32 vcc_lo, exec_lo, s2
	s_cbranch_vccnz .LBB21_468
; %bb.461:
	global_load_u8 v4, v[1:2], off
	s_mov_b32 s2, 0
	s_mov_b32 s23, exec_lo
                                        ; implicit-def: $sgpr3
	s_waitcnt vmcnt(0)
	v_cmpx_lt_i16_e32 0x7f, v4
	s_xor_b32 s23, exec_lo, s23
	s_cbranch_execz .LBB21_482
; %bb.462:
	s_mov_b32 s2, -1
	s_mov_b32 s37, exec_lo
                                        ; implicit-def: $sgpr3
	v_cmpx_eq_u16_e32 0x80, v4
; %bb.463:
	s_mov_b32 s3, 0x7f800001
	s_xor_b32 s2, exec_lo, -1
; %bb.464:
	s_or_b32 exec_lo, exec_lo, s37
	s_delay_alu instid0(SALU_CYCLE_1)
	s_and_b32 s2, s2, exec_lo
	s_or_saveexec_b32 s23, s23
	v_mov_b32_e32 v3, s3
	s_xor_b32 exec_lo, exec_lo, s23
	s_cbranch_execnz .LBB21_483
.LBB21_465:
	s_or_b32 exec_lo, exec_lo, s23
	s_and_saveexec_b32 s3, s2
	s_cbranch_execz .LBB21_467
.LBB21_466:
	v_and_b32_e32 v3, 0xffff, v4
	v_lshlrev_b32_e32 v4, 24, v4
	s_delay_alu instid0(VALU_DEP_2) | instskip(NEXT) | instid1(VALU_DEP_2)
	v_and_b32_e32 v8, 7, v3
	v_and_b32_e32 v4, 0x80000000, v4
	s_delay_alu instid0(VALU_DEP_2) | instskip(NEXT) | instid1(VALU_DEP_1)
	v_clz_i32_u32_e32 v9, v8
	v_min_u32_e32 v9, 32, v9
	s_delay_alu instid0(VALU_DEP_1) | instskip(SKIP_1) | instid1(VALU_DEP_2)
	v_subrev_nc_u32_e32 v10, 28, v9
	v_sub_nc_u32_e32 v9, 29, v9
	v_lshlrev_b32_e32 v10, v10, v3
	v_bfe_u32 v3, v3, 3, 4
	s_delay_alu instid0(VALU_DEP_2) | instskip(NEXT) | instid1(VALU_DEP_2)
	v_and_b32_e32 v10, 7, v10
	v_cmp_eq_u32_e32 vcc_lo, 0, v3
	s_delay_alu instid0(VALU_DEP_2) | instskip(NEXT) | instid1(VALU_DEP_1)
	v_dual_cndmask_b32 v3, v3, v9 :: v_dual_cndmask_b32 v8, v8, v10
	v_lshl_add_u32 v3, v3, 23, 0x3b800000
	s_delay_alu instid0(VALU_DEP_2) | instskip(NEXT) | instid1(VALU_DEP_1)
	v_lshlrev_b32_e32 v8, 20, v8
	v_or3_b32 v3, v4, v3, v8
.LBB21_467:
	s_or_b32 exec_lo, exec_lo, s3
.LBB21_468:
	s_mov_b32 s2, -1
.LBB21_469:
	s_mov_b32 s3, 0
.LBB21_470:
	s_delay_alu instid0(SALU_CYCLE_1)
	s_and_b32 vcc_lo, exec_lo, s3
	s_cbranch_vccz .LBB21_505
; %bb.471:
	v_cmp_lt_i16_e32 vcc_lo, 22, v6
	s_cbranch_vccz .LBB21_481
; %bb.472:
	v_cmp_gt_i16_e32 vcc_lo, 24, v6
	s_cbranch_vccnz .LBB21_484
; %bb.473:
	v_cmp_lt_i16_e32 vcc_lo, 24, v6
	s_cbranch_vccz .LBB21_485
; %bb.474:
	global_load_u8 v4, v[1:2], off
	s_mov_b32 s2, 0
	s_mov_b32 s23, exec_lo
                                        ; implicit-def: $sgpr3
	s_waitcnt vmcnt(0)
	v_cmpx_lt_i16_e32 0x7f, v4
	s_xor_b32 s23, exec_lo, s23
	s_cbranch_execz .LBB21_497
; %bb.475:
	s_mov_b32 s2, -1
	s_mov_b32 s37, exec_lo
                                        ; implicit-def: $sgpr3
	v_cmpx_eq_u16_e32 0x80, v4
; %bb.476:
	s_mov_b32 s3, 0x7f800001
	s_xor_b32 s2, exec_lo, -1
; %bb.477:
	s_or_b32 exec_lo, exec_lo, s37
	s_delay_alu instid0(SALU_CYCLE_1)
	s_and_b32 s2, s2, exec_lo
	s_or_saveexec_b32 s23, s23
	v_mov_b32_e32 v3, s3
	s_xor_b32 exec_lo, exec_lo, s23
	s_cbranch_execnz .LBB21_498
.LBB21_478:
	s_or_b32 exec_lo, exec_lo, s23
	s_and_saveexec_b32 s3, s2
	s_cbranch_execz .LBB21_480
.LBB21_479:
	v_and_b32_e32 v3, 0xffff, v4
	v_lshlrev_b32_e32 v4, 24, v4
	s_delay_alu instid0(VALU_DEP_2) | instskip(NEXT) | instid1(VALU_DEP_2)
	v_and_b32_e32 v8, 3, v3
	v_and_b32_e32 v4, 0x80000000, v4
	s_delay_alu instid0(VALU_DEP_2) | instskip(NEXT) | instid1(VALU_DEP_1)
	v_clz_i32_u32_e32 v9, v8
	v_min_u32_e32 v9, 32, v9
	s_delay_alu instid0(VALU_DEP_1) | instskip(SKIP_1) | instid1(VALU_DEP_2)
	v_subrev_nc_u32_e32 v10, 29, v9
	v_sub_nc_u32_e32 v9, 30, v9
	v_lshlrev_b32_e32 v10, v10, v3
	v_bfe_u32 v3, v3, 2, 5
	s_delay_alu instid0(VALU_DEP_2) | instskip(NEXT) | instid1(VALU_DEP_2)
	v_and_b32_e32 v10, 3, v10
	v_cmp_eq_u32_e32 vcc_lo, 0, v3
	s_delay_alu instid0(VALU_DEP_2) | instskip(NEXT) | instid1(VALU_DEP_1)
	v_dual_cndmask_b32 v3, v3, v9 :: v_dual_cndmask_b32 v8, v8, v10
	v_lshl_add_u32 v3, v3, 23, 0x37800000
	s_delay_alu instid0(VALU_DEP_2) | instskip(NEXT) | instid1(VALU_DEP_1)
	v_lshlrev_b32_e32 v8, 21, v8
	v_or3_b32 v3, v4, v3, v8
.LBB21_480:
	s_or_b32 exec_lo, exec_lo, s3
	s_mov_b32 s2, 0
	s_branch .LBB21_486
.LBB21_481:
	s_mov_b32 s3, -1
                                        ; implicit-def: $vgpr3
	s_branch .LBB21_492
.LBB21_482:
	s_or_saveexec_b32 s23, s23
	v_mov_b32_e32 v3, s3
	s_xor_b32 exec_lo, exec_lo, s23
	s_cbranch_execz .LBB21_465
.LBB21_483:
	v_cmp_ne_u16_e32 vcc_lo, 0, v4
	v_mov_b32_e32 v3, 0
	s_and_not1_b32 s2, s2, exec_lo
	s_and_b32 s3, vcc_lo, exec_lo
	s_delay_alu instid0(SALU_CYCLE_1)
	s_or_b32 s2, s2, s3
	s_or_b32 exec_lo, exec_lo, s23
	s_and_saveexec_b32 s3, s2
	s_cbranch_execnz .LBB21_466
	s_branch .LBB21_467
.LBB21_484:
	s_mov_b32 s2, -1
                                        ; implicit-def: $vgpr3
	s_branch .LBB21_489
.LBB21_485:
	s_mov_b32 s2, -1
                                        ; implicit-def: $vgpr3
.LBB21_486:
	s_delay_alu instid0(SALU_CYCLE_1)
	s_and_b32 vcc_lo, exec_lo, s2
	s_cbranch_vccz .LBB21_488
; %bb.487:
	global_load_u8 v3, v[1:2], off
	s_waitcnt vmcnt(0)
	v_lshlrev_b32_e32 v3, 24, v3
	s_delay_alu instid0(VALU_DEP_1) | instskip(NEXT) | instid1(VALU_DEP_1)
	v_and_b32_e32 v4, 0x7f000000, v3
	v_clz_i32_u32_e32 v8, v4
	v_add_nc_u32_e32 v10, 0x1000000, v4
	v_cmp_ne_u32_e32 vcc_lo, 0, v4
	s_delay_alu instid0(VALU_DEP_3) | instskip(NEXT) | instid1(VALU_DEP_1)
	v_min_u32_e32 v8, 32, v8
	v_sub_nc_u32_e64 v8, v8, 4 clamp
	s_delay_alu instid0(VALU_DEP_1) | instskip(SKIP_1) | instid1(VALU_DEP_2)
	v_lshlrev_b32_e32 v9, v8, v4
	v_lshlrev_b32_e32 v8, 23, v8
	v_lshrrev_b32_e32 v9, 4, v9
	s_delay_alu instid0(VALU_DEP_1) | instskip(SKIP_1) | instid1(VALU_DEP_2)
	v_sub_nc_u32_e32 v8, v9, v8
	v_ashrrev_i32_e32 v9, 8, v10
	v_add_nc_u32_e32 v8, 0x3c000000, v8
	s_delay_alu instid0(VALU_DEP_1) | instskip(NEXT) | instid1(VALU_DEP_1)
	v_and_or_b32 v8, 0x7f800000, v9, v8
	v_cndmask_b32_e32 v4, 0, v8, vcc_lo
	s_delay_alu instid0(VALU_DEP_1)
	v_and_or_b32 v3, 0x80000000, v3, v4
.LBB21_488:
	s_mov_b32 s2, 0
.LBB21_489:
	s_delay_alu instid0(SALU_CYCLE_1)
	s_and_not1_b32 vcc_lo, exec_lo, s2
	s_cbranch_vccnz .LBB21_491
; %bb.490:
	global_load_u8 v3, v[1:2], off
	s_waitcnt vmcnt(0)
	v_lshlrev_b32_e32 v4, 25, v3
	v_lshlrev_b16 v3, 8, v3
	s_delay_alu instid0(VALU_DEP_1) | instskip(SKIP_1) | instid1(VALU_DEP_2)
	v_and_or_b32 v9, 0x7f00, v3, 0.5
	v_bfe_i32 v3, v3, 0, 16
	v_add_f32_e32 v9, -0.5, v9
	v_lshrrev_b32_e32 v8, 4, v4
	v_cmp_gt_u32_e32 vcc_lo, 0x8000000, v4
	s_delay_alu instid0(VALU_DEP_2) | instskip(NEXT) | instid1(VALU_DEP_1)
	v_or_b32_e32 v8, 0x70000000, v8
	v_mul_f32_e32 v8, 0x7800000, v8
	s_delay_alu instid0(VALU_DEP_1) | instskip(NEXT) | instid1(VALU_DEP_1)
	v_cndmask_b32_e32 v4, v8, v9, vcc_lo
	v_and_or_b32 v3, 0x80000000, v3, v4
.LBB21_491:
	s_mov_b32 s3, 0
	s_mov_b32 s2, -1
.LBB21_492:
	s_and_not1_b32 vcc_lo, exec_lo, s3
	s_cbranch_vccnz .LBB21_505
; %bb.493:
	v_cmp_lt_i16_e32 vcc_lo, 14, v6
	s_cbranch_vccz .LBB21_496
; %bb.494:
	v_cmp_eq_u16_e32 vcc_lo, 15, v6
	s_cbranch_vccz .LBB21_499
; %bb.495:
	global_load_u16 v3, v[1:2], off
	s_mov_b32 s2, -1
	s_mov_b32 s22, 0
	s_waitcnt vmcnt(0)
	v_lshlrev_b32_e32 v3, 16, v3
	s_branch .LBB21_500
.LBB21_496:
	s_mov_b32 s3, -1
                                        ; implicit-def: $vgpr3
	s_branch .LBB21_501
.LBB21_497:
	s_or_saveexec_b32 s23, s23
	v_mov_b32_e32 v3, s3
	s_xor_b32 exec_lo, exec_lo, s23
	s_cbranch_execz .LBB21_478
.LBB21_498:
	v_cmp_ne_u16_e32 vcc_lo, 0, v4
	v_mov_b32_e32 v3, 0
	s_and_not1_b32 s2, s2, exec_lo
	s_and_b32 s3, vcc_lo, exec_lo
	s_delay_alu instid0(SALU_CYCLE_1)
	s_or_b32 s2, s2, s3
	s_or_b32 exec_lo, exec_lo, s23
	s_and_saveexec_b32 s3, s2
	s_cbranch_execnz .LBB21_479
	s_branch .LBB21_480
.LBB21_499:
	s_mov_b32 s22, -1
                                        ; implicit-def: $vgpr3
.LBB21_500:
	s_mov_b32 s3, 0
.LBB21_501:
	s_delay_alu instid0(SALU_CYCLE_1)
	s_and_b32 vcc_lo, exec_lo, s3
	s_cbranch_vccz .LBB21_505
; %bb.502:
	v_cmp_eq_u16_e32 vcc_lo, 11, v6
	s_cbranch_vccz .LBB21_504
; %bb.503:
	global_load_u8 v3, v[1:2], off
	s_mov_b32 s22, 0
	s_mov_b32 s2, -1
	s_waitcnt vmcnt(0)
	v_cmp_ne_u16_e32 vcc_lo, 0, v3
	v_cndmask_b32_e64 v3, 0, 1.0, vcc_lo
	s_branch .LBB21_505
.LBB21_504:
	s_mov_b32 s22, -1
                                        ; implicit-def: $vgpr3
.LBB21_505:
	s_branch .LBB21_298
.LBB21_506:
	v_cmp_gt_i16_e32 vcc_lo, 5, v6
	s_cbranch_vccnz .LBB21_511
; %bb.507:
	v_cmp_gt_i16_e32 vcc_lo, 8, v6
	s_cbranch_vccnz .LBB21_512
; %bb.508:
	;; [unrolled: 3-line block ×3, first 2 shown]
	v_cmp_lt_i16_e32 vcc_lo, 9, v6
	s_cbranch_vccz .LBB21_514
; %bb.510:
	global_load_b64 v[3:4], v[1:2], off
	s_mov_b32 s2, 0
	s_waitcnt vmcnt(0)
	v_cvt_f32_f64_e32 v3, v[3:4]
	s_branch .LBB21_515
.LBB21_511:
	s_mov_b32 s2, -1
                                        ; implicit-def: $vgpr3
	s_branch .LBB21_533
.LBB21_512:
	s_mov_b32 s2, -1
                                        ; implicit-def: $vgpr3
	s_branch .LBB21_521
.LBB21_513:
	s_mov_b32 s2, -1
                                        ; implicit-def: $vgpr3
	s_branch .LBB21_518
.LBB21_514:
	s_mov_b32 s2, -1
                                        ; implicit-def: $vgpr3
.LBB21_515:
	s_delay_alu instid0(SALU_CYCLE_1)
	s_and_not1_b32 vcc_lo, exec_lo, s2
	s_cbranch_vccnz .LBB21_517
; %bb.516:
	global_load_b32 v3, v[1:2], off
.LBB21_517:
	s_mov_b32 s2, 0
.LBB21_518:
	s_delay_alu instid0(SALU_CYCLE_1)
	s_and_not1_b32 vcc_lo, exec_lo, s2
	s_cbranch_vccnz .LBB21_520
; %bb.519:
	global_load_b32 v3, v[1:2], off
	s_waitcnt vmcnt(0)
	v_cvt_f32_f16_e32 v3, v3
.LBB21_520:
	s_mov_b32 s2, 0
.LBB21_521:
	s_delay_alu instid0(SALU_CYCLE_1)
	s_and_not1_b32 vcc_lo, exec_lo, s2
	s_cbranch_vccnz .LBB21_532
; %bb.522:
	v_cmp_gt_i16_e32 vcc_lo, 6, v6
	s_cbranch_vccnz .LBB21_525
; %bb.523:
	v_cmp_lt_i16_e32 vcc_lo, 6, v6
	s_cbranch_vccz .LBB21_526
; %bb.524:
	global_load_b64 v[3:4], v[1:2], off
	s_mov_b32 s2, 0
	s_waitcnt vmcnt(0)
	v_cvt_f32_f64_e32 v3, v[3:4]
	s_branch .LBB21_527
.LBB21_525:
	s_mov_b32 s2, -1
                                        ; implicit-def: $vgpr3
	s_branch .LBB21_530
.LBB21_526:
	s_mov_b32 s2, -1
                                        ; implicit-def: $vgpr3
.LBB21_527:
	s_delay_alu instid0(SALU_CYCLE_1)
	s_and_not1_b32 vcc_lo, exec_lo, s2
	s_cbranch_vccnz .LBB21_529
; %bb.528:
	global_load_b32 v3, v[1:2], off
.LBB21_529:
	s_mov_b32 s2, 0
.LBB21_530:
	s_delay_alu instid0(SALU_CYCLE_1)
	s_and_not1_b32 vcc_lo, exec_lo, s2
	s_cbranch_vccnz .LBB21_532
; %bb.531:
	global_load_u16 v3, v[1:2], off
	s_waitcnt vmcnt(0)
	v_cvt_f32_f16_e32 v3, v3
.LBB21_532:
	s_mov_b32 s2, 0
.LBB21_533:
	s_delay_alu instid0(SALU_CYCLE_1)
	s_and_not1_b32 vcc_lo, exec_lo, s2
	s_cbranch_vccnz .LBB21_553
; %bb.534:
	v_cmp_gt_i16_e32 vcc_lo, 2, v6
	s_cbranch_vccnz .LBB21_538
; %bb.535:
	v_cmp_gt_i16_e32 vcc_lo, 3, v6
	s_cbranch_vccnz .LBB21_539
; %bb.536:
	v_cmp_lt_i16_e32 vcc_lo, 3, v6
	s_cbranch_vccz .LBB21_540
; %bb.537:
	global_load_b64 v[3:4], v[1:2], off
	s_mov_b32 s2, 0
	s_waitcnt vmcnt(0)
	v_xor_b32_e32 v8, v3, v4
	v_cls_i32_e32 v9, v4
	s_delay_alu instid0(VALU_DEP_2) | instskip(NEXT) | instid1(VALU_DEP_2)
	v_ashrrev_i32_e32 v8, 31, v8
	v_add_nc_u32_e32 v9, -1, v9
	s_delay_alu instid0(VALU_DEP_2) | instskip(NEXT) | instid1(VALU_DEP_1)
	v_add_nc_u32_e32 v8, 32, v8
	v_min_u32_e32 v8, v9, v8
	s_delay_alu instid0(VALU_DEP_1) | instskip(NEXT) | instid1(VALU_DEP_1)
	v_lshlrev_b64 v[3:4], v8, v[3:4]
	v_min_u32_e32 v3, 1, v3
	s_delay_alu instid0(VALU_DEP_1) | instskip(SKIP_1) | instid1(VALU_DEP_2)
	v_or_b32_e32 v3, v4, v3
	v_sub_nc_u32_e32 v4, 32, v8
	v_cvt_f32_i32_e32 v3, v3
	s_delay_alu instid0(VALU_DEP_1)
	v_ldexp_f32 v3, v3, v4
	s_branch .LBB21_541
.LBB21_538:
	s_mov_b32 s2, -1
                                        ; implicit-def: $vgpr3
	s_branch .LBB21_547
.LBB21_539:
	s_mov_b32 s2, -1
                                        ; implicit-def: $vgpr3
	s_branch .LBB21_544
.LBB21_540:
	s_mov_b32 s2, -1
                                        ; implicit-def: $vgpr3
.LBB21_541:
	s_delay_alu instid0(SALU_CYCLE_1)
	s_and_not1_b32 vcc_lo, exec_lo, s2
	s_cbranch_vccnz .LBB21_543
; %bb.542:
	global_load_b32 v3, v[1:2], off
	s_waitcnt vmcnt(0)
	v_cvt_f32_i32_e32 v3, v3
.LBB21_543:
	s_mov_b32 s2, 0
.LBB21_544:
	s_delay_alu instid0(SALU_CYCLE_1)
	s_and_not1_b32 vcc_lo, exec_lo, s2
	s_cbranch_vccnz .LBB21_546
; %bb.545:
	global_load_i16 v3, v[1:2], off
	s_waitcnt vmcnt(0)
	v_cvt_f32_i32_e32 v3, v3
.LBB21_546:
	s_mov_b32 s2, 0
.LBB21_547:
	s_delay_alu instid0(SALU_CYCLE_1)
	s_and_not1_b32 vcc_lo, exec_lo, s2
	s_cbranch_vccnz .LBB21_553
; %bb.548:
	v_cmp_lt_i16_e32 vcc_lo, 0, v6
	s_mov_b32 s2, 0
	s_cbranch_vccz .LBB21_550
; %bb.549:
	global_load_i8 v3, v[1:2], off
	s_waitcnt vmcnt(0)
	v_cvt_f32_i32_e32 v3, v3
	s_branch .LBB21_551
.LBB21_550:
	s_mov_b32 s2, -1
                                        ; implicit-def: $vgpr3
.LBB21_551:
	s_delay_alu instid0(SALU_CYCLE_1)
	s_and_not1_b32 vcc_lo, exec_lo, s2
	s_cbranch_vccnz .LBB21_553
; %bb.552:
	global_load_u8 v1, v[1:2], off
	s_waitcnt vmcnt(0)
	v_cvt_f32_ubyte0_e32 v3, v1
.LBB21_553:
	s_branch .LBB21_299
.LBB21_554:
	s_mov_b32 s3, 0
	s_mov_b32 s2, s34
.LBB21_555:
                                        ; implicit-def: $vgpr7
.LBB21_556:
	s_and_not1_b32 s23, s34, exec_lo
	s_and_b32 s2, s2, exec_lo
	s_and_not1_b32 s37, s35, exec_lo
	s_and_b32 s22, s22, exec_lo
	s_or_b32 s38, s23, s2
	s_or_b32 s37, s37, s22
	s_or_not1_b32 s2, s3, exec_lo
.LBB21_557:
	s_or_b32 exec_lo, exec_lo, s39
	s_mov_b32 s3, 0
	s_mov_b32 s23, 0
	;; [unrolled: 1-line block ×3, first 2 shown]
                                        ; implicit-def: $vgpr1_vgpr2
                                        ; implicit-def: $vgpr0
                                        ; implicit-def: $vgpr8
	s_and_saveexec_b32 s39, s2
	s_cbranch_execz .LBB21_941
; %bb.558:
	s_mov_b32 s42, -1
	s_mov_b32 s22, s37
	s_mov_b32 s23, s38
	s_mov_b32 s40, exec_lo
	v_cmpx_gt_i32_e64 s30, v7
	s_cbranch_execz .LBB21_842
; %bb.559:
	s_and_not1_b32 vcc_lo, exec_lo, s27
	s_cbranch_vccnz .LBB21_564
; %bb.560:
	v_dual_mov_b32 v0, 0 :: v_dual_mov_b32 v1, 0
	s_and_not1_b32 vcc_lo, exec_lo, s33
	s_mov_b32 s41, 0
	s_cbranch_vccnz .LBB21_569
; %bb.561:
	v_mov_b32_e32 v0, 0
	s_add_i32 s43, s31, 1
	s_cmp_eq_u32 s25, 2
	s_mov_b32 s42, 0
	s_cbranch_scc1 .LBB21_565
; %bb.562:
	v_dual_mov_b32 v1, 0 :: v_dual_mov_b32 v0, 0
	v_mov_b32_e32 v2, v7
	s_and_b32 s42, s43, 28
	s_mov_b32 s44, 0
	s_mov_b64 s[2:3], s[20:21]
	s_mov_b64 s[22:23], s[16:17]
.LBB21_563:                             ; =>This Inner Loop Header: Depth=1
	s_clause 0x1
	s_load_b256 s[48:55], s[22:23], 0x4
	s_load_b128 s[64:67], s[22:23], 0x24
	s_load_b256 s[56:63], s[2:3], 0x0
	s_add_u32 s22, s22, 48
	s_addc_u32 s23, s23, 0
	s_add_i32 s44, s44, 4
	s_add_u32 s2, s2, 32
	s_addc_u32 s3, s3, 0
	s_cmp_eq_u32 s42, s44
	s_waitcnt vmcnt(0) lgkmcnt(0)
	v_mul_hi_u32 v3, s49, v2
	s_delay_alu instid0(VALU_DEP_1) | instskip(NEXT) | instid1(VALU_DEP_1)
	v_add_nc_u32_e32 v3, v2, v3
	v_lshrrev_b32_e32 v3, s50, v3
	s_delay_alu instid0(VALU_DEP_1) | instskip(SKIP_1) | instid1(VALU_DEP_2)
	v_mul_hi_u32 v4, s52, v3
	v_mul_lo_u32 v9, v3, s48
	v_add_nc_u32_e32 v4, v3, v4
	s_delay_alu instid0(VALU_DEP_2) | instskip(NEXT) | instid1(VALU_DEP_2)
	v_sub_nc_u32_e32 v2, v2, v9
	v_lshrrev_b32_e32 v4, s53, v4
	s_delay_alu instid0(VALU_DEP_2) | instskip(SKIP_1) | instid1(VALU_DEP_3)
	v_mul_lo_u32 v9, v2, s56
	v_mul_lo_u32 v11, v2, s57
	v_mul_hi_u32 v8, s55, v4
	s_delay_alu instid0(VALU_DEP_1) | instskip(NEXT) | instid1(VALU_DEP_1)
	v_add_nc_u32_e32 v8, v4, v8
	v_lshrrev_b32_e32 v8, s64, v8
	s_delay_alu instid0(VALU_DEP_1) | instskip(SKIP_1) | instid1(VALU_DEP_2)
	v_mul_hi_u32 v10, s66, v8
	v_mul_lo_u32 v12, v8, s54
	v_add_nc_u32_e32 v2, v8, v10
	v_mul_lo_u32 v10, v4, s51
	s_delay_alu instid0(VALU_DEP_3) | instskip(NEXT) | instid1(VALU_DEP_3)
	v_sub_nc_u32_e32 v4, v4, v12
	v_lshrrev_b32_e32 v2, s67, v2
	s_delay_alu instid0(VALU_DEP_2) | instskip(SKIP_2) | instid1(VALU_DEP_4)
	v_mul_lo_u32 v12, v4, s60
	v_mul_lo_u32 v4, v4, s61
	v_sub_nc_u32_e32 v3, v3, v10
	v_mul_lo_u32 v13, v2, s65
	s_delay_alu instid0(VALU_DEP_2) | instskip(SKIP_1) | instid1(VALU_DEP_3)
	v_mul_lo_u32 v10, v3, s58
	v_mul_lo_u32 v3, v3, s59
	v_sub_nc_u32_e32 v8, v8, v13
	s_delay_alu instid0(VALU_DEP_3) | instskip(NEXT) | instid1(VALU_DEP_2)
	v_add3_u32 v0, v9, v0, v10
	v_mul_lo_u32 v13, v8, s62
	v_mul_lo_u32 v8, v8, s63
	v_add3_u32 v1, v11, v1, v3
	s_delay_alu instid0(VALU_DEP_3) | instskip(NEXT) | instid1(VALU_DEP_2)
	v_add3_u32 v0, v12, v0, v13
	v_add3_u32 v1, v4, v1, v8
	s_cbranch_scc0 .LBB21_563
	s_branch .LBB21_566
.LBB21_564:
	s_mov_b32 s41, -1
                                        ; implicit-def: $vgpr0
                                        ; implicit-def: $vgpr1
	s_branch .LBB21_569
.LBB21_565:
	v_dual_mov_b32 v2, v7 :: v_dual_mov_b32 v1, 0
.LBB21_566:
	s_and_b32 s43, s43, 3
	s_delay_alu instid0(SALU_CYCLE_1)
	s_cmp_eq_u32 s43, 0
	s_cbranch_scc1 .LBB21_569
; %bb.567:
	s_lshl_b32 s2, s42, 3
	s_mul_i32 s22, s42, 12
	s_add_u32 s2, s2, s16
	s_addc_u32 s3, s17, 0
	s_add_u32 s2, s2, 0xc4
	s_addc_u32 s3, s3, 0
	;; [unrolled: 2-line block ×3, first 2 shown]
	.p2align	6
.LBB21_568:                             ; =>This Inner Loop Header: Depth=1
	s_clause 0x1
	s_load_b64 s[44:45], s[22:23], 0x4
	s_load_b32 s42, s[22:23], 0xc
	s_load_b64 s[46:47], s[2:3], 0x0
	s_add_u32 s22, s22, 12
	s_addc_u32 s23, s23, 0
	s_add_u32 s2, s2, 8
	s_addc_u32 s3, s3, 0
	s_add_i32 s43, s43, -1
	s_delay_alu instid0(SALU_CYCLE_1) | instskip(SKIP_2) | instid1(VALU_DEP_1)
	s_cmp_lg_u32 s43, 0
	s_waitcnt vmcnt(0) lgkmcnt(0)
	v_mul_hi_u32 v3, s45, v2
	v_add_nc_u32_e32 v3, v2, v3
	s_delay_alu instid0(VALU_DEP_1) | instskip(NEXT) | instid1(VALU_DEP_1)
	v_lshrrev_b32_e32 v10, s42, v3
	v_mul_lo_u32 v3, v10, s44
	s_delay_alu instid0(VALU_DEP_1) | instskip(NEXT) | instid1(VALU_DEP_1)
	v_sub_nc_u32_e32 v2, v2, v3
	v_mad_u64_u32 v[3:4], null, v2, s46, v[0:1]
	v_mad_u64_u32 v[8:9], null, v2, s47, v[1:2]
	v_mov_b32_e32 v2, v10
	s_delay_alu instid0(VALU_DEP_2)
	v_dual_mov_b32 v0, v3 :: v_dual_mov_b32 v1, v8
	s_cbranch_scc1 .LBB21_568
.LBB21_569:
	s_and_not1_b32 vcc_lo, exec_lo, s41
	s_cbranch_vccnz .LBB21_572
; %bb.570:
	s_waitcnt lgkmcnt(0)
	v_mul_hi_u32 v0, s13, v7
	s_and_not1_b32 vcc_lo, exec_lo, s29
	s_delay_alu instid0(VALU_DEP_1) | instskip(NEXT) | instid1(VALU_DEP_1)
	v_add_nc_u32_e32 v0, v7, v0
	v_lshrrev_b32_e32 v2, s14, v0
	s_delay_alu instid0(VALU_DEP_1) | instskip(NEXT) | instid1(VALU_DEP_1)
	v_mul_lo_u32 v0, v2, s12
	v_sub_nc_u32_e32 v1, v7, v0
	s_delay_alu instid0(VALU_DEP_1)
	v_mul_lo_u32 v0, v1, s8
	v_mul_lo_u32 v1, v1, s9
	s_cbranch_vccnz .LBB21_572
; %bb.571:
	s_waitcnt vmcnt(0)
	v_mul_hi_u32 v3, s18, v2
	s_delay_alu instid0(VALU_DEP_1) | instskip(NEXT) | instid1(VALU_DEP_1)
	v_add_nc_u32_e32 v3, v2, v3
	v_lshrrev_b32_e32 v3, s19, v3
	s_delay_alu instid0(VALU_DEP_1) | instskip(NEXT) | instid1(VALU_DEP_1)
	v_mul_lo_u32 v3, v3, s15
	v_sub_nc_u32_e32 v8, v2, v3
	s_delay_alu instid0(VALU_DEP_1) | instskip(NEXT) | instid1(VALU_DEP_1)
	v_mad_u64_u32 v[2:3], null, v8, s10, v[0:1]
	v_mad_u64_u32 v[3:4], null, v8, s11, v[1:2]
	s_delay_alu instid0(VALU_DEP_1)
	v_dual_mov_b32 v0, v2 :: v_dual_mov_b32 v1, v3
.LBB21_572:
	v_cmp_gt_i16_e32 vcc_lo, 11, v6
	s_waitcnt lgkmcnt(0)
	s_delay_alu instid0(VALU_DEP_2) | instskip(NEXT) | instid1(VALU_DEP_1)
	v_add_co_u32 v1, s2, s6, v1
	v_add_co_ci_u32_e64 v2, null, s7, 0, s2
	s_mov_b32 s2, 0
	s_cbranch_vccnz .LBB21_579
; %bb.573:
	v_cmp_lt_i16_e32 vcc_lo, 25, v6
	s_cbranch_vccz .LBB21_580
; %bb.574:
	v_cmp_lt_i16_e32 vcc_lo, 28, v6
	s_cbranch_vccz .LBB21_581
	;; [unrolled: 3-line block ×4, first 2 shown]
; %bb.577:
	v_cmp_eq_u16_e32 vcc_lo, 46, v6
	s_mov_b32 s3, 0
	s_cbranch_vccz .LBB21_588
; %bb.578:
	global_load_b32 v3, v[1:2], off
	s_mov_b32 s2, -1
	s_mov_b32 s22, 0
	s_waitcnt vmcnt(0)
	v_lshlrev_b32_e32 v3, 16, v3
	s_branch .LBB21_590
.LBB21_579:
	s_mov_b32 s3, -1
	s_mov_b32 s22, s37
                                        ; implicit-def: $vgpr3
	s_branch .LBB21_655
.LBB21_580:
	s_mov_b32 s3, -1
	s_mov_b32 s22, s37
                                        ; implicit-def: $vgpr3
	s_branch .LBB21_619
.LBB21_581:
	s_mov_b32 s3, -1
	s_mov_b32 s22, s37
                                        ; implicit-def: $vgpr3
	s_branch .LBB21_600
.LBB21_582:
	s_mov_b32 s3, -1
	s_mov_b32 s22, s37
                                        ; implicit-def: $vgpr3
	s_branch .LBB21_595
.LBB21_583:
	s_or_saveexec_b32 s37, s37
                                        ; implicit-def: $sgpr38
	s_delay_alu instid0(SALU_CYCLE_1)
	s_xor_b32 exec_lo, exec_lo, s37
	s_cbranch_execz .LBB21_394
.LBB21_584:
	v_add_f32_e64 v0, 0x46000000, |v1|
	s_and_not1_b32 s23, s23, exec_lo
	s_mov_b32 s38, 0
	s_delay_alu instid0(VALU_DEP_1) | instskip(NEXT) | instid1(VALU_DEP_1)
	v_and_b32_e32 v0, 0xff, v0
	v_cmp_ne_u32_e32 vcc_lo, 0, v0
	s_and_b32 s40, vcc_lo, exec_lo
	s_delay_alu instid0(SALU_CYCLE_1)
	s_or_b32 s23, s23, s40
	s_or_b32 exec_lo, exec_lo, s37
	v_mov_b32_e32 v2, s38
	s_and_saveexec_b32 s37, s23
	s_cbranch_execnz .LBB21_395
	s_branch .LBB21_396
.LBB21_585:
	s_mov_b32 s3, -1
	s_mov_b32 s22, s37
	s_branch .LBB21_589
.LBB21_586:
	s_or_saveexec_b32 s37, s37
                                        ; implicit-def: $sgpr38
	s_delay_alu instid0(SALU_CYCLE_1)
	s_xor_b32 exec_lo, exec_lo, s37
	s_cbranch_execz .LBB21_407
.LBB21_587:
	v_add_f32_e64 v0, 0x42800000, |v1|
	s_and_not1_b32 s23, s23, exec_lo
	s_mov_b32 s38, 0
	s_delay_alu instid0(VALU_DEP_1) | instskip(NEXT) | instid1(VALU_DEP_1)
	v_and_b32_e32 v0, 0xff, v0
	v_cmp_ne_u32_e32 vcc_lo, 0, v0
	s_and_b32 s40, vcc_lo, exec_lo
	s_delay_alu instid0(SALU_CYCLE_1)
	s_or_b32 s23, s23, s40
	s_or_b32 exec_lo, exec_lo, s37
	v_mov_b32_e32 v2, s38
	s_and_saveexec_b32 s37, s23
	s_cbranch_execnz .LBB21_408
	s_branch .LBB21_409
.LBB21_588:
	s_mov_b32 s22, -1
.LBB21_589:
                                        ; implicit-def: $vgpr3
.LBB21_590:
	s_and_b32 vcc_lo, exec_lo, s3
	s_cbranch_vccz .LBB21_594
; %bb.591:
	v_cmp_eq_u16_e32 vcc_lo, 44, v6
	s_cbranch_vccz .LBB21_593
; %bb.592:
	global_load_u8 v3, v[1:2], off
	s_mov_b32 s22, 0
	s_mov_b32 s2, -1
	s_waitcnt vmcnt(0)
	v_lshlrev_b32_e32 v4, 23, v3
	v_cmp_ne_u32_e32 vcc_lo, 0xff, v3
	s_delay_alu instid0(VALU_DEP_2) | instskip(SKIP_1) | instid1(VALU_DEP_2)
	v_cndmask_b32_e32 v4, 0x7f800001, v4, vcc_lo
	v_cmp_ne_u32_e32 vcc_lo, 0, v3
	v_cndmask_b32_e32 v3, 0x400000, v4, vcc_lo
	s_branch .LBB21_594
.LBB21_593:
	s_mov_b32 s22, -1
                                        ; implicit-def: $vgpr3
.LBB21_594:
	s_mov_b32 s3, 0
.LBB21_595:
	s_delay_alu instid0(SALU_CYCLE_1)
	s_and_b32 vcc_lo, exec_lo, s3
	s_cbranch_vccz .LBB21_599
; %bb.596:
	v_cmp_eq_u16_e32 vcc_lo, 29, v6
	s_cbranch_vccz .LBB21_598
; %bb.597:
	global_load_b64 v[3:4], v[1:2], off
	s_mov_b32 s2, -1
	s_mov_b32 s22, 0
	s_mov_b32 s3, 0
	s_waitcnt vmcnt(0)
	v_clz_i32_u32_e32 v8, v4
	s_delay_alu instid0(VALU_DEP_1) | instskip(NEXT) | instid1(VALU_DEP_1)
	v_min_u32_e32 v8, 32, v8
	v_lshlrev_b64 v[3:4], v8, v[3:4]
	s_delay_alu instid0(VALU_DEP_1) | instskip(NEXT) | instid1(VALU_DEP_1)
	v_min_u32_e32 v3, 1, v3
	v_or_b32_e32 v3, v4, v3
	v_sub_nc_u32_e32 v4, 32, v8
	s_delay_alu instid0(VALU_DEP_2) | instskip(NEXT) | instid1(VALU_DEP_1)
	v_cvt_f32_u32_e32 v3, v3
	v_ldexp_f32 v3, v3, v4
	s_branch .LBB21_600
.LBB21_598:
	s_mov_b32 s22, -1
                                        ; implicit-def: $vgpr3
.LBB21_599:
	s_mov_b32 s3, 0
.LBB21_600:
	s_delay_alu instid0(SALU_CYCLE_1)
	s_and_b32 vcc_lo, exec_lo, s3
	s_cbranch_vccz .LBB21_618
; %bb.601:
	v_cmp_gt_i16_e32 vcc_lo, 27, v6
	s_cbranch_vccnz .LBB21_604
; %bb.602:
	v_cmp_lt_i16_e32 vcc_lo, 27, v6
	s_cbranch_vccz .LBB21_605
; %bb.603:
	global_load_b32 v3, v[1:2], off
	s_mov_b32 s2, 0
	s_waitcnt vmcnt(0)
	v_cvt_f32_u32_e32 v3, v3
	s_branch .LBB21_606
.LBB21_604:
	s_mov_b32 s2, -1
                                        ; implicit-def: $vgpr3
	s_branch .LBB21_609
.LBB21_605:
	s_mov_b32 s2, -1
                                        ; implicit-def: $vgpr3
.LBB21_606:
	s_delay_alu instid0(SALU_CYCLE_1)
	s_and_not1_b32 vcc_lo, exec_lo, s2
	s_cbranch_vccnz .LBB21_608
; %bb.607:
	global_load_u16 v3, v[1:2], off
	s_waitcnt vmcnt(0)
	v_cvt_f32_u32_e32 v3, v3
.LBB21_608:
	s_mov_b32 s2, 0
.LBB21_609:
	s_delay_alu instid0(SALU_CYCLE_1)
	s_and_not1_b32 vcc_lo, exec_lo, s2
	s_cbranch_vccnz .LBB21_617
; %bb.610:
	global_load_u8 v4, v[1:2], off
	s_mov_b32 s2, 0
	s_mov_b32 s23, exec_lo
                                        ; implicit-def: $sgpr3
	s_waitcnt vmcnt(0)
	v_cmpx_lt_i16_e32 0x7f, v4
	s_xor_b32 s23, exec_lo, s23
	s_cbranch_execz .LBB21_631
; %bb.611:
	s_mov_b32 s2, -1
	s_mov_b32 s41, exec_lo
                                        ; implicit-def: $sgpr3
	v_cmpx_eq_u16_e32 0x80, v4
; %bb.612:
	s_mov_b32 s3, 0x7f800001
	s_xor_b32 s2, exec_lo, -1
; %bb.613:
	s_or_b32 exec_lo, exec_lo, s41
	s_delay_alu instid0(SALU_CYCLE_1)
	s_and_b32 s2, s2, exec_lo
	s_or_saveexec_b32 s23, s23
	v_mov_b32_e32 v3, s3
	s_xor_b32 exec_lo, exec_lo, s23
	s_cbranch_execnz .LBB21_632
.LBB21_614:
	s_or_b32 exec_lo, exec_lo, s23
	s_and_saveexec_b32 s3, s2
	s_cbranch_execz .LBB21_616
.LBB21_615:
	v_and_b32_e32 v3, 0xffff, v4
	v_lshlrev_b32_e32 v4, 24, v4
	s_delay_alu instid0(VALU_DEP_2) | instskip(NEXT) | instid1(VALU_DEP_2)
	v_and_b32_e32 v8, 7, v3
	v_and_b32_e32 v4, 0x80000000, v4
	s_delay_alu instid0(VALU_DEP_2) | instskip(NEXT) | instid1(VALU_DEP_1)
	v_clz_i32_u32_e32 v9, v8
	v_min_u32_e32 v9, 32, v9
	s_delay_alu instid0(VALU_DEP_1) | instskip(SKIP_1) | instid1(VALU_DEP_2)
	v_subrev_nc_u32_e32 v10, 28, v9
	v_sub_nc_u32_e32 v9, 29, v9
	v_lshlrev_b32_e32 v10, v10, v3
	v_bfe_u32 v3, v3, 3, 4
	s_delay_alu instid0(VALU_DEP_2) | instskip(NEXT) | instid1(VALU_DEP_2)
	v_and_b32_e32 v10, 7, v10
	v_cmp_eq_u32_e32 vcc_lo, 0, v3
	s_delay_alu instid0(VALU_DEP_2) | instskip(NEXT) | instid1(VALU_DEP_1)
	v_dual_cndmask_b32 v3, v3, v9 :: v_dual_cndmask_b32 v8, v8, v10
	v_lshl_add_u32 v3, v3, 23, 0x3b800000
	s_delay_alu instid0(VALU_DEP_2) | instskip(NEXT) | instid1(VALU_DEP_1)
	v_lshlrev_b32_e32 v8, 20, v8
	v_or3_b32 v3, v4, v3, v8
.LBB21_616:
	s_or_b32 exec_lo, exec_lo, s3
.LBB21_617:
	s_mov_b32 s2, -1
.LBB21_618:
	s_mov_b32 s3, 0
.LBB21_619:
	s_delay_alu instid0(SALU_CYCLE_1)
	s_and_b32 vcc_lo, exec_lo, s3
	s_cbranch_vccz .LBB21_654
; %bb.620:
	v_cmp_lt_i16_e32 vcc_lo, 22, v6
	s_cbranch_vccz .LBB21_630
; %bb.621:
	v_cmp_gt_i16_e32 vcc_lo, 24, v6
	s_cbranch_vccnz .LBB21_633
; %bb.622:
	v_cmp_lt_i16_e32 vcc_lo, 24, v6
	s_cbranch_vccz .LBB21_634
; %bb.623:
	global_load_u8 v4, v[1:2], off
	s_mov_b32 s2, 0
	s_mov_b32 s23, exec_lo
                                        ; implicit-def: $sgpr3
	s_waitcnt vmcnt(0)
	v_cmpx_lt_i16_e32 0x7f, v4
	s_xor_b32 s23, exec_lo, s23
	s_cbranch_execz .LBB21_646
; %bb.624:
	s_mov_b32 s2, -1
	s_mov_b32 s41, exec_lo
                                        ; implicit-def: $sgpr3
	v_cmpx_eq_u16_e32 0x80, v4
; %bb.625:
	s_mov_b32 s3, 0x7f800001
	s_xor_b32 s2, exec_lo, -1
; %bb.626:
	s_or_b32 exec_lo, exec_lo, s41
	s_delay_alu instid0(SALU_CYCLE_1)
	s_and_b32 s2, s2, exec_lo
	s_or_saveexec_b32 s23, s23
	v_mov_b32_e32 v3, s3
	s_xor_b32 exec_lo, exec_lo, s23
	s_cbranch_execnz .LBB21_647
.LBB21_627:
	s_or_b32 exec_lo, exec_lo, s23
	s_and_saveexec_b32 s3, s2
	s_cbranch_execz .LBB21_629
.LBB21_628:
	v_and_b32_e32 v3, 0xffff, v4
	v_lshlrev_b32_e32 v4, 24, v4
	s_delay_alu instid0(VALU_DEP_2) | instskip(NEXT) | instid1(VALU_DEP_2)
	v_and_b32_e32 v8, 3, v3
	v_and_b32_e32 v4, 0x80000000, v4
	s_delay_alu instid0(VALU_DEP_2) | instskip(NEXT) | instid1(VALU_DEP_1)
	v_clz_i32_u32_e32 v9, v8
	v_min_u32_e32 v9, 32, v9
	s_delay_alu instid0(VALU_DEP_1) | instskip(SKIP_1) | instid1(VALU_DEP_2)
	v_subrev_nc_u32_e32 v10, 29, v9
	v_sub_nc_u32_e32 v9, 30, v9
	v_lshlrev_b32_e32 v10, v10, v3
	v_bfe_u32 v3, v3, 2, 5
	s_delay_alu instid0(VALU_DEP_2) | instskip(NEXT) | instid1(VALU_DEP_2)
	v_and_b32_e32 v10, 3, v10
	v_cmp_eq_u32_e32 vcc_lo, 0, v3
	s_delay_alu instid0(VALU_DEP_2) | instskip(NEXT) | instid1(VALU_DEP_1)
	v_dual_cndmask_b32 v3, v3, v9 :: v_dual_cndmask_b32 v8, v8, v10
	v_lshl_add_u32 v3, v3, 23, 0x37800000
	s_delay_alu instid0(VALU_DEP_2) | instskip(NEXT) | instid1(VALU_DEP_1)
	v_lshlrev_b32_e32 v8, 21, v8
	v_or3_b32 v3, v4, v3, v8
.LBB21_629:
	s_or_b32 exec_lo, exec_lo, s3
	s_mov_b32 s2, 0
	s_branch .LBB21_635
.LBB21_630:
	s_mov_b32 s3, -1
                                        ; implicit-def: $vgpr3
	s_branch .LBB21_641
.LBB21_631:
	s_or_saveexec_b32 s23, s23
	v_mov_b32_e32 v3, s3
	s_xor_b32 exec_lo, exec_lo, s23
	s_cbranch_execz .LBB21_614
.LBB21_632:
	v_cmp_ne_u16_e32 vcc_lo, 0, v4
	v_mov_b32_e32 v3, 0
	s_and_not1_b32 s2, s2, exec_lo
	s_and_b32 s3, vcc_lo, exec_lo
	s_delay_alu instid0(SALU_CYCLE_1)
	s_or_b32 s2, s2, s3
	s_or_b32 exec_lo, exec_lo, s23
	s_and_saveexec_b32 s3, s2
	s_cbranch_execnz .LBB21_615
	s_branch .LBB21_616
.LBB21_633:
	s_mov_b32 s2, -1
                                        ; implicit-def: $vgpr3
	s_branch .LBB21_638
.LBB21_634:
	s_mov_b32 s2, -1
                                        ; implicit-def: $vgpr3
.LBB21_635:
	s_delay_alu instid0(SALU_CYCLE_1)
	s_and_b32 vcc_lo, exec_lo, s2
	s_cbranch_vccz .LBB21_637
; %bb.636:
	global_load_u8 v3, v[1:2], off
	s_waitcnt vmcnt(0)
	v_lshlrev_b32_e32 v3, 24, v3
	s_delay_alu instid0(VALU_DEP_1) | instskip(NEXT) | instid1(VALU_DEP_1)
	v_and_b32_e32 v4, 0x7f000000, v3
	v_clz_i32_u32_e32 v8, v4
	v_add_nc_u32_e32 v10, 0x1000000, v4
	v_cmp_ne_u32_e32 vcc_lo, 0, v4
	s_delay_alu instid0(VALU_DEP_3) | instskip(NEXT) | instid1(VALU_DEP_1)
	v_min_u32_e32 v8, 32, v8
	v_sub_nc_u32_e64 v8, v8, 4 clamp
	s_delay_alu instid0(VALU_DEP_1) | instskip(SKIP_1) | instid1(VALU_DEP_2)
	v_lshlrev_b32_e32 v9, v8, v4
	v_lshlrev_b32_e32 v8, 23, v8
	v_lshrrev_b32_e32 v9, 4, v9
	s_delay_alu instid0(VALU_DEP_1) | instskip(SKIP_1) | instid1(VALU_DEP_2)
	v_sub_nc_u32_e32 v8, v9, v8
	v_ashrrev_i32_e32 v9, 8, v10
	v_add_nc_u32_e32 v8, 0x3c000000, v8
	s_delay_alu instid0(VALU_DEP_1) | instskip(NEXT) | instid1(VALU_DEP_1)
	v_and_or_b32 v8, 0x7f800000, v9, v8
	v_cndmask_b32_e32 v4, 0, v8, vcc_lo
	s_delay_alu instid0(VALU_DEP_1)
	v_and_or_b32 v3, 0x80000000, v3, v4
.LBB21_637:
	s_mov_b32 s2, 0
.LBB21_638:
	s_delay_alu instid0(SALU_CYCLE_1)
	s_and_not1_b32 vcc_lo, exec_lo, s2
	s_cbranch_vccnz .LBB21_640
; %bb.639:
	global_load_u8 v3, v[1:2], off
	s_waitcnt vmcnt(0)
	v_lshlrev_b32_e32 v4, 25, v3
	v_lshlrev_b16 v3, 8, v3
	s_delay_alu instid0(VALU_DEP_1) | instskip(SKIP_1) | instid1(VALU_DEP_2)
	v_and_or_b32 v9, 0x7f00, v3, 0.5
	v_bfe_i32 v3, v3, 0, 16
	v_add_f32_e32 v9, -0.5, v9
	v_lshrrev_b32_e32 v8, 4, v4
	v_cmp_gt_u32_e32 vcc_lo, 0x8000000, v4
	s_delay_alu instid0(VALU_DEP_2) | instskip(NEXT) | instid1(VALU_DEP_1)
	v_or_b32_e32 v8, 0x70000000, v8
	v_mul_f32_e32 v8, 0x7800000, v8
	s_delay_alu instid0(VALU_DEP_1) | instskip(NEXT) | instid1(VALU_DEP_1)
	v_cndmask_b32_e32 v4, v8, v9, vcc_lo
	v_and_or_b32 v3, 0x80000000, v3, v4
.LBB21_640:
	s_mov_b32 s3, 0
	s_mov_b32 s2, -1
.LBB21_641:
	s_and_not1_b32 vcc_lo, exec_lo, s3
	s_cbranch_vccnz .LBB21_654
; %bb.642:
	v_cmp_lt_i16_e32 vcc_lo, 14, v6
	s_cbranch_vccz .LBB21_645
; %bb.643:
	v_cmp_eq_u16_e32 vcc_lo, 15, v6
	s_cbranch_vccz .LBB21_648
; %bb.644:
	global_load_u16 v3, v[1:2], off
	s_mov_b32 s2, -1
	s_mov_b32 s22, 0
	s_waitcnt vmcnt(0)
	v_lshlrev_b32_e32 v3, 16, v3
	s_branch .LBB21_649
.LBB21_645:
	s_mov_b32 s3, -1
                                        ; implicit-def: $vgpr3
	s_branch .LBB21_650
.LBB21_646:
	s_or_saveexec_b32 s23, s23
	v_mov_b32_e32 v3, s3
	s_xor_b32 exec_lo, exec_lo, s23
	s_cbranch_execz .LBB21_627
.LBB21_647:
	v_cmp_ne_u16_e32 vcc_lo, 0, v4
	v_mov_b32_e32 v3, 0
	s_and_not1_b32 s2, s2, exec_lo
	s_and_b32 s3, vcc_lo, exec_lo
	s_delay_alu instid0(SALU_CYCLE_1)
	s_or_b32 s2, s2, s3
	s_or_b32 exec_lo, exec_lo, s23
	s_and_saveexec_b32 s3, s2
	s_cbranch_execnz .LBB21_628
	s_branch .LBB21_629
.LBB21_648:
	s_mov_b32 s22, -1
                                        ; implicit-def: $vgpr3
.LBB21_649:
	s_mov_b32 s3, 0
.LBB21_650:
	s_delay_alu instid0(SALU_CYCLE_1)
	s_and_b32 vcc_lo, exec_lo, s3
	s_cbranch_vccz .LBB21_654
; %bb.651:
	v_cmp_eq_u16_e32 vcc_lo, 11, v6
	s_cbranch_vccz .LBB21_653
; %bb.652:
	global_load_u8 v3, v[1:2], off
	s_mov_b32 s22, 0
	s_mov_b32 s2, -1
	s_waitcnt vmcnt(0)
	v_cmp_ne_u16_e32 vcc_lo, 0, v3
	v_cndmask_b32_e64 v3, 0, 1.0, vcc_lo
	s_branch .LBB21_654
.LBB21_653:
	s_mov_b32 s22, -1
                                        ; implicit-def: $vgpr3
.LBB21_654:
	s_mov_b32 s3, 0
.LBB21_655:
	s_delay_alu instid0(SALU_CYCLE_1)
	s_and_b32 vcc_lo, exec_lo, s3
	s_cbranch_vccz .LBB21_704
; %bb.656:
	v_cmp_gt_i16_e32 vcc_lo, 5, v6
	s_cbranch_vccnz .LBB21_661
; %bb.657:
	v_cmp_gt_i16_e32 vcc_lo, 8, v6
	s_cbranch_vccnz .LBB21_662
; %bb.658:
	v_cmp_gt_i16_e32 vcc_lo, 9, v6
	s_cbranch_vccnz .LBB21_663
; %bb.659:
	v_cmp_lt_i16_e32 vcc_lo, 9, v6
	s_cbranch_vccz .LBB21_664
; %bb.660:
	global_load_b64 v[3:4], v[1:2], off
	s_mov_b32 s2, 0
	s_waitcnt vmcnt(0)
	v_cvt_f32_f64_e32 v3, v[3:4]
	s_branch .LBB21_665
.LBB21_661:
	s_mov_b32 s2, -1
                                        ; implicit-def: $vgpr3
	s_branch .LBB21_683
.LBB21_662:
	s_mov_b32 s2, -1
                                        ; implicit-def: $vgpr3
	s_branch .LBB21_671
.LBB21_663:
	s_mov_b32 s2, -1
                                        ; implicit-def: $vgpr3
	s_branch .LBB21_668
.LBB21_664:
	s_mov_b32 s2, -1
                                        ; implicit-def: $vgpr3
.LBB21_665:
	s_delay_alu instid0(SALU_CYCLE_1)
	s_and_not1_b32 vcc_lo, exec_lo, s2
	s_cbranch_vccnz .LBB21_667
; %bb.666:
	global_load_b32 v3, v[1:2], off
.LBB21_667:
	s_mov_b32 s2, 0
.LBB21_668:
	s_delay_alu instid0(SALU_CYCLE_1)
	s_and_not1_b32 vcc_lo, exec_lo, s2
	s_cbranch_vccnz .LBB21_670
; %bb.669:
	global_load_b32 v3, v[1:2], off
	s_waitcnt vmcnt(0)
	v_cvt_f32_f16_e32 v3, v3
.LBB21_670:
	s_mov_b32 s2, 0
.LBB21_671:
	s_delay_alu instid0(SALU_CYCLE_1)
	s_and_not1_b32 vcc_lo, exec_lo, s2
	s_cbranch_vccnz .LBB21_682
; %bb.672:
	v_cmp_gt_i16_e32 vcc_lo, 6, v6
	s_cbranch_vccnz .LBB21_675
; %bb.673:
	v_cmp_lt_i16_e32 vcc_lo, 6, v6
	s_cbranch_vccz .LBB21_676
; %bb.674:
	global_load_b64 v[3:4], v[1:2], off
	s_mov_b32 s2, 0
	s_waitcnt vmcnt(0)
	v_cvt_f32_f64_e32 v3, v[3:4]
	s_branch .LBB21_677
.LBB21_675:
	s_mov_b32 s2, -1
                                        ; implicit-def: $vgpr3
	s_branch .LBB21_680
.LBB21_676:
	s_mov_b32 s2, -1
                                        ; implicit-def: $vgpr3
.LBB21_677:
	s_delay_alu instid0(SALU_CYCLE_1)
	s_and_not1_b32 vcc_lo, exec_lo, s2
	s_cbranch_vccnz .LBB21_679
; %bb.678:
	global_load_b32 v3, v[1:2], off
.LBB21_679:
	s_mov_b32 s2, 0
.LBB21_680:
	s_delay_alu instid0(SALU_CYCLE_1)
	s_and_not1_b32 vcc_lo, exec_lo, s2
	s_cbranch_vccnz .LBB21_682
; %bb.681:
	global_load_u16 v3, v[1:2], off
	s_waitcnt vmcnt(0)
	v_cvt_f32_f16_e32 v3, v3
.LBB21_682:
	s_mov_b32 s2, 0
.LBB21_683:
	s_delay_alu instid0(SALU_CYCLE_1)
	s_and_not1_b32 vcc_lo, exec_lo, s2
	s_cbranch_vccnz .LBB21_703
; %bb.684:
	v_cmp_gt_i16_e32 vcc_lo, 2, v6
	s_cbranch_vccnz .LBB21_688
; %bb.685:
	v_cmp_gt_i16_e32 vcc_lo, 3, v6
	s_cbranch_vccnz .LBB21_689
; %bb.686:
	v_cmp_lt_i16_e32 vcc_lo, 3, v6
	s_cbranch_vccz .LBB21_690
; %bb.687:
	global_load_b64 v[3:4], v[1:2], off
	s_mov_b32 s2, 0
	s_waitcnt vmcnt(0)
	v_xor_b32_e32 v8, v3, v4
	v_cls_i32_e32 v9, v4
	s_delay_alu instid0(VALU_DEP_2) | instskip(NEXT) | instid1(VALU_DEP_2)
	v_ashrrev_i32_e32 v8, 31, v8
	v_add_nc_u32_e32 v9, -1, v9
	s_delay_alu instid0(VALU_DEP_2) | instskip(NEXT) | instid1(VALU_DEP_1)
	v_add_nc_u32_e32 v8, 32, v8
	v_min_u32_e32 v8, v9, v8
	s_delay_alu instid0(VALU_DEP_1) | instskip(NEXT) | instid1(VALU_DEP_1)
	v_lshlrev_b64 v[3:4], v8, v[3:4]
	v_min_u32_e32 v3, 1, v3
	s_delay_alu instid0(VALU_DEP_1) | instskip(SKIP_1) | instid1(VALU_DEP_2)
	v_or_b32_e32 v3, v4, v3
	v_sub_nc_u32_e32 v4, 32, v8
	v_cvt_f32_i32_e32 v3, v3
	s_delay_alu instid0(VALU_DEP_1)
	v_ldexp_f32 v3, v3, v4
	s_branch .LBB21_691
.LBB21_688:
	s_mov_b32 s2, -1
                                        ; implicit-def: $vgpr3
	s_branch .LBB21_697
.LBB21_689:
	s_mov_b32 s2, -1
                                        ; implicit-def: $vgpr3
	s_branch .LBB21_694
.LBB21_690:
	s_mov_b32 s2, -1
                                        ; implicit-def: $vgpr3
.LBB21_691:
	s_delay_alu instid0(SALU_CYCLE_1)
	s_and_not1_b32 vcc_lo, exec_lo, s2
	s_cbranch_vccnz .LBB21_693
; %bb.692:
	global_load_b32 v3, v[1:2], off
	s_waitcnt vmcnt(0)
	v_cvt_f32_i32_e32 v3, v3
.LBB21_693:
	s_mov_b32 s2, 0
.LBB21_694:
	s_delay_alu instid0(SALU_CYCLE_1)
	s_and_not1_b32 vcc_lo, exec_lo, s2
	s_cbranch_vccnz .LBB21_696
; %bb.695:
	global_load_i16 v3, v[1:2], off
	s_waitcnt vmcnt(0)
	v_cvt_f32_i32_e32 v3, v3
.LBB21_696:
	s_mov_b32 s2, 0
.LBB21_697:
	s_delay_alu instid0(SALU_CYCLE_1)
	s_and_not1_b32 vcc_lo, exec_lo, s2
	s_cbranch_vccnz .LBB21_703
; %bb.698:
	v_cmp_lt_i16_e32 vcc_lo, 0, v6
	s_mov_b32 s2, 0
	s_cbranch_vccz .LBB21_700
; %bb.699:
	global_load_i8 v3, v[1:2], off
	s_waitcnt vmcnt(0)
	v_cvt_f32_i32_e32 v3, v3
	s_branch .LBB21_701
.LBB21_700:
	s_mov_b32 s2, -1
                                        ; implicit-def: $vgpr3
.LBB21_701:
	s_delay_alu instid0(SALU_CYCLE_1)
	s_and_not1_b32 vcc_lo, exec_lo, s2
	s_cbranch_vccnz .LBB21_703
; %bb.702:
	global_load_u8 v1, v[1:2], off
	s_waitcnt vmcnt(0)
	v_cvt_f32_ubyte0_e32 v3, v1
.LBB21_703:
	s_mov_b32 s2, -1
.LBB21_704:
	s_delay_alu instid0(SALU_CYCLE_1)
	s_and_not1_b32 vcc_lo, exec_lo, s2
	s_cbranch_vccnz .LBB21_724
; %bb.705:
	v_mov_b32_e32 v1, 0x7f800000
	s_mov_b32 s23, exec_lo
	s_waitcnt vmcnt(0)
	s_delay_alu instid0(VALU_DEP_2)
	v_cmpx_neq_f32_e32 0, v3
	s_cbranch_execz .LBB21_717
; %bb.706:
	v_mov_b32_e32 v1, 0x7fc00000
	s_mov_b32 s41, exec_lo
	v_cmpx_ngt_f32_e32 0, v3
	s_cbranch_execz .LBB21_716
; %bb.707:
                                        ; implicit-def: $vgpr1
	s_mov_b32 s2, exec_lo
	v_cmpx_ge_f32_e32 2.0, v3
	s_xor_b32 s42, exec_lo, s2
	s_cbranch_execz .LBB21_713
; %bb.708:
	v_mul_f32_e32 v1, 0.5, v3
	s_mov_b32 s2, exec_lo
                                        ; implicit-def: $vgpr4
                                        ; implicit-def: $vgpr2
	v_cmpx_ge_f32_e32 0x41000000, v3
	s_xor_b32 s2, exec_lo, s2
	s_cbranch_execz .LBB21_710
; %bb.709:
	v_dual_add_f32 v2, -2.0, v1 :: v_dual_mul_f32 v9, 0x3fb8aa3b, v3
	s_mov_b32 s3, 0x224cf950
	v_cmp_ngt_f32_e32 vcc_lo, 0xc2ce8ed0, v3
	s_delay_alu instid0(VALU_DEP_2) | instskip(SKIP_1) | instid1(VALU_DEP_2)
	v_rndne_f32_e32 v10, v9
	v_fma_f32 v11, 0x3fb8aa3b, v3, -v9
	v_sub_f32_e32 v9, v9, v10
	s_delay_alu instid0(VALU_DEP_2) | instskip(NEXT) | instid1(VALU_DEP_1)
	v_fmamk_f32 v11, v3, 0x32a5705f, v11
	v_dual_fmaak_f32 v4, s3, v2, 0xa3c2be86 :: v_dual_add_f32 v9, v9, v11
	s_delay_alu instid0(VALU_DEP_1) | instskip(NEXT) | instid1(VALU_DEP_1)
	v_fmaak_f32 v8, v2, v4, 0xa24cf950
	v_add_f32_e32 v8, 0x25331f1f, v8
	s_delay_alu instid0(VALU_DEP_1) | instskip(NEXT) | instid1(VALU_DEP_1)
	v_fma_f32 v4, v2, v8, -v4
	v_add_f32_e32 v4, 0xa69f5554, v4
	s_delay_alu instid0(VALU_DEP_1) | instskip(NEXT) | instid1(VALU_DEP_1)
	v_fma_f32 v8, v2, v4, -v8
	;; [unrolled: 3-line block ×25, first 2 shown]
	v_add_f32_e32 v4, 0xbe34a688, v4
	s_delay_alu instid0(VALU_DEP_1) | instskip(SKIP_2) | instid1(VALU_DEP_2)
	v_fma_f32 v2, v2, v4, -v8
	v_exp_f32_e32 v4, v9
	v_cvt_i32_f32_e32 v9, v10
	v_add_f32_e32 v2, 0x3e81531c, v2
	s_delay_alu instid0(VALU_DEP_1) | instskip(SKIP_3) | instid1(VALU_DEP_2)
	v_sub_f32_e32 v2, v2, v8
	s_waitcnt_depctr 0xfff
	v_ldexp_f32 v4, v4, v9
	v_mul_f32_e32 v2, 0.5, v2
	v_cndmask_b32_e32 v4, 0, v4, vcc_lo
	v_cmp_nlt_f32_e32 vcc_lo, 0x42b17218, v3
	s_delay_alu instid0(VALU_DEP_3) | instskip(NEXT) | instid1(VALU_DEP_3)
	v_mul_f32_e32 v8, v3, v2
	v_cndmask_b32_e32 v2, 0x7f800000, v4, vcc_lo
	s_delay_alu instid0(VALU_DEP_1)
	v_mul_f32_e32 v4, v2, v8
.LBB21_710:
	s_and_not1_saveexec_b32 s3, s2
	s_cbranch_execz .LBB21_712
; %bb.711:
	v_div_scale_f32 v2, null, v3, v3, 0x42000000
	v_div_scale_f32 v9, vcc_lo, 0x42000000, v3, 0x42000000
	s_mov_b32 s2, 0x230aab6e
	s_delay_alu instid0(VALU_DEP_2) | instskip(SKIP_2) | instid1(VALU_DEP_1)
	v_rcp_f32_e32 v4, v2
	s_waitcnt_depctr 0xfff
	v_fma_f32 v8, -v2, v4, 1.0
	v_fmac_f32_e32 v4, v8, v4
	s_delay_alu instid0(VALU_DEP_1) | instskip(NEXT) | instid1(VALU_DEP_1)
	v_mul_f32_e32 v8, v9, v4
	v_fma_f32 v10, -v2, v8, v9
	s_delay_alu instid0(VALU_DEP_1) | instskip(SKIP_1) | instid1(VALU_DEP_2)
	v_fmac_f32_e32 v8, v10, v4
	v_mul_f32_e32 v10, 0x3fb8aa3b, v3
	v_fma_f32 v2, -v2, v8, v9
	v_mul_f32_e32 v9, 0x4f800000, v3
	s_delay_alu instid0(VALU_DEP_3) | instskip(SKIP_1) | instid1(VALU_DEP_4)
	v_rndne_f32_e32 v11, v10
	v_fma_f32 v12, 0x3fb8aa3b, v3, -v10
	v_div_fmas_f32 v2, v2, v4, v8
	v_cmp_gt_f32_e32 vcc_lo, 0xf800000, v3
	s_delay_alu instid0(VALU_DEP_4) | instskip(NEXT) | instid1(VALU_DEP_4)
	v_sub_f32_e32 v10, v10, v11
	v_fmamk_f32 v12, v3, 0x32a5705f, v12
	v_cvt_i32_f32_e32 v11, v11
	v_div_fixup_f32 v2, v2, v3, 0x42000000
	s_delay_alu instid0(VALU_DEP_3) | instskip(NEXT) | instid1(VALU_DEP_2)
	v_dual_cndmask_b32 v9, v3, v9 :: v_dual_add_f32 v10, v10, v12
	v_add_f32_e32 v2, -2.0, v2
	s_delay_alu instid0(VALU_DEP_2) | instskip(NEXT) | instid1(VALU_DEP_2)
	v_sqrt_f32_e32 v13, v9
	v_exp_f32_e32 v10, v10
	s_delay_alu instid0(VALU_DEP_1) | instskip(NEXT) | instid1(VALU_DEP_1)
	v_fmaak_f32 v4, s2, v2, 0x22a2dc57
	v_fmaak_f32 v8, v2, v4, 0xa30aab6e
	s_waitcnt_depctr 0xfff
	v_add_nc_u32_e32 v12, -1, v13
	v_add_nc_u32_e32 v14, 1, v13
	v_add_f32_e32 v8, 0xa456751e, v8
	s_delay_alu instid0(VALU_DEP_3) | instskip(NEXT) | instid1(VALU_DEP_3)
	v_fma_f32 v15, -v12, v13, v9
	v_fma_f32 v16, -v14, v13, v9
	s_delay_alu instid0(VALU_DEP_3) | instskip(NEXT) | instid1(VALU_DEP_3)
	v_fma_f32 v4, v2, v8, -v4
	v_cmp_ge_f32_e64 s2, 0, v15
	s_delay_alu instid0(VALU_DEP_2) | instskip(NEXT) | instid1(VALU_DEP_2)
	v_add_f32_e32 v4, 0xa4140365, v4
	v_cndmask_b32_e64 v12, v13, v12, s2
	v_cmp_lt_f32_e64 s2, 0, v16
	s_delay_alu instid0(VALU_DEP_3) | instskip(NEXT) | instid1(VALU_DEP_1)
	v_fma_f32 v8, v2, v4, -v8
	v_add_f32_e32 v8, 0x25aac8b0, v8
	s_delay_alu instid0(VALU_DEP_1) | instskip(NEXT) | instid1(VALU_DEP_1)
	v_fma_f32 v4, v2, v8, -v4
	v_add_f32_e32 v4, 0x25beb473, v4
	s_delay_alu instid0(VALU_DEP_1) | instskip(NEXT) | instid1(VALU_DEP_1)
	;; [unrolled: 3-line block ×19, first 2 shown]
	v_fma_f32 v4, v2, v8, -v4
	v_add_f32_e32 v4, 0xbc1fed03, v4
	s_delay_alu instid0(VALU_DEP_1) | instskip(SKIP_3) | instid1(VALU_DEP_4)
	v_fma_f32 v2, v2, v4, -v8
	v_ldexp_f32 v4, v10, v11
	v_cndmask_b32_e64 v10, v12, v14, s2
	v_cmp_ngt_f32_e64 s2, 0xc2ce8ed0, v3
	v_add_f32_e32 v2, 0x3f4750c6, v2
	s_delay_alu instid0(VALU_DEP_3) | instskip(NEXT) | instid1(VALU_DEP_3)
	v_mul_f32_e32 v11, 0x37800000, v10
	v_cndmask_b32_e64 v4, 0, v4, s2
	v_cmp_nlt_f32_e64 s2, 0x42b17218, v3
	s_delay_alu instid0(VALU_DEP_4) | instskip(NEXT) | instid1(VALU_DEP_2)
	v_sub_f32_e32 v8, v2, v8
	v_cndmask_b32_e64 v2, 0x7f800000, v4, s2
	v_cndmask_b32_e32 v4, v10, v11, vcc_lo
	s_delay_alu instid0(VALU_DEP_3) | instskip(SKIP_1) | instid1(VALU_DEP_2)
	v_mul_f32_e32 v8, 0.5, v8
	v_cmp_class_f32_e64 vcc_lo, v9, 0x260
	v_mul_f32_e32 v8, v2, v8
	s_delay_alu instid0(VALU_DEP_4) | instskip(NEXT) | instid1(VALU_DEP_1)
	v_cndmask_b32_e32 v4, v4, v9, vcc_lo
	v_div_scale_f32 v9, null, v4, v4, v8
	s_delay_alu instid0(VALU_DEP_1) | instskip(SKIP_2) | instid1(VALU_DEP_1)
	v_rcp_f32_e32 v10, v9
	s_waitcnt_depctr 0xfff
	v_fma_f32 v11, -v9, v10, 1.0
	v_fmac_f32_e32 v10, v11, v10
	v_div_scale_f32 v11, vcc_lo, v8, v4, v8
	s_delay_alu instid0(VALU_DEP_1) | instskip(NEXT) | instid1(VALU_DEP_1)
	v_mul_f32_e32 v12, v11, v10
	v_fma_f32 v13, -v9, v12, v11
	s_delay_alu instid0(VALU_DEP_1) | instskip(NEXT) | instid1(VALU_DEP_1)
	v_fmac_f32_e32 v12, v13, v10
	v_fma_f32 v9, -v9, v12, v11
	s_delay_alu instid0(VALU_DEP_1) | instskip(NEXT) | instid1(VALU_DEP_1)
	v_div_fmas_f32 v9, v9, v10, v12
	v_div_fixup_f32 v4, v9, v4, v8
.LBB21_712:
	s_or_b32 exec_lo, exec_lo, s3
	v_fma_f32 v8, v3, v3, -2.0
	s_mov_b32 s2, 0xa3019142
	v_cmp_gt_f32_e32 vcc_lo, 0x800000, v1
	s_delay_alu instid0(VALU_DEP_2) | instskip(NEXT) | instid1(VALU_DEP_1)
	v_fmaak_f32 v9, s2, v8, 0xa72eea8c
	v_fmaak_f32 v10, v8, v9, 0x23019142
	s_delay_alu instid0(VALU_DEP_1) | instskip(NEXT) | instid1(VALU_DEP_1)
	v_add_f32_e32 v10, 0xab3ba817, v10
	v_fma_f32 v9, v8, v10, -v9
	s_delay_alu instid0(VALU_DEP_1) | instskip(NEXT) | instid1(VALU_DEP_1)
	v_add_f32_e32 v9, 0xaf1b31de, v9
	v_fma_f32 v10, v8, v9, -v10
	;; [unrolled: 3-line block ×8, first 2 shown]
	s_delay_alu instid0(VALU_DEP_1) | instskip(NEXT) | instid1(VALU_DEP_1)
	v_add_f32_e32 v8, 0x3fc33d0a, v8
	v_sub_f32_e32 v8, v8, v10
	v_cndmask_b32_e64 v10, 1.0, 0x4f800000, vcc_lo
	s_delay_alu instid0(VALU_DEP_1) | instskip(NEXT) | instid1(VALU_DEP_1)
	v_dual_mul_f32 v8, 0.5, v8 :: v_dual_mul_f32 v1, v1, v10
	v_div_scale_f32 v9, null, v3, v3, v8
	s_delay_alu instid0(VALU_DEP_2) | instskip(SKIP_1) | instid1(VALU_DEP_2)
	v_log_f32_e32 v1, v1
	v_div_scale_f32 v12, s2, v8, v3, v8
	v_rcp_f32_e32 v11, v9
	s_waitcnt_depctr 0xfff
	v_cmp_gt_f32_e64 s3, 0x7f800000, |v1|
	v_fma_f32 v10, -v9, v11, 1.0
	s_delay_alu instid0(VALU_DEP_1) | instskip(NEXT) | instid1(VALU_DEP_1)
	v_dual_fmac_f32 v11, v10, v11 :: v_dual_mul_f32 v10, 0x3f317217, v1
	v_mul_f32_e32 v13, v12, v11
	s_delay_alu instid0(VALU_DEP_2) | instskip(NEXT) | instid1(VALU_DEP_2)
	v_fma_f32 v14, 0x3f317217, v1, -v10
	v_fma_f32 v15, -v9, v13, v12
	s_delay_alu instid0(VALU_DEP_1) | instskip(NEXT) | instid1(VALU_DEP_1)
	v_dual_fmamk_f32 v14, v1, 0x3377d1cf, v14 :: v_dual_fmac_f32 v13, v15, v11
	v_add_f32_e32 v10, v10, v14
	s_delay_alu instid0(VALU_DEP_2) | instskip(NEXT) | instid1(VALU_DEP_2)
	v_fma_f32 v9, -v9, v13, v12
	v_cndmask_b32_e64 v1, v1, v10, s3
	v_cndmask_b32_e64 v10, 0, 0x41b17218, vcc_lo
	s_mov_b32 vcc_lo, s2
	s_delay_alu instid0(VALU_DEP_3) | instskip(NEXT) | instid1(VALU_DEP_2)
	v_div_fmas_f32 v9, v9, v11, v13
	v_sub_f32_e32 v1, v1, v10
	s_delay_alu instid0(VALU_DEP_2) | instskip(NEXT) | instid1(VALU_DEP_1)
	v_div_fixup_f32 v3, v9, v3, v8
	v_fmac_f32_e32 v3, v1, v4
	s_delay_alu instid0(VALU_DEP_1)
	v_mul_f32_e32 v1, v2, v3
                                        ; implicit-def: $vgpr3
.LBB21_713:
	s_and_not1_saveexec_b32 s3, s42
	s_cbranch_execz .LBB21_715
; %bb.714:
	v_div_scale_f32 v1, null, v3, v3, 0x41000000
	v_div_scale_f32 v8, vcc_lo, 0x41000000, v3, 0x41000000
	s_mov_b32 s2, 0xa2d462ea
	s_delay_alu instid0(VALU_DEP_2) | instskip(SKIP_2) | instid1(VALU_DEP_1)
	v_rcp_f32_e32 v2, v1
	s_waitcnt_depctr 0xfff
	v_fma_f32 v4, -v1, v2, 1.0
	v_fmac_f32_e32 v2, v4, v2
	s_delay_alu instid0(VALU_DEP_1) | instskip(NEXT) | instid1(VALU_DEP_1)
	v_mul_f32_e32 v4, v8, v2
	v_fma_f32 v9, -v1, v4, v8
	s_delay_alu instid0(VALU_DEP_1) | instskip(NEXT) | instid1(VALU_DEP_1)
	v_fmac_f32_e32 v4, v9, v2
	v_fma_f32 v1, -v1, v4, v8
	v_mul_f32_e32 v8, 0x4f800000, v3
	s_delay_alu instid0(VALU_DEP_2) | instskip(SKIP_1) | instid1(VALU_DEP_2)
	v_div_fmas_f32 v1, v1, v2, v4
	v_cmp_gt_f32_e32 vcc_lo, 0xf800000, v3
	v_div_fixup_f32 v1, v1, v3, 0x41000000
	s_delay_alu instid0(VALU_DEP_4) | instskip(NEXT) | instid1(VALU_DEP_2)
	v_cndmask_b32_e32 v3, v3, v8, vcc_lo
	v_add_f32_e32 v1, -2.0, v1
	s_delay_alu instid0(VALU_DEP_2) | instskip(NEXT) | instid1(VALU_DEP_1)
	v_sqrt_f32_e32 v8, v3
	v_fmaak_f32 v2, s2, v1, 0x23a578d4
	s_waitcnt_depctr 0xfff
	v_dual_fmaak_f32 v4, v1, v2, 0x22d462ea :: v_dual_add_nc_u32 v9, -1, v8
	s_delay_alu instid0(VALU_DEP_1) | instskip(NEXT) | instid1(VALU_DEP_2)
	v_add_f32_e32 v4, 0xa48330a9, v4
	v_fma_f32 v11, -v9, v8, v3
	s_delay_alu instid0(VALU_DEP_2) | instskip(NEXT) | instid1(VALU_DEP_2)
	v_fma_f32 v2, v1, v4, -v2
	v_cmp_ge_f32_e64 s2, 0, v11
	s_delay_alu instid0(VALU_DEP_2) | instskip(NEXT) | instid1(VALU_DEP_1)
	v_add_f32_e32 v2, 0x2553eaf2, v2
	v_fma_f32 v4, v1, v2, -v4
	s_delay_alu instid0(VALU_DEP_1) | instskip(NEXT) | instid1(VALU_DEP_1)
	v_add_f32_e32 v4, 0xa62e951f, v4
	v_fma_f32 v2, v1, v4, -v2
	s_delay_alu instid0(VALU_DEP_1) | instskip(NEXT) | instid1(VALU_DEP_1)
	;; [unrolled: 3-line block ×21, first 2 shown]
	v_dual_add_f32 v1, 0x402e1ebd, v1 :: v_dual_add_nc_u32 v10, 1, v8
	v_fma_f32 v12, -v10, v8, v3
	v_cndmask_b32_e64 v8, v8, v9, s2
	s_delay_alu instid0(VALU_DEP_3) | instskip(NEXT) | instid1(VALU_DEP_3)
	v_sub_f32_e32 v1, v1, v4
	v_cmp_lt_f32_e64 s2, 0, v12
	s_delay_alu instid0(VALU_DEP_2) | instskip(NEXT) | instid1(VALU_DEP_2)
	v_mul_f32_e32 v1, 0.5, v1
	v_cndmask_b32_e64 v8, v8, v10, s2
	s_delay_alu instid0(VALU_DEP_1) | instskip(NEXT) | instid1(VALU_DEP_1)
	v_mul_f32_e32 v2, 0x37800000, v8
	v_cndmask_b32_e32 v2, v8, v2, vcc_lo
	v_cmp_class_f32_e64 vcc_lo, v3, 0x260
	s_delay_alu instid0(VALU_DEP_2) | instskip(NEXT) | instid1(VALU_DEP_1)
	v_cndmask_b32_e32 v2, v2, v3, vcc_lo
	v_div_scale_f32 v3, null, v2, v2, v1
	s_delay_alu instid0(VALU_DEP_1) | instskip(SKIP_2) | instid1(VALU_DEP_1)
	v_rcp_f32_e32 v4, v3
	s_waitcnt_depctr 0xfff
	v_fma_f32 v8, -v3, v4, 1.0
	v_fmac_f32_e32 v4, v8, v4
	v_div_scale_f32 v8, vcc_lo, v1, v2, v1
	s_delay_alu instid0(VALU_DEP_1) | instskip(NEXT) | instid1(VALU_DEP_1)
	v_mul_f32_e32 v9, v8, v4
	v_fma_f32 v10, -v3, v9, v8
	s_delay_alu instid0(VALU_DEP_1) | instskip(NEXT) | instid1(VALU_DEP_1)
	v_fmac_f32_e32 v9, v10, v4
	v_fma_f32 v3, -v3, v9, v8
	s_delay_alu instid0(VALU_DEP_1) | instskip(NEXT) | instid1(VALU_DEP_1)
	v_div_fmas_f32 v3, v3, v4, v9
	v_div_fixup_f32 v1, v3, v2, v1
.LBB21_715:
	s_or_b32 exec_lo, exec_lo, s3
.LBB21_716:
	s_delay_alu instid0(SALU_CYCLE_1)
	s_or_b32 exec_lo, exec_lo, s41
.LBB21_717:
	s_delay_alu instid0(SALU_CYCLE_1) | instskip(SKIP_2) | instid1(VALU_DEP_1)
	s_or_b32 exec_lo, exec_lo, s23
	v_and_b32_e32 v8, 0xff, v5
	v_add_co_u32 v3, s2, s4, v0
	v_add_co_ci_u32_e64 v4, null, s5, 0, s2
	s_delay_alu instid0(VALU_DEP_3)
	v_cmp_gt_i16_e32 vcc_lo, 11, v8
	s_mov_b32 s3, 0
	s_mov_b32 s23, -1
	s_mov_b32 s2, s38
	s_cbranch_vccnz .LBB21_725
; %bb.718:
	v_cmp_lt_i16_e32 vcc_lo, 25, v8
	s_cbranch_vccz .LBB21_766
; %bb.719:
	v_cmp_lt_i16_e32 vcc_lo, 28, v8
	s_cbranch_vccz .LBB21_767
	;; [unrolled: 3-line block ×4, first 2 shown]
; %bb.722:
	v_cmp_eq_u16_e32 vcc_lo, 46, v8
	s_mov_b32 s23, 0
	s_mov_b32 s2, -1
	s_cbranch_vccz .LBB21_770
; %bb.723:
	v_bfe_u32 v0, v1, 16, 1
	v_cmp_o_f32_e32 vcc_lo, v1, v1
	s_mov_b32 s3, -1
	s_mov_b32 s2, 0
	s_delay_alu instid0(VALU_DEP_2) | instskip(NEXT) | instid1(VALU_DEP_1)
	v_add3_u32 v0, v1, v0, 0x7fff
	v_lshrrev_b32_e32 v0, 16, v0
	s_delay_alu instid0(VALU_DEP_1)
	v_cndmask_b32_e32 v0, 0x7fc0, v0, vcc_lo
	global_store_b32 v[3:4], v0, off
	s_branch .LBB21_770
.LBB21_724:
	s_mov_b32 s3, 0
	s_mov_b32 s2, s38
	s_branch .LBB21_765
.LBB21_725:
	s_and_b32 vcc_lo, exec_lo, s23
	s_cbranch_vccz .LBB21_839
; %bb.726:
	v_cmp_gt_i16_e32 vcc_lo, 5, v8
	s_mov_b32 s3, -1
	s_cbranch_vccnz .LBB21_747
; %bb.727:
	v_cmp_gt_i16_e32 vcc_lo, 8, v8
	s_cbranch_vccnz .LBB21_737
; %bb.728:
	v_cmp_gt_i16_e32 vcc_lo, 9, v8
	s_cbranch_vccnz .LBB21_734
; %bb.729:
	v_cmp_lt_i16_e32 vcc_lo, 9, v8
	s_cbranch_vccz .LBB21_731
; %bb.730:
	v_cvt_f64_f32_e32 v[9:10], v1
	v_mov_b32_e32 v11, 0
	s_mov_b32 s3, 0
	s_delay_alu instid0(VALU_DEP_1)
	v_mov_b32_e32 v12, v11
	global_store_b128 v[3:4], v[9:12], off
.LBB21_731:
	s_and_not1_b32 vcc_lo, exec_lo, s3
	s_cbranch_vccnz .LBB21_733
; %bb.732:
	v_mov_b32_e32 v2, 0
	global_store_b64 v[3:4], v[1:2], off
.LBB21_733:
	s_mov_b32 s3, 0
.LBB21_734:
	s_delay_alu instid0(SALU_CYCLE_1)
	s_and_not1_b32 vcc_lo, exec_lo, s3
	s_cbranch_vccnz .LBB21_736
; %bb.735:
	v_cvt_f16_f32_e32 v0, v1
	s_delay_alu instid0(VALU_DEP_1)
	v_and_b32_e32 v0, 0xffff, v0
	global_store_b32 v[3:4], v0, off
.LBB21_736:
	s_mov_b32 s3, 0
.LBB21_737:
	s_delay_alu instid0(SALU_CYCLE_1)
	s_and_not1_b32 vcc_lo, exec_lo, s3
	s_cbranch_vccnz .LBB21_746
; %bb.738:
	v_cmp_gt_i16_e32 vcc_lo, 6, v8
	s_mov_b32 s3, -1
	s_cbranch_vccnz .LBB21_744
; %bb.739:
	v_cmp_lt_i16_e32 vcc_lo, 6, v8
	s_cbranch_vccz .LBB21_741
; %bb.740:
	v_cvt_f64_f32_e32 v[9:10], v1
	s_mov_b32 s3, 0
	global_store_b64 v[3:4], v[9:10], off
.LBB21_741:
	s_and_not1_b32 vcc_lo, exec_lo, s3
	s_cbranch_vccnz .LBB21_743
; %bb.742:
	global_store_b32 v[3:4], v1, off
.LBB21_743:
	s_mov_b32 s3, 0
.LBB21_744:
	s_delay_alu instid0(SALU_CYCLE_1)
	s_and_not1_b32 vcc_lo, exec_lo, s3
	s_cbranch_vccnz .LBB21_746
; %bb.745:
	v_cvt_f16_f32_e32 v0, v1
	global_store_b16 v[3:4], v0, off
.LBB21_746:
	s_mov_b32 s3, 0
.LBB21_747:
	s_delay_alu instid0(SALU_CYCLE_1)
	s_and_not1_b32 vcc_lo, exec_lo, s3
	s_cbranch_vccnz .LBB21_763
; %bb.748:
	v_cmp_gt_i16_e32 vcc_lo, 2, v8
	s_mov_b32 s3, -1
	s_cbranch_vccnz .LBB21_758
; %bb.749:
	v_cmp_gt_i16_e32 vcc_lo, 3, v8
	s_cbranch_vccnz .LBB21_755
; %bb.750:
	v_cmp_lt_i16_e32 vcc_lo, 3, v8
	s_cbranch_vccz .LBB21_752
; %bb.751:
	v_trunc_f32_e32 v0, v1
	s_mov_b32 s3, 0
	s_delay_alu instid0(VALU_DEP_1) | instskip(NEXT) | instid1(VALU_DEP_1)
	v_mul_f32_e64 v2, 0x2f800000, |v0|
	v_floor_f32_e32 v2, v2
	s_delay_alu instid0(VALU_DEP_1) | instskip(SKIP_2) | instid1(VALU_DEP_3)
	v_fma_f32 v9, 0xcf800000, v2, |v0|
	v_ashrrev_i32_e32 v0, 31, v0
	v_cvt_u32_f32_e32 v2, v2
	v_cvt_u32_f32_e32 v9, v9
	s_delay_alu instid0(VALU_DEP_2) | instskip(NEXT) | instid1(VALU_DEP_2)
	v_xor_b32_e32 v2, v2, v0
	v_xor_b32_e32 v9, v9, v0
	s_delay_alu instid0(VALU_DEP_1) | instskip(NEXT) | instid1(VALU_DEP_3)
	v_sub_co_u32 v9, vcc_lo, v9, v0
	v_sub_co_ci_u32_e32 v10, vcc_lo, v2, v0, vcc_lo
	global_store_b64 v[3:4], v[9:10], off
.LBB21_752:
	s_and_not1_b32 vcc_lo, exec_lo, s3
	s_cbranch_vccnz .LBB21_754
; %bb.753:
	v_cvt_i32_f32_e32 v0, v1
	global_store_b32 v[3:4], v0, off
.LBB21_754:
	s_mov_b32 s3, 0
.LBB21_755:
	s_delay_alu instid0(SALU_CYCLE_1)
	s_and_not1_b32 vcc_lo, exec_lo, s3
	s_cbranch_vccnz .LBB21_757
; %bb.756:
	v_cvt_i32_f32_e32 v0, v1
	global_store_b16 v[3:4], v0, off
.LBB21_757:
	s_mov_b32 s3, 0
.LBB21_758:
	s_delay_alu instid0(SALU_CYCLE_1)
	s_and_not1_b32 vcc_lo, exec_lo, s3
	s_cbranch_vccnz .LBB21_763
; %bb.759:
	v_cmp_lt_i16_e32 vcc_lo, 0, v8
	s_mov_b32 s3, -1
	s_cbranch_vccz .LBB21_761
; %bb.760:
	v_cvt_i32_f32_e32 v0, v1
	s_mov_b32 s3, 0
	global_store_b8 v[3:4], v0, off
.LBB21_761:
	s_and_not1_b32 vcc_lo, exec_lo, s3
	s_cbranch_vccnz .LBB21_763
; %bb.762:
	v_trunc_f32_e32 v0, v1
	s_delay_alu instid0(VALU_DEP_1) | instskip(NEXT) | instid1(VALU_DEP_1)
	v_mul_f32_e64 v1, 0x2f800000, |v0|
	v_floor_f32_e32 v1, v1
	s_delay_alu instid0(VALU_DEP_1) | instskip(SKIP_1) | instid1(VALU_DEP_2)
	v_fma_f32 v1, 0xcf800000, v1, |v0|
	v_ashrrev_i32_e32 v0, 31, v0
	v_cvt_u32_f32_e32 v1, v1
	s_delay_alu instid0(VALU_DEP_1) | instskip(NEXT) | instid1(VALU_DEP_1)
	v_xor_b32_e32 v1, v1, v0
	v_sub_nc_u32_e32 v0, v1, v0
	global_store_b8 v[3:4], v0, off
.LBB21_763:
	s_branch .LBB21_840
.LBB21_764:
	s_mov_b32 s3, 0
.LBB21_765:
                                        ; implicit-def: $vgpr7
	s_branch .LBB21_841
.LBB21_766:
	s_mov_b32 s2, s38
	s_branch .LBB21_797
.LBB21_767:
	s_mov_b32 s2, s38
	s_branch .LBB21_780
.LBB21_768:
	s_mov_b32 s2, s38
	s_branch .LBB21_776
.LBB21_769:
	s_mov_b32 s2, s38
.LBB21_770:
	s_and_b32 vcc_lo, exec_lo, s23
	s_cbranch_vccz .LBB21_775
; %bb.771:
	v_cmp_eq_u16_e32 vcc_lo, 44, v8
	s_mov_b32 s2, -1
	s_cbranch_vccz .LBB21_775
; %bb.772:
	v_bfe_u32 v2, v1, 23, 8
	v_mov_b32_e32 v0, 0xff
	s_mov_b32 s3, exec_lo
	s_delay_alu instid0(VALU_DEP_2)
	v_cmpx_ne_u32_e32 0xff, v2
; %bb.773:
	v_and_b32_e32 v0, 0x400000, v1
	v_and_or_b32 v2, 0x3fffff, v1, v2
	s_delay_alu instid0(VALU_DEP_2) | instskip(NEXT) | instid1(VALU_DEP_2)
	v_cmp_ne_u32_e32 vcc_lo, 0, v0
	v_cmp_ne_u32_e64 s2, 0, v2
	v_lshrrev_b32_e32 v0, 23, v1
	s_delay_alu instid0(VALU_DEP_2) | instskip(NEXT) | instid1(SALU_CYCLE_1)
	s_and_b32 s2, vcc_lo, s2
	v_cndmask_b32_e64 v2, 0, 1, s2
	s_delay_alu instid0(VALU_DEP_1)
	v_add_nc_u32_e32 v0, v0, v2
; %bb.774:
	s_or_b32 exec_lo, exec_lo, s3
	s_mov_b32 s3, -1
	s_mov_b32 s2, 0
	global_store_b8 v[3:4], v0, off
.LBB21_775:
	s_mov_b32 s23, 0
.LBB21_776:
	s_delay_alu instid0(SALU_CYCLE_1)
	s_and_b32 vcc_lo, exec_lo, s23
	s_cbranch_vccz .LBB21_779
; %bb.777:
	v_cmp_eq_u16_e32 vcc_lo, 29, v8
	s_mov_b32 s2, -1
	s_cbranch_vccz .LBB21_779
; %bb.778:
	v_trunc_f32_e32 v0, v1
	s_mov_b32 s3, -1
	s_mov_b32 s2, 0
	s_mov_b32 s23, 0
	s_delay_alu instid0(VALU_DEP_1) | instskip(NEXT) | instid1(VALU_DEP_1)
	v_mul_f32_e32 v2, 0x2f800000, v0
	v_floor_f32_e32 v2, v2
	s_delay_alu instid0(VALU_DEP_1) | instskip(SKIP_1) | instid1(VALU_DEP_2)
	v_fmamk_f32 v0, v2, 0xcf800000, v0
	v_cvt_u32_f32_e32 v10, v2
	v_cvt_u32_f32_e32 v9, v0
	global_store_b64 v[3:4], v[9:10], off
	s_branch .LBB21_780
.LBB21_779:
	s_mov_b32 s23, 0
.LBB21_780:
	s_delay_alu instid0(SALU_CYCLE_1)
	s_and_b32 vcc_lo, exec_lo, s23
	s_cbranch_vccz .LBB21_796
; %bb.781:
	v_cmp_gt_i16_e32 vcc_lo, 27, v8
	s_mov_b32 s3, -1
	s_cbranch_vccnz .LBB21_787
; %bb.782:
	v_cmp_lt_i16_e32 vcc_lo, 27, v8
	s_cbranch_vccz .LBB21_784
; %bb.783:
	v_cvt_u32_f32_e32 v0, v1
	s_mov_b32 s3, 0
	global_store_b32 v[3:4], v0, off
.LBB21_784:
	s_and_not1_b32 vcc_lo, exec_lo, s3
	s_cbranch_vccnz .LBB21_786
; %bb.785:
	v_cvt_u32_f32_e32 v0, v1
	global_store_b16 v[3:4], v0, off
.LBB21_786:
	s_mov_b32 s3, 0
.LBB21_787:
	s_delay_alu instid0(SALU_CYCLE_1)
	s_and_not1_b32 vcc_lo, exec_lo, s3
	s_cbranch_vccnz .LBB21_795
; %bb.788:
	v_and_b32_e32 v0, 0x7fffffff, v1
	v_mov_b32_e32 v2, 0x80
	s_mov_b32 s3, exec_lo
	s_delay_alu instid0(VALU_DEP_2)
	v_cmpx_gt_u32_e32 0x43800000, v0
	s_cbranch_execz .LBB21_794
; %bb.789:
	v_cmp_lt_u32_e32 vcc_lo, 0x3bffffff, v0
	s_mov_b32 s23, 0
                                        ; implicit-def: $vgpr0
	s_and_saveexec_b32 s41, vcc_lo
	s_delay_alu instid0(SALU_CYCLE_1)
	s_xor_b32 s41, exec_lo, s41
	s_cbranch_execz .LBB21_868
; %bb.790:
	v_bfe_u32 v0, v1, 20, 1
	s_mov_b32 s23, exec_lo
	s_delay_alu instid0(VALU_DEP_1) | instskip(NEXT) | instid1(VALU_DEP_1)
	v_add3_u32 v0, v1, v0, 0x487ffff
	v_lshrrev_b32_e32 v0, 20, v0
	s_or_saveexec_b32 s41, s41
                                        ; implicit-def: $sgpr42
	s_delay_alu instid0(SALU_CYCLE_1)
	s_xor_b32 exec_lo, exec_lo, s41
	s_cbranch_execnz .LBB21_869
.LBB21_791:
	s_or_b32 exec_lo, exec_lo, s41
	v_mov_b32_e32 v2, s42
	s_and_saveexec_b32 s41, s23
.LBB21_792:
	v_lshrrev_b32_e32 v2, 24, v1
	s_delay_alu instid0(VALU_DEP_1)
	v_and_or_b32 v2, 0x80, v2, v0
.LBB21_793:
	s_or_b32 exec_lo, exec_lo, s41
.LBB21_794:
	s_delay_alu instid0(SALU_CYCLE_1)
	s_or_b32 exec_lo, exec_lo, s3
	global_store_b8 v[3:4], v2, off
.LBB21_795:
	s_mov_b32 s3, -1
.LBB21_796:
	s_mov_b32 s23, 0
.LBB21_797:
	s_delay_alu instid0(SALU_CYCLE_1)
	s_and_b32 vcc_lo, exec_lo, s23
	s_cbranch_vccz .LBB21_838
; %bb.798:
	v_cmp_lt_i16_e32 vcc_lo, 22, v8
	s_mov_b32 s23, -1
	s_cbranch_vccz .LBB21_830
; %bb.799:
	v_cmp_gt_i16_e32 vcc_lo, 24, v8
	s_mov_b32 s3, -1
	s_cbranch_vccnz .LBB21_819
; %bb.800:
	v_cmp_lt_i16_e32 vcc_lo, 24, v8
	s_cbranch_vccz .LBB21_808
; %bb.801:
	v_and_b32_e32 v0, 0x7fffffff, v1
	v_mov_b32_e32 v2, 0x80
	s_mov_b32 s3, exec_lo
	s_delay_alu instid0(VALU_DEP_2)
	v_cmpx_gt_u32_e32 0x47800000, v0
	s_cbranch_execz .LBB21_807
; %bb.802:
	v_cmp_lt_u32_e32 vcc_lo, 0x37ffffff, v0
	s_mov_b32 s23, 0
                                        ; implicit-def: $vgpr0
	s_and_saveexec_b32 s41, vcc_lo
	s_delay_alu instid0(SALU_CYCLE_1)
	s_xor_b32 s41, exec_lo, s41
	s_cbranch_execz .LBB21_871
; %bb.803:
	v_bfe_u32 v0, v1, 21, 1
	s_mov_b32 s23, exec_lo
	s_delay_alu instid0(VALU_DEP_1) | instskip(NEXT) | instid1(VALU_DEP_1)
	v_add3_u32 v0, v1, v0, 0x88fffff
	v_lshrrev_b32_e32 v0, 21, v0
	s_or_saveexec_b32 s41, s41
                                        ; implicit-def: $sgpr42
	s_delay_alu instid0(SALU_CYCLE_1)
	s_xor_b32 exec_lo, exec_lo, s41
	s_cbranch_execnz .LBB21_872
.LBB21_804:
	s_or_b32 exec_lo, exec_lo, s41
	v_mov_b32_e32 v2, s42
	s_and_saveexec_b32 s41, s23
.LBB21_805:
	v_lshrrev_b32_e32 v2, 24, v1
	s_delay_alu instid0(VALU_DEP_1)
	v_and_or_b32 v2, 0x80, v2, v0
.LBB21_806:
	s_or_b32 exec_lo, exec_lo, s41
.LBB21_807:
	s_delay_alu instid0(SALU_CYCLE_1)
	s_or_b32 exec_lo, exec_lo, s3
	s_mov_b32 s3, 0
	global_store_b8 v[3:4], v2, off
.LBB21_808:
	s_and_b32 vcc_lo, exec_lo, s3
	s_cbranch_vccz .LBB21_818
; %bb.809:
	v_and_b32_e32 v2, 0x7fffffff, v1
	s_mov_b32 s3, exec_lo
                                        ; implicit-def: $vgpr0
	s_delay_alu instid0(VALU_DEP_1)
	v_cmpx_gt_u32_e32 0x43f00000, v2
	s_xor_b32 s3, exec_lo, s3
	s_cbranch_execz .LBB21_815
; %bb.810:
	s_mov_b32 s23, exec_lo
                                        ; implicit-def: $vgpr0
	v_cmpx_lt_u32_e32 0x3c7fffff, v2
	s_xor_b32 s23, exec_lo, s23
; %bb.811:
	v_bfe_u32 v0, v1, 20, 1
	s_delay_alu instid0(VALU_DEP_1) | instskip(NEXT) | instid1(VALU_DEP_1)
	v_add3_u32 v0, v1, v0, 0x407ffff
	v_and_b32_e32 v2, 0xff00000, v0
	v_lshrrev_b32_e32 v0, 20, v0
	s_delay_alu instid0(VALU_DEP_2) | instskip(NEXT) | instid1(VALU_DEP_2)
	v_cmp_ne_u32_e32 vcc_lo, 0x7f00000, v2
	v_cndmask_b32_e32 v0, 0x7e, v0, vcc_lo
; %bb.812:
	s_and_not1_saveexec_b32 s23, s23
; %bb.813:
	v_add_f32_e64 v0, 0x46800000, |v1|
; %bb.814:
	s_or_b32 exec_lo, exec_lo, s23
                                        ; implicit-def: $vgpr2
.LBB21_815:
	s_and_not1_saveexec_b32 s3, s3
; %bb.816:
	v_mov_b32_e32 v0, 0x7f
	v_cmp_lt_u32_e32 vcc_lo, 0x7f800000, v2
	s_delay_alu instid0(VALU_DEP_2)
	v_cndmask_b32_e32 v0, 0x7e, v0, vcc_lo
; %bb.817:
	s_or_b32 exec_lo, exec_lo, s3
	v_lshrrev_b32_e32 v2, 24, v1
	s_delay_alu instid0(VALU_DEP_1)
	v_and_or_b32 v0, 0x80, v2, v0
	global_store_b8 v[3:4], v0, off
.LBB21_818:
	s_mov_b32 s3, 0
.LBB21_819:
	s_delay_alu instid0(SALU_CYCLE_1)
	s_and_not1_b32 vcc_lo, exec_lo, s3
	s_cbranch_vccnz .LBB21_829
; %bb.820:
	v_and_b32_e32 v2, 0x7fffffff, v1
	s_mov_b32 s3, exec_lo
                                        ; implicit-def: $vgpr0
	s_delay_alu instid0(VALU_DEP_1)
	v_cmpx_gt_u32_e32 0x47800000, v2
	s_xor_b32 s3, exec_lo, s3
	s_cbranch_execz .LBB21_826
; %bb.821:
	s_mov_b32 s23, exec_lo
                                        ; implicit-def: $vgpr0
	v_cmpx_lt_u32_e32 0x387fffff, v2
	s_xor_b32 s23, exec_lo, s23
; %bb.822:
	v_bfe_u32 v0, v1, 21, 1
	s_delay_alu instid0(VALU_DEP_1) | instskip(NEXT) | instid1(VALU_DEP_1)
	v_add3_u32 v0, v1, v0, 0x80fffff
	v_lshrrev_b32_e32 v0, 21, v0
; %bb.823:
	s_and_not1_saveexec_b32 s23, s23
; %bb.824:
	v_add_f32_e64 v0, 0x43000000, |v1|
; %bb.825:
	s_or_b32 exec_lo, exec_lo, s23
                                        ; implicit-def: $vgpr2
.LBB21_826:
	s_and_not1_saveexec_b32 s3, s3
; %bb.827:
	v_mov_b32_e32 v0, 0x7f
	v_cmp_lt_u32_e32 vcc_lo, 0x7f800000, v2
	s_delay_alu instid0(VALU_DEP_2)
	v_cndmask_b32_e32 v0, 0x7c, v0, vcc_lo
; %bb.828:
	s_or_b32 exec_lo, exec_lo, s3
	v_lshrrev_b32_e32 v2, 24, v1
	s_delay_alu instid0(VALU_DEP_1)
	v_and_or_b32 v0, 0x80, v2, v0
	global_store_b8 v[3:4], v0, off
.LBB21_829:
	s_mov_b32 s23, 0
	s_mov_b32 s3, -1
.LBB21_830:
	s_and_not1_b32 vcc_lo, exec_lo, s23
	s_cbranch_vccnz .LBB21_838
; %bb.831:
	v_cmp_lt_i16_e32 vcc_lo, 14, v8
	s_mov_b32 s23, -1
	s_cbranch_vccz .LBB21_835
; %bb.832:
	v_cmp_eq_u16_e32 vcc_lo, 15, v8
	s_mov_b32 s2, -1
	s_cbranch_vccz .LBB21_834
; %bb.833:
	v_bfe_u32 v0, v1, 16, 1
	v_cmp_o_f32_e32 vcc_lo, v1, v1
	s_mov_b32 s3, -1
	s_mov_b32 s2, 0
	s_delay_alu instid0(VALU_DEP_2) | instskip(NEXT) | instid1(VALU_DEP_1)
	v_add3_u32 v0, v1, v0, 0x7fff
	v_lshrrev_b32_e32 v0, 16, v0
	s_delay_alu instid0(VALU_DEP_1)
	v_cndmask_b32_e32 v0, 0x7fc0, v0, vcc_lo
	global_store_b16 v[3:4], v0, off
.LBB21_834:
	s_mov_b32 s23, 0
.LBB21_835:
	s_delay_alu instid0(SALU_CYCLE_1)
	s_and_b32 vcc_lo, exec_lo, s23
	s_cbranch_vccz .LBB21_838
; %bb.836:
	v_cmp_eq_u16_e32 vcc_lo, 11, v8
	s_mov_b32 s2, -1
	s_cbranch_vccz .LBB21_838
; %bb.837:
	v_cmp_neq_f32_e32 vcc_lo, 0, v1
	s_mov_b32 s2, 0
	s_mov_b32 s3, -1
	v_cndmask_b32_e64 v0, 0, 1, vcc_lo
	global_store_b8 v[3:4], v0, off
.LBB21_838:
.LBB21_839:
	s_and_not1_b32 vcc_lo, exec_lo, s3
	s_cbranch_vccnz .LBB21_764
.LBB21_840:
	v_add_nc_u32_e32 v7, 0x80, v7
	s_mov_b32 s3, -1
.LBB21_841:
	s_and_not1_b32 s23, s38, exec_lo
	s_and_b32 s2, s2, exec_lo
	s_and_not1_b32 s41, s37, exec_lo
	s_and_b32 s22, s22, exec_lo
	s_or_b32 s23, s23, s2
	s_or_b32 s22, s41, s22
	s_or_not1_b32 s42, s3, exec_lo
.LBB21_842:
	s_or_b32 exec_lo, exec_lo, s40
	s_mov_b32 s2, 0
	s_mov_b32 s3, 0
	s_mov_b32 s41, 0
                                        ; implicit-def: $vgpr1_vgpr2
                                        ; implicit-def: $vgpr0
                                        ; implicit-def: $vgpr8
	s_and_saveexec_b32 s40, s42
	s_cbranch_execz .LBB21_940
; %bb.843:
	v_cmp_gt_i32_e32 vcc_lo, s30, v7
	s_mov_b32 s43, s22
	s_mov_b32 s42, 0
                                        ; implicit-def: $vgpr1_vgpr2
                                        ; implicit-def: $vgpr0
                                        ; implicit-def: $vgpr8
	s_and_saveexec_b32 s30, vcc_lo
	s_cbranch_execz .LBB21_939
; %bb.844:
	s_and_not1_b32 vcc_lo, exec_lo, s27
	s_cbranch_vccnz .LBB21_849
; %bb.845:
	v_dual_mov_b32 v0, 0 :: v_dual_mov_b32 v1, 0
	s_and_not1_b32 vcc_lo, exec_lo, s33
	s_mov_b32 s33, 0
	s_cbranch_vccnz .LBB21_854
; %bb.846:
	v_mov_b32_e32 v0, 0
	s_add_i32 s41, s31, 1
	s_cmp_eq_u32 s25, 2
	s_mov_b32 s31, 0
	s_cbranch_scc1 .LBB21_850
; %bb.847:
	v_dual_mov_b32 v1, 0 :: v_dual_mov_b32 v0, 0
	v_mov_b32_e32 v2, v7
	s_and_b32 s31, s41, 28
	s_mov_b64 s[2:3], s[16:17]
.LBB21_848:                             ; =>This Inner Loop Header: Depth=1
	s_clause 0x1
	s_load_b256 s[44:51], s[2:3], 0x4
	s_load_b128 s[60:63], s[2:3], 0x24
	s_load_b256 s[52:59], s[20:21], 0x0
	s_add_u32 s2, s2, 48
	s_addc_u32 s3, s3, 0
	s_add_i32 s42, s42, 4
	s_add_u32 s20, s20, 32
	s_addc_u32 s21, s21, 0
	s_cmp_eq_u32 s31, s42
	s_waitcnt vmcnt(0) lgkmcnt(0)
	v_mul_hi_u32 v3, s45, v2
	s_delay_alu instid0(VALU_DEP_1) | instskip(NEXT) | instid1(VALU_DEP_1)
	v_add_nc_u32_e32 v3, v2, v3
	v_lshrrev_b32_e32 v3, s46, v3
	s_delay_alu instid0(VALU_DEP_1) | instskip(SKIP_1) | instid1(VALU_DEP_2)
	v_mul_hi_u32 v4, s48, v3
	v_mul_lo_u32 v9, v3, s44
	v_add_nc_u32_e32 v4, v3, v4
	s_delay_alu instid0(VALU_DEP_2) | instskip(NEXT) | instid1(VALU_DEP_2)
	v_sub_nc_u32_e32 v2, v2, v9
	v_lshrrev_b32_e32 v4, s49, v4
	s_delay_alu instid0(VALU_DEP_2) | instskip(SKIP_1) | instid1(VALU_DEP_3)
	v_mul_lo_u32 v9, v2, s52
	v_mul_lo_u32 v11, v2, s53
	v_mul_hi_u32 v8, s51, v4
	s_delay_alu instid0(VALU_DEP_1) | instskip(NEXT) | instid1(VALU_DEP_1)
	v_add_nc_u32_e32 v8, v4, v8
	v_lshrrev_b32_e32 v8, s60, v8
	s_delay_alu instid0(VALU_DEP_1) | instskip(SKIP_1) | instid1(VALU_DEP_2)
	v_mul_hi_u32 v10, s62, v8
	v_mul_lo_u32 v12, v8, s50
	v_add_nc_u32_e32 v2, v8, v10
	v_mul_lo_u32 v10, v4, s47
	s_delay_alu instid0(VALU_DEP_3) | instskip(NEXT) | instid1(VALU_DEP_3)
	v_sub_nc_u32_e32 v4, v4, v12
	v_lshrrev_b32_e32 v2, s63, v2
	s_delay_alu instid0(VALU_DEP_2) | instskip(SKIP_2) | instid1(VALU_DEP_4)
	v_mul_lo_u32 v12, v4, s56
	v_mul_lo_u32 v4, v4, s57
	v_sub_nc_u32_e32 v3, v3, v10
	v_mul_lo_u32 v13, v2, s61
	s_delay_alu instid0(VALU_DEP_2) | instskip(SKIP_1) | instid1(VALU_DEP_3)
	v_mul_lo_u32 v10, v3, s54
	v_mul_lo_u32 v3, v3, s55
	v_sub_nc_u32_e32 v8, v8, v13
	s_delay_alu instid0(VALU_DEP_3) | instskip(NEXT) | instid1(VALU_DEP_2)
	v_add3_u32 v0, v9, v0, v10
	v_mul_lo_u32 v13, v8, s58
	v_mul_lo_u32 v8, v8, s59
	v_add3_u32 v1, v11, v1, v3
	s_delay_alu instid0(VALU_DEP_3) | instskip(NEXT) | instid1(VALU_DEP_2)
	v_add3_u32 v0, v12, v0, v13
	v_add3_u32 v1, v4, v1, v8
	s_cbranch_scc0 .LBB21_848
	s_branch .LBB21_851
.LBB21_849:
	s_mov_b32 s33, -1
                                        ; implicit-def: $vgpr0
                                        ; implicit-def: $vgpr1
	s_branch .LBB21_854
.LBB21_850:
	v_dual_mov_b32 v2, v7 :: v_dual_mov_b32 v1, 0
.LBB21_851:
	s_and_b32 s41, s41, 3
	s_delay_alu instid0(SALU_CYCLE_1)
	s_cmp_eq_u32 s41, 0
	s_cbranch_scc1 .LBB21_854
; %bb.852:
	s_lshl_b32 s2, s31, 3
	s_mul_i32 s20, s31, 12
	s_add_u32 s2, s2, s16
	s_addc_u32 s3, s17, 0
	s_add_u32 s2, s2, 0xc4
	s_addc_u32 s3, s3, 0
	;; [unrolled: 2-line block ×3, first 2 shown]
.LBB21_853:                             ; =>This Inner Loop Header: Depth=1
	s_clause 0x1
	s_load_b64 s[42:43], s[20:21], 0x4
	s_load_b32 s31, s[20:21], 0xc
	s_load_b64 s[44:45], s[2:3], 0x0
	s_add_u32 s20, s20, 12
	s_addc_u32 s21, s21, 0
	s_add_u32 s2, s2, 8
	s_addc_u32 s3, s3, 0
	s_add_i32 s41, s41, -1
	s_delay_alu instid0(SALU_CYCLE_1) | instskip(SKIP_2) | instid1(VALU_DEP_1)
	s_cmp_lg_u32 s41, 0
	s_waitcnt vmcnt(0) lgkmcnt(0)
	v_mul_hi_u32 v3, s43, v2
	v_add_nc_u32_e32 v3, v2, v3
	s_delay_alu instid0(VALU_DEP_1) | instskip(NEXT) | instid1(VALU_DEP_1)
	v_lshrrev_b32_e32 v10, s31, v3
	v_mul_lo_u32 v3, v10, s42
	s_delay_alu instid0(VALU_DEP_1) | instskip(NEXT) | instid1(VALU_DEP_1)
	v_sub_nc_u32_e32 v2, v2, v3
	v_mad_u64_u32 v[3:4], null, v2, s44, v[0:1]
	v_mad_u64_u32 v[8:9], null, v2, s45, v[1:2]
	v_mov_b32_e32 v2, v10
	s_delay_alu instid0(VALU_DEP_2)
	v_dual_mov_b32 v0, v3 :: v_dual_mov_b32 v1, v8
	s_cbranch_scc1 .LBB21_853
.LBB21_854:
	s_and_not1_b32 vcc_lo, exec_lo, s33
	s_cbranch_vccnz .LBB21_857
; %bb.855:
	s_waitcnt lgkmcnt(0)
	v_mul_hi_u32 v0, s13, v7
	s_and_not1_b32 vcc_lo, exec_lo, s29
	s_delay_alu instid0(VALU_DEP_1) | instskip(NEXT) | instid1(VALU_DEP_1)
	v_add_nc_u32_e32 v0, v7, v0
	v_lshrrev_b32_e32 v2, s14, v0
	s_delay_alu instid0(VALU_DEP_1) | instskip(NEXT) | instid1(VALU_DEP_1)
	v_mul_lo_u32 v0, v2, s12
	v_sub_nc_u32_e32 v1, v7, v0
	s_delay_alu instid0(VALU_DEP_1)
	v_mul_lo_u32 v0, v1, s8
	v_mul_lo_u32 v1, v1, s9
	s_cbranch_vccnz .LBB21_857
; %bb.856:
	s_waitcnt vmcnt(0)
	v_mul_hi_u32 v3, s18, v2
	s_delay_alu instid0(VALU_DEP_1) | instskip(NEXT) | instid1(VALU_DEP_1)
	v_add_nc_u32_e32 v3, v2, v3
	v_lshrrev_b32_e32 v3, s19, v3
	s_delay_alu instid0(VALU_DEP_1) | instskip(NEXT) | instid1(VALU_DEP_1)
	v_mul_lo_u32 v3, v3, s15
	v_sub_nc_u32_e32 v7, v2, v3
	s_delay_alu instid0(VALU_DEP_1) | instskip(NEXT) | instid1(VALU_DEP_1)
	v_mad_u64_u32 v[2:3], null, v7, s10, v[0:1]
	v_mad_u64_u32 v[3:4], null, v7, s11, v[1:2]
	s_delay_alu instid0(VALU_DEP_1)
	v_dual_mov_b32 v0, v2 :: v_dual_mov_b32 v1, v3
.LBB21_857:
	v_cmp_gt_i16_e32 vcc_lo, 11, v6
	s_waitcnt lgkmcnt(0)
	s_delay_alu instid0(VALU_DEP_2) | instskip(NEXT) | instid1(VALU_DEP_1)
	v_add_co_u32 v1, s2, s6, v1
	v_add_co_ci_u32_e64 v2, null, s7, 0, s2
	s_mov_b32 s6, 0
	s_cbranch_vccnz .LBB21_864
; %bb.858:
	v_cmp_lt_i16_e32 vcc_lo, 25, v6
	s_mov_b32 s3, 0
	s_cbranch_vccz .LBB21_865
; %bb.859:
	v_cmp_lt_i16_e32 vcc_lo, 28, v6
	s_cbranch_vccz .LBB21_866
; %bb.860:
	v_cmp_lt_i16_e32 vcc_lo, 43, v6
	;; [unrolled: 3-line block ×3, first 2 shown]
	s_cbranch_vccz .LBB21_870
; %bb.862:
	v_cmp_eq_u16_e32 vcc_lo, 46, v6
	s_mov_b32 s7, 0
	s_cbranch_vccz .LBB21_873
; %bb.863:
	global_load_b32 v3, v[1:2], off
	s_mov_b32 s2, 0
	s_mov_b32 s6, -1
	s_waitcnt vmcnt(0)
	v_lshlrev_b32_e32 v8, 16, v3
	s_branch .LBB21_875
.LBB21_864:
	s_mov_b32 s7, -1
	s_mov_b32 s3, 0
	s_mov_b32 s2, s22
                                        ; implicit-def: $vgpr8
	s_branch .LBB21_938
.LBB21_865:
	s_mov_b32 s7, -1
	s_mov_b32 s2, s22
                                        ; implicit-def: $vgpr8
	s_branch .LBB21_904
.LBB21_866:
	s_mov_b32 s7, -1
	s_mov_b32 s2, s22
                                        ; implicit-def: $vgpr8
	s_branch .LBB21_885
.LBB21_867:
	s_mov_b32 s7, -1
	s_mov_b32 s2, s22
                                        ; implicit-def: $vgpr8
	s_branch .LBB21_880
.LBB21_868:
	s_or_saveexec_b32 s41, s41
                                        ; implicit-def: $sgpr42
	s_delay_alu instid0(SALU_CYCLE_1)
	s_xor_b32 exec_lo, exec_lo, s41
	s_cbranch_execz .LBB21_791
.LBB21_869:
	v_add_f32_e64 v0, 0x46000000, |v1|
	s_and_not1_b32 s23, s23, exec_lo
	s_mov_b32 s42, 0
	s_delay_alu instid0(VALU_DEP_1) | instskip(NEXT) | instid1(VALU_DEP_1)
	v_and_b32_e32 v0, 0xff, v0
	v_cmp_ne_u32_e32 vcc_lo, 0, v0
	s_and_b32 s43, vcc_lo, exec_lo
	s_delay_alu instid0(SALU_CYCLE_1)
	s_or_b32 s23, s23, s43
	s_or_b32 exec_lo, exec_lo, s41
	v_mov_b32_e32 v2, s42
	s_and_saveexec_b32 s41, s23
	s_cbranch_execnz .LBB21_792
	s_branch .LBB21_793
.LBB21_870:
	s_mov_b32 s7, -1
	s_mov_b32 s2, s22
	s_branch .LBB21_874
.LBB21_871:
	s_or_saveexec_b32 s41, s41
                                        ; implicit-def: $sgpr42
	s_delay_alu instid0(SALU_CYCLE_1)
	s_xor_b32 exec_lo, exec_lo, s41
	s_cbranch_execz .LBB21_804
.LBB21_872:
	v_add_f32_e64 v0, 0x42800000, |v1|
	s_and_not1_b32 s23, s23, exec_lo
	s_mov_b32 s42, 0
	s_delay_alu instid0(VALU_DEP_1) | instskip(NEXT) | instid1(VALU_DEP_1)
	v_and_b32_e32 v0, 0xff, v0
	v_cmp_ne_u32_e32 vcc_lo, 0, v0
	s_and_b32 s43, vcc_lo, exec_lo
	s_delay_alu instid0(SALU_CYCLE_1)
	s_or_b32 s23, s23, s43
	s_or_b32 exec_lo, exec_lo, s41
	v_mov_b32_e32 v2, s42
	s_and_saveexec_b32 s41, s23
	s_cbranch_execnz .LBB21_805
	s_branch .LBB21_806
.LBB21_873:
	s_mov_b32 s2, -1
.LBB21_874:
                                        ; implicit-def: $vgpr8
.LBB21_875:
	s_and_b32 vcc_lo, exec_lo, s7
	s_cbranch_vccz .LBB21_879
; %bb.876:
	v_cmp_eq_u16_e32 vcc_lo, 44, v6
	s_cbranch_vccz .LBB21_878
; %bb.877:
	global_load_u8 v3, v[1:2], off
	s_mov_b32 s2, 0
	s_mov_b32 s6, -1
	s_waitcnt vmcnt(0)
	v_lshlrev_b32_e32 v4, 23, v3
	v_cmp_ne_u32_e32 vcc_lo, 0xff, v3
	s_delay_alu instid0(VALU_DEP_2) | instskip(SKIP_1) | instid1(VALU_DEP_2)
	v_cndmask_b32_e32 v4, 0x7f800001, v4, vcc_lo
	v_cmp_ne_u32_e32 vcc_lo, 0, v3
	v_cndmask_b32_e32 v8, 0x400000, v4, vcc_lo
	s_branch .LBB21_879
.LBB21_878:
	s_mov_b32 s2, -1
                                        ; implicit-def: $vgpr8
.LBB21_879:
	s_mov_b32 s7, 0
.LBB21_880:
	s_delay_alu instid0(SALU_CYCLE_1)
	s_and_b32 vcc_lo, exec_lo, s7
	s_cbranch_vccz .LBB21_884
; %bb.881:
	v_cmp_eq_u16_e32 vcc_lo, 29, v6
	s_cbranch_vccz .LBB21_883
; %bb.882:
	global_load_b64 v[3:4], v[1:2], off
	s_mov_b32 s2, 0
	s_mov_b32 s6, -1
	s_mov_b32 s7, 0
	s_waitcnt vmcnt(0)
	v_clz_i32_u32_e32 v7, v4
	s_delay_alu instid0(VALU_DEP_1) | instskip(NEXT) | instid1(VALU_DEP_1)
	v_min_u32_e32 v7, 32, v7
	v_lshlrev_b64 v[3:4], v7, v[3:4]
	s_delay_alu instid0(VALU_DEP_1) | instskip(NEXT) | instid1(VALU_DEP_1)
	v_min_u32_e32 v3, 1, v3
	v_or_b32_e32 v3, v4, v3
	v_sub_nc_u32_e32 v4, 32, v7
	s_delay_alu instid0(VALU_DEP_2) | instskip(NEXT) | instid1(VALU_DEP_1)
	v_cvt_f32_u32_e32 v3, v3
	v_ldexp_f32 v8, v3, v4
	s_branch .LBB21_885
.LBB21_883:
	s_mov_b32 s2, -1
                                        ; implicit-def: $vgpr8
.LBB21_884:
	s_mov_b32 s7, 0
.LBB21_885:
	s_delay_alu instid0(SALU_CYCLE_1)
	s_and_b32 vcc_lo, exec_lo, s7
	s_cbranch_vccz .LBB21_903
; %bb.886:
	v_cmp_gt_i16_e32 vcc_lo, 27, v6
	s_cbranch_vccnz .LBB21_889
; %bb.887:
	v_cmp_lt_i16_e32 vcc_lo, 27, v6
	s_cbranch_vccz .LBB21_890
; %bb.888:
	global_load_b32 v3, v[1:2], off
	s_mov_b32 s6, 0
	s_waitcnt vmcnt(0)
	v_cvt_f32_u32_e32 v8, v3
	s_branch .LBB21_891
.LBB21_889:
	s_mov_b32 s6, -1
                                        ; implicit-def: $vgpr8
	s_branch .LBB21_894
.LBB21_890:
	s_mov_b32 s6, -1
                                        ; implicit-def: $vgpr8
.LBB21_891:
	s_delay_alu instid0(SALU_CYCLE_1)
	s_and_not1_b32 vcc_lo, exec_lo, s6
	s_cbranch_vccnz .LBB21_893
; %bb.892:
	global_load_u16 v3, v[1:2], off
	s_waitcnt vmcnt(0)
	v_cvt_f32_u32_e32 v8, v3
.LBB21_893:
	s_mov_b32 s6, 0
.LBB21_894:
	s_delay_alu instid0(SALU_CYCLE_1)
	s_and_not1_b32 vcc_lo, exec_lo, s6
	s_cbranch_vccnz .LBB21_902
; %bb.895:
	global_load_u8 v3, v[1:2], off
	s_mov_b32 s6, 0
	s_mov_b32 s8, exec_lo
                                        ; implicit-def: $sgpr7
	s_waitcnt vmcnt(0)
	v_cmpx_lt_i16_e32 0x7f, v3
	s_xor_b32 s8, exec_lo, s8
	s_cbranch_execz .LBB21_916
; %bb.896:
	s_mov_b32 s6, -1
	s_mov_b32 s9, exec_lo
                                        ; implicit-def: $sgpr7
	v_cmpx_eq_u16_e32 0x80, v3
; %bb.897:
	s_mov_b32 s7, 0x7f800001
	s_xor_b32 s6, exec_lo, -1
; %bb.898:
	s_or_b32 exec_lo, exec_lo, s9
	s_delay_alu instid0(SALU_CYCLE_1)
	s_and_b32 s6, s6, exec_lo
	s_or_saveexec_b32 s8, s8
	v_mov_b32_e32 v8, s7
	s_xor_b32 exec_lo, exec_lo, s8
	s_cbranch_execnz .LBB21_917
.LBB21_899:
	s_or_b32 exec_lo, exec_lo, s8
	s_and_saveexec_b32 s7, s6
	s_cbranch_execz .LBB21_901
.LBB21_900:
	v_and_b32_e32 v4, 0xffff, v3
	v_lshlrev_b32_e32 v3, 24, v3
	s_delay_alu instid0(VALU_DEP_2) | instskip(NEXT) | instid1(VALU_DEP_2)
	v_and_b32_e32 v7, 7, v4
	v_and_b32_e32 v3, 0x80000000, v3
	s_delay_alu instid0(VALU_DEP_2) | instskip(NEXT) | instid1(VALU_DEP_1)
	v_clz_i32_u32_e32 v8, v7
	v_min_u32_e32 v8, 32, v8
	s_delay_alu instid0(VALU_DEP_1) | instskip(SKIP_1) | instid1(VALU_DEP_2)
	v_subrev_nc_u32_e32 v9, 28, v8
	v_sub_nc_u32_e32 v8, 29, v8
	v_lshlrev_b32_e32 v9, v9, v4
	v_bfe_u32 v4, v4, 3, 4
	s_delay_alu instid0(VALU_DEP_1) | instskip(NEXT) | instid1(VALU_DEP_3)
	v_cmp_eq_u32_e32 vcc_lo, 0, v4
	v_dual_cndmask_b32 v4, v4, v8 :: v_dual_and_b32 v9, 7, v9
	s_delay_alu instid0(VALU_DEP_1) | instskip(NEXT) | instid1(VALU_DEP_2)
	v_cndmask_b32_e32 v7, v7, v9, vcc_lo
	v_lshl_add_u32 v4, v4, 23, 0x3b800000
	s_delay_alu instid0(VALU_DEP_2) | instskip(NEXT) | instid1(VALU_DEP_1)
	v_lshlrev_b32_e32 v7, 20, v7
	v_or3_b32 v8, v3, v4, v7
.LBB21_901:
	s_or_b32 exec_lo, exec_lo, s7
.LBB21_902:
	s_mov_b32 s6, -1
.LBB21_903:
	s_mov_b32 s7, 0
.LBB21_904:
	s_delay_alu instid0(SALU_CYCLE_1)
	s_and_b32 vcc_lo, exec_lo, s7
	s_cbranch_vccz .LBB21_937
; %bb.905:
	v_cmp_lt_i16_e32 vcc_lo, 22, v6
	s_cbranch_vccz .LBB21_915
; %bb.906:
	v_cmp_gt_i16_e32 vcc_lo, 24, v6
	s_cbranch_vccnz .LBB21_918
; %bb.907:
	v_cmp_lt_i16_e32 vcc_lo, 24, v6
	s_cbranch_vccz .LBB21_919
; %bb.908:
	global_load_u8 v3, v[1:2], off
	s_mov_b32 s7, exec_lo
                                        ; implicit-def: $sgpr6
	s_waitcnt vmcnt(0)
	v_cmpx_lt_i16_e32 0x7f, v3
	s_xor_b32 s7, exec_lo, s7
	s_cbranch_execz .LBB21_931
; %bb.909:
	s_mov_b32 s3, -1
	s_mov_b32 s8, exec_lo
                                        ; implicit-def: $sgpr6
	v_cmpx_eq_u16_e32 0x80, v3
; %bb.910:
	s_mov_b32 s6, 0x7f800001
	s_xor_b32 s3, exec_lo, -1
; %bb.911:
	s_or_b32 exec_lo, exec_lo, s8
	s_delay_alu instid0(SALU_CYCLE_1)
	s_and_b32 s3, s3, exec_lo
	s_or_saveexec_b32 s7, s7
	v_mov_b32_e32 v8, s6
	s_xor_b32 exec_lo, exec_lo, s7
	s_cbranch_execnz .LBB21_932
.LBB21_912:
	s_or_b32 exec_lo, exec_lo, s7
	s_and_saveexec_b32 s6, s3
	s_cbranch_execz .LBB21_914
.LBB21_913:
	v_and_b32_e32 v4, 0xffff, v3
	v_lshlrev_b32_e32 v3, 24, v3
	s_delay_alu instid0(VALU_DEP_2) | instskip(NEXT) | instid1(VALU_DEP_2)
	v_and_b32_e32 v7, 3, v4
	v_and_b32_e32 v3, 0x80000000, v3
	s_delay_alu instid0(VALU_DEP_2) | instskip(NEXT) | instid1(VALU_DEP_1)
	v_clz_i32_u32_e32 v8, v7
	v_min_u32_e32 v8, 32, v8
	s_delay_alu instid0(VALU_DEP_1) | instskip(SKIP_1) | instid1(VALU_DEP_2)
	v_subrev_nc_u32_e32 v9, 29, v8
	v_sub_nc_u32_e32 v8, 30, v8
	v_lshlrev_b32_e32 v9, v9, v4
	v_bfe_u32 v4, v4, 2, 5
	s_delay_alu instid0(VALU_DEP_1) | instskip(NEXT) | instid1(VALU_DEP_3)
	v_cmp_eq_u32_e32 vcc_lo, 0, v4
	v_dual_cndmask_b32 v4, v4, v8 :: v_dual_and_b32 v9, 3, v9
	s_delay_alu instid0(VALU_DEP_1) | instskip(NEXT) | instid1(VALU_DEP_2)
	v_cndmask_b32_e32 v7, v7, v9, vcc_lo
	v_lshl_add_u32 v4, v4, 23, 0x37800000
	s_delay_alu instid0(VALU_DEP_2) | instskip(NEXT) | instid1(VALU_DEP_1)
	v_lshlrev_b32_e32 v7, 21, v7
	v_or3_b32 v8, v3, v4, v7
.LBB21_914:
	s_or_b32 exec_lo, exec_lo, s6
	s_mov_b32 s3, 0
	s_branch .LBB21_920
.LBB21_915:
	s_mov_b32 s3, -1
                                        ; implicit-def: $vgpr8
	s_branch .LBB21_926
.LBB21_916:
	s_or_saveexec_b32 s8, s8
	v_mov_b32_e32 v8, s7
	s_xor_b32 exec_lo, exec_lo, s8
	s_cbranch_execz .LBB21_899
.LBB21_917:
	v_cmp_ne_u16_e32 vcc_lo, 0, v3
	v_mov_b32_e32 v8, 0
	s_and_not1_b32 s6, s6, exec_lo
	s_and_b32 s7, vcc_lo, exec_lo
	s_delay_alu instid0(SALU_CYCLE_1)
	s_or_b32 s6, s6, s7
	s_or_b32 exec_lo, exec_lo, s8
	s_and_saveexec_b32 s7, s6
	s_cbranch_execnz .LBB21_900
	s_branch .LBB21_901
.LBB21_918:
	s_mov_b32 s3, -1
                                        ; implicit-def: $vgpr8
	s_branch .LBB21_923
.LBB21_919:
	s_mov_b32 s3, -1
                                        ; implicit-def: $vgpr8
.LBB21_920:
	s_delay_alu instid0(SALU_CYCLE_1)
	s_and_b32 vcc_lo, exec_lo, s3
	s_cbranch_vccz .LBB21_922
; %bb.921:
	global_load_u8 v3, v[1:2], off
	s_waitcnt vmcnt(0)
	v_lshlrev_b32_e32 v3, 24, v3
	s_delay_alu instid0(VALU_DEP_1) | instskip(NEXT) | instid1(VALU_DEP_1)
	v_and_b32_e32 v4, 0x7f000000, v3
	v_clz_i32_u32_e32 v7, v4
	v_cmp_ne_u32_e32 vcc_lo, 0, v4
	v_add_nc_u32_e32 v9, 0x1000000, v4
	s_delay_alu instid0(VALU_DEP_3) | instskip(NEXT) | instid1(VALU_DEP_1)
	v_min_u32_e32 v7, 32, v7
	v_sub_nc_u32_e64 v7, v7, 4 clamp
	s_delay_alu instid0(VALU_DEP_1) | instskip(SKIP_1) | instid1(VALU_DEP_2)
	v_lshlrev_b32_e32 v8, v7, v4
	v_lshlrev_b32_e32 v7, 23, v7
	v_lshrrev_b32_e32 v8, 4, v8
	s_delay_alu instid0(VALU_DEP_1) | instskip(SKIP_1) | instid1(VALU_DEP_2)
	v_sub_nc_u32_e32 v7, v8, v7
	v_ashrrev_i32_e32 v8, 8, v9
	v_add_nc_u32_e32 v7, 0x3c000000, v7
	s_delay_alu instid0(VALU_DEP_1) | instskip(NEXT) | instid1(VALU_DEP_1)
	v_and_or_b32 v7, 0x7f800000, v8, v7
	v_cndmask_b32_e32 v4, 0, v7, vcc_lo
	s_delay_alu instid0(VALU_DEP_1)
	v_and_or_b32 v8, 0x80000000, v3, v4
.LBB21_922:
	s_mov_b32 s3, 0
.LBB21_923:
	s_delay_alu instid0(SALU_CYCLE_1)
	s_and_not1_b32 vcc_lo, exec_lo, s3
	s_cbranch_vccnz .LBB21_925
; %bb.924:
	global_load_u8 v3, v[1:2], off
	s_waitcnt vmcnt(0)
	v_lshlrev_b32_e32 v4, 25, v3
	v_lshlrev_b16 v3, 8, v3
	s_delay_alu instid0(VALU_DEP_2) | instskip(NEXT) | instid1(VALU_DEP_2)
	v_lshrrev_b32_e32 v7, 4, v4
	v_and_or_b32 v8, 0x7f00, v3, 0.5
	v_cmp_gt_u32_e32 vcc_lo, 0x8000000, v4
	v_bfe_i32 v3, v3, 0, 16
	s_delay_alu instid0(VALU_DEP_4) | instskip(NEXT) | instid1(VALU_DEP_1)
	v_or_b32_e32 v7, 0x70000000, v7
	v_dual_add_f32 v8, -0.5, v8 :: v_dual_mul_f32 v7, 0x7800000, v7
	s_delay_alu instid0(VALU_DEP_1) | instskip(NEXT) | instid1(VALU_DEP_1)
	v_cndmask_b32_e32 v4, v7, v8, vcc_lo
	v_and_or_b32 v8, 0x80000000, v3, v4
.LBB21_925:
	s_mov_b32 s3, 0
	s_mov_b32 s6, -1
.LBB21_926:
	s_and_not1_b32 vcc_lo, exec_lo, s3
	s_mov_b32 s3, 0
	s_cbranch_vccnz .LBB21_937
; %bb.927:
	v_cmp_lt_i16_e32 vcc_lo, 14, v6
	s_cbranch_vccz .LBB21_930
; %bb.928:
	v_cmp_eq_u16_e32 vcc_lo, 15, v6
	s_cbranch_vccz .LBB21_933
; %bb.929:
	global_load_u16 v3, v[1:2], off
	s_mov_b32 s2, 0
	s_mov_b32 s6, -1
	s_waitcnt vmcnt(0)
	v_lshlrev_b32_e32 v8, 16, v3
	s_branch .LBB21_935
.LBB21_930:
	s_mov_b32 s3, -1
	s_branch .LBB21_934
.LBB21_931:
	s_or_saveexec_b32 s7, s7
	v_mov_b32_e32 v8, s6
	s_xor_b32 exec_lo, exec_lo, s7
	s_cbranch_execz .LBB21_912
.LBB21_932:
	v_cmp_ne_u16_e32 vcc_lo, 0, v3
	v_mov_b32_e32 v8, 0
	s_and_not1_b32 s3, s3, exec_lo
	s_and_b32 s6, vcc_lo, exec_lo
	s_delay_alu instid0(SALU_CYCLE_1)
	s_or_b32 s3, s3, s6
	s_or_b32 exec_lo, exec_lo, s7
	s_and_saveexec_b32 s6, s3
	s_cbranch_execnz .LBB21_913
	s_branch .LBB21_914
.LBB21_933:
	s_mov_b32 s2, -1
.LBB21_934:
                                        ; implicit-def: $vgpr8
.LBB21_935:
	s_and_b32 vcc_lo, exec_lo, s3
	s_mov_b32 s3, 0
	s_cbranch_vccz .LBB21_937
; %bb.936:
	v_cmp_ne_u16_e32 vcc_lo, 11, v6
	s_and_not1_b32 s2, s2, exec_lo
	s_mov_b32 s3, -1
                                        ; implicit-def: $vgpr8
	s_and_b32 s7, vcc_lo, exec_lo
	s_delay_alu instid0(SALU_CYCLE_1)
	s_or_b32 s2, s2, s7
.LBB21_937:
	s_mov_b32 s7, 0
.LBB21_938:
	s_and_b32 s41, s6, exec_lo
	s_and_b32 s42, s7, exec_lo
	s_and_not1_b32 s6, s22, exec_lo
	s_and_b32 s7, s2, exec_lo
	s_and_b32 s2, s3, exec_lo
	s_or_b32 s43, s6, s7
.LBB21_939:
	s_or_b32 exec_lo, exec_lo, s30
	s_waitcnt lgkmcnt(0)
	s_and_not1_b32 s6, s22, exec_lo
	s_and_b32 s7, s43, exec_lo
	s_and_b32 s41, s41, exec_lo
	;; [unrolled: 1-line block ×4, first 2 shown]
	s_or_b32 s22, s6, s7
.LBB21_940:
	s_or_b32 exec_lo, exec_lo, s40
	s_waitcnt lgkmcnt(0)
	s_and_not1_b32 s6, s38, exec_lo
	s_and_b32 s7, s23, exec_lo
	s_and_b32 s40, s41, exec_lo
	s_or_b32 s38, s6, s7
	s_and_not1_b32 s6, s37, exec_lo
	s_and_b32 s7, s22, exec_lo
	s_and_b32 s23, s3, exec_lo
	;; [unrolled: 1-line block ×3, first 2 shown]
	s_or_b32 s37, s6, s7
.LBB21_941:
	s_or_b32 exec_lo, exec_lo, s39
	s_delay_alu instid0(SALU_CYCLE_1)
	s_and_not1_b32 s2, s34, exec_lo
	s_waitcnt lgkmcnt(0)
	s_and_b32 s6, s38, exec_lo
	s_and_b32 s7, s37, exec_lo
	s_or_b32 s34, s2, s6
	s_and_not1_b32 s6, s35, exec_lo
	s_and_b32 s2, s40, exec_lo
	s_and_b32 s22, s23, exec_lo
	;; [unrolled: 1-line block ×3, first 2 shown]
	s_or_b32 s35, s6, s7
.LBB21_942:
	s_or_b32 exec_lo, exec_lo, s36
	s_waitcnt lgkmcnt(0)
	s_mov_b32 s6, 0
	s_and_saveexec_b32 s3, s35
	s_cbranch_execnz .LBB21_954
; %bb.943:
	s_or_b32 exec_lo, exec_lo, s3
	s_and_saveexec_b32 s3, s37
	s_delay_alu instid0(SALU_CYCLE_1)
	s_xor_b32 s3, exec_lo, s3
	s_cbranch_execz .LBB21_945
.LBB21_944:
	global_load_u8 v3, v[1:2], off
	s_or_b32 s2, s2, exec_lo
	s_waitcnt vmcnt(0)
	v_cmp_ne_u16_e32 vcc_lo, 0, v3
	v_cndmask_b32_e64 v8, 0, 1.0, vcc_lo
.LBB21_945:
	s_or_b32 exec_lo, exec_lo, s3
	s_and_saveexec_b32 s3, s22
	s_cbranch_execz .LBB21_993
; %bb.946:
	v_cmp_gt_i16_e32 vcc_lo, 5, v6
	s_cbranch_vccnz .LBB21_951
; %bb.947:
	v_cmp_gt_i16_e32 vcc_lo, 8, v6
	s_cbranch_vccnz .LBB21_952
	;; [unrolled: 3-line block ×3, first 2 shown]
; %bb.949:
	v_cmp_lt_i16_e32 vcc_lo, 9, v6
	s_cbranch_vccz .LBB21_956
; %bb.950:
	global_load_b64 v[3:4], v[1:2], off
	s_mov_b32 s7, 0
	s_waitcnt vmcnt(0)
	v_cvt_f32_f64_e32 v8, v[3:4]
	s_branch .LBB21_957
.LBB21_951:
                                        ; implicit-def: $vgpr8
	s_branch .LBB21_974
.LBB21_952:
                                        ; implicit-def: $vgpr8
	s_branch .LBB21_963
.LBB21_953:
	s_mov_b32 s7, -1
                                        ; implicit-def: $vgpr8
	s_branch .LBB21_960
.LBB21_954:
	s_cbranch_execnz .LBB21_1236
; %bb.955:
	s_mov_b32 s6, exec_lo
	s_and_not1_b32 s37, s37, exec_lo
                                        ; implicit-def: $vgpr8
	s_or_b32 exec_lo, exec_lo, s3
	s_and_saveexec_b32 s3, s37
	s_delay_alu instid0(SALU_CYCLE_1)
	s_xor_b32 s3, exec_lo, s3
	s_cbranch_execnz .LBB21_944
	s_branch .LBB21_945
.LBB21_956:
	s_mov_b32 s7, -1
                                        ; implicit-def: $vgpr8
.LBB21_957:
	s_delay_alu instid0(SALU_CYCLE_1)
	s_and_not1_b32 vcc_lo, exec_lo, s7
	s_cbranch_vccnz .LBB21_959
; %bb.958:
	global_load_b32 v8, v[1:2], off
.LBB21_959:
	s_mov_b32 s7, 0
.LBB21_960:
	s_delay_alu instid0(SALU_CYCLE_1)
	s_and_not1_b32 vcc_lo, exec_lo, s7
	s_cbranch_vccnz .LBB21_962
; %bb.961:
	global_load_b32 v3, v[1:2], off
	s_waitcnt vmcnt(0)
	v_cvt_f32_f16_e32 v8, v3
.LBB21_962:
	s_cbranch_execnz .LBB21_973
.LBB21_963:
	v_cmp_gt_i16_e32 vcc_lo, 6, v6
	s_cbranch_vccnz .LBB21_966
; %bb.964:
	v_cmp_lt_i16_e32 vcc_lo, 6, v6
	s_cbranch_vccz .LBB21_967
; %bb.965:
	global_load_b64 v[3:4], v[1:2], off
	s_mov_b32 s7, 0
	s_waitcnt vmcnt(0)
	v_cvt_f32_f64_e32 v8, v[3:4]
	s_branch .LBB21_968
.LBB21_966:
	s_mov_b32 s7, -1
                                        ; implicit-def: $vgpr8
	s_branch .LBB21_971
.LBB21_967:
	s_mov_b32 s7, -1
                                        ; implicit-def: $vgpr8
.LBB21_968:
	s_delay_alu instid0(SALU_CYCLE_1)
	s_and_not1_b32 vcc_lo, exec_lo, s7
	s_cbranch_vccnz .LBB21_970
; %bb.969:
	global_load_b32 v8, v[1:2], off
.LBB21_970:
	s_mov_b32 s7, 0
.LBB21_971:
	s_delay_alu instid0(SALU_CYCLE_1)
	s_and_not1_b32 vcc_lo, exec_lo, s7
	s_cbranch_vccnz .LBB21_973
; %bb.972:
	global_load_u16 v3, v[1:2], off
	s_waitcnt vmcnt(0)
	v_cvt_f32_f16_e32 v8, v3
.LBB21_973:
	s_cbranch_execnz .LBB21_992
.LBB21_974:
	v_cmp_gt_i16_e32 vcc_lo, 2, v6
	s_cbranch_vccnz .LBB21_978
; %bb.975:
	v_cmp_gt_i16_e32 vcc_lo, 3, v6
	s_cbranch_vccnz .LBB21_979
; %bb.976:
	v_cmp_lt_i16_e32 vcc_lo, 3, v6
	s_cbranch_vccz .LBB21_980
; %bb.977:
	global_load_b64 v[3:4], v[1:2], off
	s_mov_b32 s7, 0
	s_waitcnt vmcnt(0)
	v_xor_b32_e32 v7, v3, v4
	v_cls_i32_e32 v8, v4
	s_delay_alu instid0(VALU_DEP_2) | instskip(NEXT) | instid1(VALU_DEP_2)
	v_ashrrev_i32_e32 v7, 31, v7
	v_add_nc_u32_e32 v8, -1, v8
	s_delay_alu instid0(VALU_DEP_2) | instskip(NEXT) | instid1(VALU_DEP_1)
	v_add_nc_u32_e32 v7, 32, v7
	v_min_u32_e32 v7, v8, v7
	s_delay_alu instid0(VALU_DEP_1) | instskip(NEXT) | instid1(VALU_DEP_1)
	v_lshlrev_b64 v[3:4], v7, v[3:4]
	v_min_u32_e32 v3, 1, v3
	s_delay_alu instid0(VALU_DEP_1) | instskip(SKIP_1) | instid1(VALU_DEP_2)
	v_or_b32_e32 v3, v4, v3
	v_sub_nc_u32_e32 v4, 32, v7
	v_cvt_f32_i32_e32 v3, v3
	s_delay_alu instid0(VALU_DEP_1)
	v_ldexp_f32 v8, v3, v4
	s_branch .LBB21_981
.LBB21_978:
                                        ; implicit-def: $vgpr8
	s_branch .LBB21_987
.LBB21_979:
	s_mov_b32 s7, -1
                                        ; implicit-def: $vgpr8
	s_branch .LBB21_984
.LBB21_980:
	s_mov_b32 s7, -1
                                        ; implicit-def: $vgpr8
.LBB21_981:
	s_delay_alu instid0(SALU_CYCLE_1)
	s_and_not1_b32 vcc_lo, exec_lo, s7
	s_cbranch_vccnz .LBB21_983
; %bb.982:
	global_load_b32 v3, v[1:2], off
	s_waitcnt vmcnt(0)
	v_cvt_f32_i32_e32 v8, v3
.LBB21_983:
	s_mov_b32 s7, 0
.LBB21_984:
	s_delay_alu instid0(SALU_CYCLE_1)
	s_and_not1_b32 vcc_lo, exec_lo, s7
	s_cbranch_vccnz .LBB21_986
; %bb.985:
	global_load_i16 v3, v[1:2], off
	s_waitcnt vmcnt(0)
	v_cvt_f32_i32_e32 v8, v3
.LBB21_986:
	s_cbranch_execnz .LBB21_992
.LBB21_987:
	v_cmp_lt_i16_e32 vcc_lo, 0, v6
	s_mov_b32 s7, 0
	s_cbranch_vccz .LBB21_989
; %bb.988:
	global_load_i8 v3, v[1:2], off
	s_waitcnt vmcnt(0)
	v_cvt_f32_i32_e32 v8, v3
	s_branch .LBB21_990
.LBB21_989:
	s_mov_b32 s7, -1
                                        ; implicit-def: $vgpr8
.LBB21_990:
	s_delay_alu instid0(SALU_CYCLE_1)
	s_and_not1_b32 vcc_lo, exec_lo, s7
	s_cbranch_vccnz .LBB21_992
; %bb.991:
	global_load_u8 v1, v[1:2], off
	s_waitcnt vmcnt(0)
	v_cvt_f32_ubyte0_e32 v8, v1
.LBB21_992:
	s_or_b32 s2, s2, exec_lo
.LBB21_993:
	s_or_b32 exec_lo, exec_lo, s3
	s_mov_b32 s8, 0
	s_mov_b32 s3, 0
                                        ; implicit-def: $vgpr6
                                        ; implicit-def: $vgpr3_vgpr4
                                        ; implicit-def: $vgpr1
	s_and_saveexec_b32 s7, s2
	s_cbranch_execz .LBB21_1082
; %bb.994:
	v_mov_b32_e32 v1, 0x7f800000
	s_mov_b32 s8, exec_lo
	s_waitcnt vmcnt(0)
	s_delay_alu instid0(VALU_DEP_2)
	v_cmpx_neq_f32_e32 0, v8
	s_cbranch_execz .LBB21_1006
; %bb.995:
	v_mov_b32_e32 v1, 0x7fc00000
	s_mov_b32 s9, exec_lo
	v_cmpx_ngt_f32_e32 0, v8
	s_cbranch_execz .LBB21_1005
; %bb.996:
                                        ; implicit-def: $vgpr1
	s_mov_b32 s2, exec_lo
	v_cmpx_ge_f32_e32 2.0, v8
	s_xor_b32 s10, exec_lo, s2
	s_cbranch_execz .LBB21_1002
; %bb.997:
	v_mul_f32_e32 v1, 0.5, v8
	s_mov_b32 s2, exec_lo
                                        ; implicit-def: $vgpr3
                                        ; implicit-def: $vgpr2
	v_cmpx_ge_f32_e32 0x41000000, v8
	s_xor_b32 s2, exec_lo, s2
	s_cbranch_execz .LBB21_999
; %bb.998:
	v_add_f32_e32 v2, -2.0, v1
	v_mul_f32_e32 v6, 0x3fb8aa3b, v8
	s_mov_b32 s3, 0x224cf950
	v_cmp_ngt_f32_e32 vcc_lo, 0xc2ce8ed0, v8
	s_delay_alu instid0(VALU_DEP_2) | instskip(SKIP_2) | instid1(VALU_DEP_3)
	v_rndne_f32_e32 v7, v6
	v_fmaak_f32 v3, s3, v2, 0xa3c2be86
	v_fma_f32 v9, 0x3fb8aa3b, v8, -v6
	v_sub_f32_e32 v6, v6, v7
	s_delay_alu instid0(VALU_DEP_3) | instskip(NEXT) | instid1(VALU_DEP_3)
	v_fmaak_f32 v4, v2, v3, 0xa24cf950
	v_fmamk_f32 v9, v8, 0x32a5705f, v9
	s_delay_alu instid0(VALU_DEP_2) | instskip(NEXT) | instid1(VALU_DEP_2)
	v_add_f32_e32 v4, 0x25331f1f, v4
	v_add_f32_e32 v6, v6, v9
	s_delay_alu instid0(VALU_DEP_2) | instskip(NEXT) | instid1(VALU_DEP_1)
	v_fma_f32 v3, v2, v4, -v3
	v_add_f32_e32 v3, 0xa69f5554, v3
	s_delay_alu instid0(VALU_DEP_1) | instskip(NEXT) | instid1(VALU_DEP_1)
	v_fma_f32 v4, v2, v3, -v4
	v_add_f32_e32 v4, 0x2808ebf8, v4
	s_delay_alu instid0(VALU_DEP_1) | instskip(NEXT) | instid1(VALU_DEP_1)
	;; [unrolled: 3-line block ×24, first 2 shown]
	v_fma_f32 v3, v2, v4, -v3
	v_add_f32_e32 v3, 0xbe34a688, v3
	s_delay_alu instid0(VALU_DEP_1) | instskip(SKIP_2) | instid1(VALU_DEP_2)
	v_fma_f32 v2, v2, v3, -v4
	v_exp_f32_e32 v3, v6
	v_cvt_i32_f32_e32 v6, v7
	v_add_f32_e32 v2, 0x3e81531c, v2
	s_delay_alu instid0(VALU_DEP_1) | instskip(SKIP_2) | instid1(VALU_DEP_1)
	v_sub_f32_e32 v2, v2, v4
	s_waitcnt_depctr 0xfff
	v_ldexp_f32 v3, v3, v6
	v_dual_mul_f32 v2, 0.5, v2 :: v_dual_cndmask_b32 v3, 0, v3
	v_cmp_nlt_f32_e32 vcc_lo, 0x42b17218, v8
	s_delay_alu instid0(VALU_DEP_2) | instskip(NEXT) | instid1(VALU_DEP_3)
	v_mul_f32_e32 v4, v8, v2
	v_cndmask_b32_e32 v2, 0x7f800000, v3, vcc_lo
	s_delay_alu instid0(VALU_DEP_1)
	v_mul_f32_e32 v3, v2, v4
.LBB21_999:
	s_and_not1_saveexec_b32 s3, s2
	s_cbranch_execz .LBB21_1001
; %bb.1000:
	v_div_scale_f32 v2, null, v8, v8, 0x42000000
	v_div_scale_f32 v6, vcc_lo, 0x42000000, v8, 0x42000000
	s_mov_b32 s2, 0x230aab6e
	s_delay_alu instid0(VALU_DEP_2) | instskip(SKIP_2) | instid1(VALU_DEP_1)
	v_rcp_f32_e32 v3, v2
	s_waitcnt_depctr 0xfff
	v_fma_f32 v4, -v2, v3, 1.0
	v_fmac_f32_e32 v3, v4, v3
	s_delay_alu instid0(VALU_DEP_1) | instskip(NEXT) | instid1(VALU_DEP_1)
	v_mul_f32_e32 v4, v6, v3
	v_fma_f32 v7, -v2, v4, v6
	s_delay_alu instid0(VALU_DEP_1) | instskip(NEXT) | instid1(VALU_DEP_1)
	v_dual_fmac_f32 v4, v7, v3 :: v_dual_mul_f32 v7, 0x3fb8aa3b, v8
	v_fma_f32 v2, -v2, v4, v6
	s_delay_alu instid0(VALU_DEP_2) | instskip(SKIP_2) | instid1(VALU_DEP_4)
	v_rndne_f32_e32 v9, v7
	v_fma_f32 v10, 0x3fb8aa3b, v8, -v7
	v_mul_f32_e32 v6, 0x4f800000, v8
	v_div_fmas_f32 v2, v2, v3, v4
	v_cmp_gt_f32_e32 vcc_lo, 0xf800000, v8
	s_delay_alu instid0(VALU_DEP_4) | instskip(SKIP_1) | instid1(VALU_DEP_4)
	v_dual_fmamk_f32 v10, v8, 0x32a5705f, v10 :: v_dual_sub_f32 v7, v7, v9
	v_cvt_i32_f32_e32 v9, v9
	v_div_fixup_f32 v2, v2, v8, 0x42000000
	v_cndmask_b32_e32 v6, v8, v6, vcc_lo
	s_delay_alu instid0(VALU_DEP_4) | instskip(NEXT) | instid1(VALU_DEP_3)
	v_add_f32_e32 v7, v7, v10
	v_add_f32_e32 v2, -2.0, v2
	s_delay_alu instid0(VALU_DEP_3) | instskip(NEXT) | instid1(VALU_DEP_2)
	v_sqrt_f32_e32 v11, v6
	v_exp_f32_e32 v7, v7
	s_delay_alu instid0(VALU_DEP_1) | instskip(NEXT) | instid1(VALU_DEP_1)
	v_fmaak_f32 v3, s2, v2, 0x22a2dc57
	v_fmaak_f32 v4, v2, v3, 0xa30aab6e
	s_waitcnt_depctr 0xfff
	v_add_nc_u32_e32 v10, -1, v11
	v_add_nc_u32_e32 v12, 1, v11
	v_add_f32_e32 v4, 0xa456751e, v4
	s_delay_alu instid0(VALU_DEP_3) | instskip(NEXT) | instid1(VALU_DEP_3)
	v_fma_f32 v13, -v10, v11, v6
	v_fma_f32 v14, -v12, v11, v6
	s_delay_alu instid0(VALU_DEP_3) | instskip(NEXT) | instid1(VALU_DEP_3)
	v_fma_f32 v3, v2, v4, -v3
	v_cmp_ge_f32_e64 s2, 0, v13
	s_delay_alu instid0(VALU_DEP_2) | instskip(NEXT) | instid1(VALU_DEP_2)
	v_add_f32_e32 v3, 0xa4140365, v3
	v_cndmask_b32_e64 v10, v11, v10, s2
	v_cmp_lt_f32_e64 s2, 0, v14
	s_delay_alu instid0(VALU_DEP_3) | instskip(NEXT) | instid1(VALU_DEP_1)
	v_fma_f32 v4, v2, v3, -v4
	v_add_f32_e32 v4, 0x25aac8b0, v4
	s_delay_alu instid0(VALU_DEP_1) | instskip(NEXT) | instid1(VALU_DEP_1)
	v_fma_f32 v3, v2, v4, -v3
	v_add_f32_e32 v3, 0x25beb473, v3
	s_delay_alu instid0(VALU_DEP_1) | instskip(NEXT) | instid1(VALU_DEP_1)
	;; [unrolled: 3-line block ×19, first 2 shown]
	v_fma_f32 v3, v2, v4, -v3
	v_add_f32_e32 v3, 0xbc1fed03, v3
	s_delay_alu instid0(VALU_DEP_1) | instskip(SKIP_3) | instid1(VALU_DEP_4)
	v_fma_f32 v2, v2, v3, -v4
	v_ldexp_f32 v3, v7, v9
	v_cndmask_b32_e64 v7, v10, v12, s2
	v_cmp_ngt_f32_e64 s2, 0xc2ce8ed0, v8
	v_add_f32_e32 v2, 0x3f4750c6, v2
	s_delay_alu instid0(VALU_DEP_3) | instskip(NEXT) | instid1(VALU_DEP_3)
	v_mul_f32_e32 v9, 0x37800000, v7
	v_cndmask_b32_e64 v3, 0, v3, s2
	v_cmp_nlt_f32_e64 s2, 0x42b17218, v8
	s_delay_alu instid0(VALU_DEP_4) | instskip(NEXT) | instid1(VALU_DEP_2)
	v_sub_f32_e32 v4, v2, v4
	v_cndmask_b32_e64 v2, 0x7f800000, v3, s2
	s_delay_alu instid0(VALU_DEP_2) | instskip(SKIP_1) | instid1(VALU_DEP_2)
	v_dual_cndmask_b32 v3, v7, v9 :: v_dual_mul_f32 v4, 0.5, v4
	v_cmp_class_f32_e64 vcc_lo, v6, 0x260
	v_dual_mul_f32 v4, v2, v4 :: v_dual_cndmask_b32 v3, v3, v6
	s_delay_alu instid0(VALU_DEP_1) | instskip(NEXT) | instid1(VALU_DEP_1)
	v_div_scale_f32 v6, null, v3, v3, v4
	v_rcp_f32_e32 v7, v6
	s_waitcnt_depctr 0xfff
	v_fma_f32 v9, -v6, v7, 1.0
	s_delay_alu instid0(VALU_DEP_1) | instskip(SKIP_1) | instid1(VALU_DEP_1)
	v_fmac_f32_e32 v7, v9, v7
	v_div_scale_f32 v9, vcc_lo, v4, v3, v4
	v_mul_f32_e32 v10, v9, v7
	s_delay_alu instid0(VALU_DEP_1) | instskip(NEXT) | instid1(VALU_DEP_1)
	v_fma_f32 v11, -v6, v10, v9
	v_fmac_f32_e32 v10, v11, v7
	s_delay_alu instid0(VALU_DEP_1) | instskip(NEXT) | instid1(VALU_DEP_1)
	v_fma_f32 v6, -v6, v10, v9
	v_div_fmas_f32 v6, v6, v7, v10
	s_delay_alu instid0(VALU_DEP_1)
	v_div_fixup_f32 v3, v6, v3, v4
.LBB21_1001:
	s_or_b32 exec_lo, exec_lo, s3
	v_fma_f32 v4, v8, v8, -2.0
	s_mov_b32 s2, 0xa3019142
	v_cmp_gt_f32_e32 vcc_lo, 0x800000, v1
	s_delay_alu instid0(VALU_DEP_2) | instskip(NEXT) | instid1(VALU_DEP_1)
	v_fmaak_f32 v6, s2, v4, 0xa72eea8c
	v_fmaak_f32 v7, v4, v6, 0x23019142
	s_delay_alu instid0(VALU_DEP_1) | instskip(NEXT) | instid1(VALU_DEP_1)
	v_add_f32_e32 v7, 0xab3ba817, v7
	v_fma_f32 v6, v4, v7, -v6
	s_delay_alu instid0(VALU_DEP_1) | instskip(NEXT) | instid1(VALU_DEP_1)
	v_add_f32_e32 v6, 0xaf1b31de, v6
	v_fma_f32 v7, v4, v6, -v7
	;; [unrolled: 3-line block ×8, first 2 shown]
	s_delay_alu instid0(VALU_DEP_1) | instskip(NEXT) | instid1(VALU_DEP_1)
	v_add_f32_e32 v4, 0x3fc33d0a, v4
	v_sub_f32_e32 v4, v4, v7
	v_cndmask_b32_e64 v7, 1.0, 0x4f800000, vcc_lo
	s_delay_alu instid0(VALU_DEP_1) | instskip(NEXT) | instid1(VALU_DEP_1)
	v_dual_mul_f32 v4, 0.5, v4 :: v_dual_mul_f32 v1, v1, v7
	v_div_scale_f32 v6, null, v8, v8, v4
	s_delay_alu instid0(VALU_DEP_2) | instskip(SKIP_1) | instid1(VALU_DEP_2)
	v_log_f32_e32 v1, v1
	v_div_scale_f32 v10, s2, v4, v8, v4
	v_rcp_f32_e32 v9, v6
	s_waitcnt_depctr 0xfff
	v_cmp_gt_f32_e64 s3, 0x7f800000, |v1|
	v_fma_f32 v7, -v6, v9, 1.0
	s_delay_alu instid0(VALU_DEP_1) | instskip(SKIP_1) | instid1(VALU_DEP_2)
	v_fmac_f32_e32 v9, v7, v9
	v_mul_f32_e32 v7, 0x3f317217, v1
	v_mul_f32_e32 v11, v10, v9
	s_delay_alu instid0(VALU_DEP_2) | instskip(NEXT) | instid1(VALU_DEP_2)
	v_fma_f32 v12, 0x3f317217, v1, -v7
	v_fma_f32 v13, -v6, v11, v10
	s_delay_alu instid0(VALU_DEP_2) | instskip(NEXT) | instid1(VALU_DEP_2)
	v_fmamk_f32 v12, v1, 0x3377d1cf, v12
	v_fmac_f32_e32 v11, v13, v9
	s_delay_alu instid0(VALU_DEP_2) | instskip(NEXT) | instid1(VALU_DEP_2)
	v_add_f32_e32 v7, v7, v12
	v_fma_f32 v6, -v6, v11, v10
	s_delay_alu instid0(VALU_DEP_2) | instskip(SKIP_2) | instid1(VALU_DEP_3)
	v_cndmask_b32_e64 v1, v1, v7, s3
	v_cndmask_b32_e64 v7, 0, 0x41b17218, vcc_lo
	s_mov_b32 vcc_lo, s2
	v_div_fmas_f32 v6, v6, v9, v11
	s_delay_alu instid0(VALU_DEP_2) | instskip(NEXT) | instid1(VALU_DEP_2)
	v_sub_f32_e32 v1, v1, v7
	v_div_fixup_f32 v4, v6, v8, v4
                                        ; implicit-def: $vgpr8
	s_delay_alu instid0(VALU_DEP_1) | instskip(NEXT) | instid1(VALU_DEP_1)
	v_fmac_f32_e32 v4, v1, v3
	v_mul_f32_e32 v1, v2, v4
.LBB21_1002:
	s_and_not1_saveexec_b32 s3, s10
	s_cbranch_execz .LBB21_1004
; %bb.1003:
	v_div_scale_f32 v1, null, v8, v8, 0x41000000
	v_div_scale_f32 v4, vcc_lo, 0x41000000, v8, 0x41000000
	s_mov_b32 s2, 0xa2d462ea
	s_delay_alu instid0(VALU_DEP_2) | instskip(SKIP_2) | instid1(VALU_DEP_1)
	v_rcp_f32_e32 v2, v1
	s_waitcnt_depctr 0xfff
	v_fma_f32 v3, -v1, v2, 1.0
	v_fmac_f32_e32 v2, v3, v2
	s_delay_alu instid0(VALU_DEP_1) | instskip(NEXT) | instid1(VALU_DEP_1)
	v_mul_f32_e32 v3, v4, v2
	v_fma_f32 v6, -v1, v3, v4
	s_delay_alu instid0(VALU_DEP_1) | instskip(NEXT) | instid1(VALU_DEP_1)
	v_fmac_f32_e32 v3, v6, v2
	v_fma_f32 v1, -v1, v3, v4
	v_mul_f32_e32 v4, 0x4f800000, v8
	s_delay_alu instid0(VALU_DEP_2) | instskip(SKIP_1) | instid1(VALU_DEP_2)
	v_div_fmas_f32 v1, v1, v2, v3
	v_cmp_gt_f32_e32 vcc_lo, 0xf800000, v8
	v_div_fixup_f32 v1, v1, v8, 0x41000000
	s_delay_alu instid0(VALU_DEP_1) | instskip(NEXT) | instid1(VALU_DEP_1)
	v_dual_cndmask_b32 v4, v8, v4 :: v_dual_add_f32 v1, -2.0, v1
	v_sqrt_f32_e32 v6, v4
	s_delay_alu instid0(VALU_DEP_1) | instskip(NEXT) | instid1(VALU_DEP_1)
	v_fmaak_f32 v2, s2, v1, 0x23a578d4
	v_fmaak_f32 v3, v1, v2, 0x22d462ea
	s_waitcnt_depctr 0xfff
	v_add_nc_u32_e32 v7, -1, v6
	v_dual_add_f32 v3, 0xa48330a9, v3 :: v_dual_add_nc_u32 v8, 1, v6
	s_delay_alu instid0(VALU_DEP_2) | instskip(NEXT) | instid1(VALU_DEP_2)
	v_fma_f32 v9, -v7, v6, v4
	v_fma_f32 v10, -v8, v6, v4
	s_delay_alu instid0(VALU_DEP_3) | instskip(NEXT) | instid1(VALU_DEP_3)
	v_fma_f32 v2, v1, v3, -v2
	v_cmp_ge_f32_e64 s2, 0, v9
	s_delay_alu instid0(VALU_DEP_2) | instskip(NEXT) | instid1(VALU_DEP_2)
	v_add_f32_e32 v2, 0x2553eaf2, v2
	v_cndmask_b32_e64 v6, v6, v7, s2
	v_cmp_lt_f32_e64 s2, 0, v10
	s_delay_alu instid0(VALU_DEP_3) | instskip(NEXT) | instid1(VALU_DEP_2)
	v_fma_f32 v3, v1, v2, -v3
	v_cndmask_b32_e64 v6, v6, v8, s2
	s_delay_alu instid0(VALU_DEP_2) | instskip(NEXT) | instid1(VALU_DEP_1)
	v_add_f32_e32 v3, 0xa62e951f, v3
	v_fma_f32 v2, v1, v3, -v2
	s_delay_alu instid0(VALU_DEP_1) | instskip(NEXT) | instid1(VALU_DEP_1)
	v_add_f32_e32 v2, 0x2712e76f, v2
	v_fma_f32 v3, v1, v2, -v3
	s_delay_alu instid0(VALU_DEP_1) | instskip(NEXT) | instid1(VALU_DEP_1)
	;; [unrolled: 3-line block ×19, first 2 shown]
	v_add_f32_e32 v2, 0x3dd4d5f8, v2
	v_fma_f32 v1, v1, v2, -v3
	v_mul_f32_e32 v2, 0x37800000, v6
	s_delay_alu instid0(VALU_DEP_1) | instskip(SKIP_1) | instid1(VALU_DEP_2)
	v_dual_add_f32 v1, 0x402e1ebd, v1 :: v_dual_cndmask_b32 v2, v6, v2
	v_cmp_class_f32_e64 vcc_lo, v4, 0x260
	v_dual_sub_f32 v1, v1, v3 :: v_dual_cndmask_b32 v2, v2, v4
	s_delay_alu instid0(VALU_DEP_1) | instskip(NEXT) | instid1(VALU_DEP_1)
	v_mul_f32_e32 v1, 0.5, v1
	v_div_scale_f32 v3, null, v2, v2, v1
	s_delay_alu instid0(VALU_DEP_1) | instskip(SKIP_2) | instid1(VALU_DEP_1)
	v_rcp_f32_e32 v4, v3
	s_waitcnt_depctr 0xfff
	v_fma_f32 v6, -v3, v4, 1.0
	v_fmac_f32_e32 v4, v6, v4
	v_div_scale_f32 v6, vcc_lo, v1, v2, v1
	s_delay_alu instid0(VALU_DEP_1) | instskip(NEXT) | instid1(VALU_DEP_1)
	v_mul_f32_e32 v7, v6, v4
	v_fma_f32 v8, -v3, v7, v6
	s_delay_alu instid0(VALU_DEP_1) | instskip(NEXT) | instid1(VALU_DEP_1)
	v_fmac_f32_e32 v7, v8, v4
	v_fma_f32 v3, -v3, v7, v6
	s_delay_alu instid0(VALU_DEP_1) | instskip(NEXT) | instid1(VALU_DEP_1)
	v_div_fmas_f32 v3, v3, v4, v7
	v_div_fixup_f32 v1, v3, v2, v1
.LBB21_1004:
	s_or_b32 exec_lo, exec_lo, s3
.LBB21_1005:
	s_delay_alu instid0(SALU_CYCLE_1)
	s_or_b32 exec_lo, exec_lo, s9
.LBB21_1006:
	s_delay_alu instid0(SALU_CYCLE_1) | instskip(SKIP_2) | instid1(VALU_DEP_1)
	s_or_b32 exec_lo, exec_lo, s8
	v_and_b32_e32 v6, 0xff, v5
	v_add_co_u32 v3, s2, s4, v0
	v_add_co_ci_u32_e64 v4, null, s5, 0, s2
	s_delay_alu instid0(VALU_DEP_3)
	v_cmp_gt_i16_e32 vcc_lo, 11, v6
	s_mov_b32 s8, 0
	s_mov_b32 s3, -1
	s_mov_b32 s2, s34
	s_cbranch_vccnz .LBB21_1081
; %bb.1007:
	v_cmp_lt_i16_e32 vcc_lo, 25, v6
	s_mov_b32 s2, s34
	s_cbranch_vccz .LBB21_1040
; %bb.1008:
	v_cmp_lt_i16_e32 vcc_lo, 28, v6
	s_mov_b32 s2, s34
	s_cbranch_vccz .LBB21_1024
	;; [unrolled: 4-line block ×4, first 2 shown]
; %bb.1011:
	v_cmp_eq_u16_e32 vcc_lo, 46, v6
	s_mov_b32 s2, -1
	s_cbranch_vccz .LBB21_1013
; %bb.1012:
	v_bfe_u32 v0, v1, 16, 1
	v_cmp_o_f32_e32 vcc_lo, v1, v1
	s_mov_b32 s2, 0
	s_delay_alu instid0(VALU_DEP_2) | instskip(NEXT) | instid1(VALU_DEP_1)
	v_add3_u32 v0, v1, v0, 0x7fff
	v_lshrrev_b32_e32 v0, 16, v0
	s_delay_alu instid0(VALU_DEP_1)
	v_cndmask_b32_e32 v0, 0x7fc0, v0, vcc_lo
	global_store_b32 v[3:4], v0, off
.LBB21_1013:
	s_mov_b32 s3, 0
.LBB21_1014:
	s_delay_alu instid0(SALU_CYCLE_1)
	s_and_b32 vcc_lo, exec_lo, s3
	s_cbranch_vccz .LBB21_1019
; %bb.1015:
	v_cmp_eq_u16_e32 vcc_lo, 44, v6
	s_mov_b32 s2, -1
	s_cbranch_vccz .LBB21_1019
; %bb.1016:
	v_bfe_u32 v2, v1, 23, 8
	v_mov_b32_e32 v0, 0xff
	s_mov_b32 s3, exec_lo
	s_delay_alu instid0(VALU_DEP_2)
	v_cmpx_ne_u32_e32 0xff, v2
; %bb.1017:
	v_and_b32_e32 v0, 0x400000, v1
	v_and_or_b32 v2, 0x3fffff, v1, v2
	s_delay_alu instid0(VALU_DEP_2) | instskip(NEXT) | instid1(VALU_DEP_2)
	v_cmp_ne_u32_e32 vcc_lo, 0, v0
	v_cmp_ne_u32_e64 s2, 0, v2
	v_lshrrev_b32_e32 v0, 23, v1
	s_delay_alu instid0(VALU_DEP_2) | instskip(NEXT) | instid1(SALU_CYCLE_1)
	s_and_b32 s2, vcc_lo, s2
	v_cndmask_b32_e64 v2, 0, 1, s2
	s_delay_alu instid0(VALU_DEP_1)
	v_add_nc_u32_e32 v0, v0, v2
; %bb.1018:
	s_or_b32 exec_lo, exec_lo, s3
	s_mov_b32 s2, 0
	global_store_b8 v[3:4], v0, off
.LBB21_1019:
	s_mov_b32 s3, 0
.LBB21_1020:
	s_delay_alu instid0(SALU_CYCLE_1)
	s_and_b32 vcc_lo, exec_lo, s3
	s_cbranch_vccz .LBB21_1023
; %bb.1021:
	v_cmp_eq_u16_e32 vcc_lo, 29, v6
	s_mov_b32 s2, -1
	s_cbranch_vccz .LBB21_1023
; %bb.1022:
	v_trunc_f32_e32 v0, v1
	s_mov_b32 s2, 0
	s_delay_alu instid0(VALU_DEP_1) | instskip(NEXT) | instid1(VALU_DEP_1)
	v_mul_f32_e32 v2, 0x2f800000, v0
	v_floor_f32_e32 v2, v2
	s_delay_alu instid0(VALU_DEP_1) | instskip(SKIP_1) | instid1(VALU_DEP_2)
	v_fmamk_f32 v0, v2, 0xcf800000, v0
	v_cvt_u32_f32_e32 v8, v2
	v_cvt_u32_f32_e32 v7, v0
	global_store_b64 v[3:4], v[7:8], off
.LBB21_1023:
	s_mov_b32 s3, 0
.LBB21_1024:
	s_delay_alu instid0(SALU_CYCLE_1)
	s_and_b32 vcc_lo, exec_lo, s3
	s_cbranch_vccz .LBB21_1039
; %bb.1025:
	v_cmp_gt_i16_e32 vcc_lo, 27, v6
	s_mov_b32 s3, -1
	s_cbranch_vccnz .LBB21_1031
; %bb.1026:
	v_cmp_lt_i16_e32 vcc_lo, 27, v6
	v_cvt_u32_f32_e32 v0, v1
	s_cbranch_vccz .LBB21_1028
; %bb.1027:
	s_mov_b32 s3, 0
	global_store_b32 v[3:4], v0, off
.LBB21_1028:
	s_and_not1_b32 vcc_lo, exec_lo, s3
	s_cbranch_vccnz .LBB21_1030
; %bb.1029:
	global_store_b16 v[3:4], v0, off
.LBB21_1030:
	s_mov_b32 s3, 0
.LBB21_1031:
	s_delay_alu instid0(SALU_CYCLE_1)
	s_and_not1_b32 vcc_lo, exec_lo, s3
	s_cbranch_vccnz .LBB21_1039
; %bb.1032:
	v_and_b32_e32 v0, 0x7fffffff, v1
	v_mov_b32_e32 v2, 0x80
	s_mov_b32 s3, exec_lo
	s_delay_alu instid0(VALU_DEP_2)
	v_cmpx_gt_u32_e32 0x43800000, v0
	s_cbranch_execz .LBB21_1038
; %bb.1033:
	v_cmp_lt_u32_e32 vcc_lo, 0x3bffffff, v0
	s_mov_b32 s4, 0
                                        ; implicit-def: $vgpr0
	s_and_saveexec_b32 s5, vcc_lo
	s_delay_alu instid0(SALU_CYCLE_1)
	s_xor_b32 s5, exec_lo, s5
	s_cbranch_execz .LBB21_1339
; %bb.1034:
	v_bfe_u32 v0, v1, 20, 1
	s_mov_b32 s4, exec_lo
	s_delay_alu instid0(VALU_DEP_1) | instskip(NEXT) | instid1(VALU_DEP_1)
	v_add3_u32 v0, v1, v0, 0x487ffff
	v_lshrrev_b32_e32 v0, 20, v0
	s_or_saveexec_b32 s5, s5
                                        ; implicit-def: $sgpr8
	s_delay_alu instid0(SALU_CYCLE_1)
	s_xor_b32 exec_lo, exec_lo, s5
	s_cbranch_execnz .LBB21_1340
.LBB21_1035:
	s_or_b32 exec_lo, exec_lo, s5
	v_mov_b32_e32 v2, s8
	s_and_saveexec_b32 s5, s4
.LBB21_1036:
	v_lshrrev_b32_e32 v2, 24, v1
	s_delay_alu instid0(VALU_DEP_1)
	v_and_or_b32 v2, 0x80, v2, v0
.LBB21_1037:
	s_or_b32 exec_lo, exec_lo, s5
.LBB21_1038:
	s_delay_alu instid0(SALU_CYCLE_1)
	s_or_b32 exec_lo, exec_lo, s3
	global_store_b8 v[3:4], v2, off
.LBB21_1039:
	s_mov_b32 s3, 0
.LBB21_1040:
	s_delay_alu instid0(SALU_CYCLE_1)
	s_and_b32 vcc_lo, exec_lo, s3
	s_mov_b32 s3, 0
	s_cbranch_vccz .LBB21_1080
; %bb.1041:
	v_cmp_lt_i16_e32 vcc_lo, 22, v6
	s_mov_b32 s4, -1
	s_cbranch_vccz .LBB21_1073
; %bb.1042:
	v_cmp_gt_i16_e32 vcc_lo, 24, v6
	s_cbranch_vccnz .LBB21_1062
; %bb.1043:
	v_cmp_lt_i16_e32 vcc_lo, 24, v6
	s_cbranch_vccz .LBB21_1051
; %bb.1044:
	v_and_b32_e32 v0, 0x7fffffff, v1
	v_mov_b32_e32 v2, 0x80
	s_mov_b32 s4, exec_lo
	s_delay_alu instid0(VALU_DEP_2)
	v_cmpx_gt_u32_e32 0x47800000, v0
	s_cbranch_execz .LBB21_1050
; %bb.1045:
	v_cmp_lt_u32_e32 vcc_lo, 0x37ffffff, v0
	s_mov_b32 s5, 0
                                        ; implicit-def: $vgpr0
	s_and_saveexec_b32 s8, vcc_lo
	s_delay_alu instid0(SALU_CYCLE_1)
	s_xor_b32 s8, exec_lo, s8
	s_cbranch_execz .LBB21_1383
; %bb.1046:
	v_bfe_u32 v0, v1, 21, 1
	s_mov_b32 s5, exec_lo
	s_delay_alu instid0(VALU_DEP_1) | instskip(NEXT) | instid1(VALU_DEP_1)
	v_add3_u32 v0, v1, v0, 0x88fffff
	v_lshrrev_b32_e32 v0, 21, v0
	s_or_saveexec_b32 s8, s8
                                        ; implicit-def: $sgpr9
	s_delay_alu instid0(SALU_CYCLE_1)
	s_xor_b32 exec_lo, exec_lo, s8
	s_cbranch_execnz .LBB21_1384
.LBB21_1047:
	s_or_b32 exec_lo, exec_lo, s8
	v_mov_b32_e32 v2, s9
	s_and_saveexec_b32 s8, s5
.LBB21_1048:
	v_lshrrev_b32_e32 v2, 24, v1
	s_delay_alu instid0(VALU_DEP_1)
	v_and_or_b32 v2, 0x80, v2, v0
.LBB21_1049:
	s_or_b32 exec_lo, exec_lo, s8
.LBB21_1050:
	s_delay_alu instid0(SALU_CYCLE_1)
	s_or_b32 exec_lo, exec_lo, s4
	s_mov_b32 s4, 0
	global_store_b8 v[3:4], v2, off
.LBB21_1051:
	s_and_b32 vcc_lo, exec_lo, s4
	s_cbranch_vccz .LBB21_1061
; %bb.1052:
	v_and_b32_e32 v2, 0x7fffffff, v1
	s_mov_b32 s4, exec_lo
                                        ; implicit-def: $vgpr0
	s_delay_alu instid0(VALU_DEP_1)
	v_cmpx_gt_u32_e32 0x43f00000, v2
	s_xor_b32 s4, exec_lo, s4
	s_cbranch_execz .LBB21_1058
; %bb.1053:
	s_mov_b32 s5, exec_lo
                                        ; implicit-def: $vgpr0
	v_cmpx_lt_u32_e32 0x3c7fffff, v2
	s_xor_b32 s5, exec_lo, s5
; %bb.1054:
	v_bfe_u32 v0, v1, 20, 1
	s_delay_alu instid0(VALU_DEP_1) | instskip(NEXT) | instid1(VALU_DEP_1)
	v_add3_u32 v0, v1, v0, 0x407ffff
	v_and_b32_e32 v2, 0xff00000, v0
	v_lshrrev_b32_e32 v0, 20, v0
	s_delay_alu instid0(VALU_DEP_2) | instskip(NEXT) | instid1(VALU_DEP_2)
	v_cmp_ne_u32_e32 vcc_lo, 0x7f00000, v2
	v_cndmask_b32_e32 v0, 0x7e, v0, vcc_lo
; %bb.1055:
	s_and_not1_saveexec_b32 s5, s5
; %bb.1056:
	v_add_f32_e64 v0, 0x46800000, |v1|
; %bb.1057:
	s_or_b32 exec_lo, exec_lo, s5
                                        ; implicit-def: $vgpr2
.LBB21_1058:
	s_and_not1_saveexec_b32 s4, s4
; %bb.1059:
	v_mov_b32_e32 v0, 0x7f
	v_cmp_lt_u32_e32 vcc_lo, 0x7f800000, v2
	s_delay_alu instid0(VALU_DEP_2)
	v_cndmask_b32_e32 v0, 0x7e, v0, vcc_lo
; %bb.1060:
	s_or_b32 exec_lo, exec_lo, s4
	v_lshrrev_b32_e32 v2, 24, v1
	s_delay_alu instid0(VALU_DEP_1)
	v_and_or_b32 v0, 0x80, v2, v0
	global_store_b8 v[3:4], v0, off
.LBB21_1061:
	s_mov_b32 s4, 0
.LBB21_1062:
	s_delay_alu instid0(SALU_CYCLE_1)
	s_and_not1_b32 vcc_lo, exec_lo, s4
	s_cbranch_vccnz .LBB21_1072
; %bb.1063:
	v_and_b32_e32 v2, 0x7fffffff, v1
	s_mov_b32 s4, exec_lo
                                        ; implicit-def: $vgpr0
	s_delay_alu instid0(VALU_DEP_1)
	v_cmpx_gt_u32_e32 0x47800000, v2
	s_xor_b32 s4, exec_lo, s4
	s_cbranch_execz .LBB21_1069
; %bb.1064:
	s_mov_b32 s5, exec_lo
                                        ; implicit-def: $vgpr0
	v_cmpx_lt_u32_e32 0x387fffff, v2
	s_xor_b32 s5, exec_lo, s5
; %bb.1065:
	v_bfe_u32 v0, v1, 21, 1
	s_delay_alu instid0(VALU_DEP_1) | instskip(NEXT) | instid1(VALU_DEP_1)
	v_add3_u32 v0, v1, v0, 0x80fffff
	v_lshrrev_b32_e32 v0, 21, v0
; %bb.1066:
	s_and_not1_saveexec_b32 s5, s5
; %bb.1067:
	v_add_f32_e64 v0, 0x43000000, |v1|
; %bb.1068:
	s_or_b32 exec_lo, exec_lo, s5
                                        ; implicit-def: $vgpr2
.LBB21_1069:
	s_and_not1_saveexec_b32 s4, s4
; %bb.1070:
	v_mov_b32_e32 v0, 0x7f
	v_cmp_lt_u32_e32 vcc_lo, 0x7f800000, v2
	s_delay_alu instid0(VALU_DEP_2)
	v_cndmask_b32_e32 v0, 0x7c, v0, vcc_lo
; %bb.1071:
	s_or_b32 exec_lo, exec_lo, s4
	v_lshrrev_b32_e32 v2, 24, v1
	s_delay_alu instid0(VALU_DEP_1)
	v_and_or_b32 v0, 0x80, v2, v0
	global_store_b8 v[3:4], v0, off
.LBB21_1072:
	s_mov_b32 s4, 0
.LBB21_1073:
	s_delay_alu instid0(SALU_CYCLE_1)
	s_and_not1_b32 vcc_lo, exec_lo, s4
	s_mov_b32 s8, 0
	s_cbranch_vccnz .LBB21_1081
; %bb.1074:
	v_cmp_lt_i16_e32 vcc_lo, 14, v6
	s_mov_b32 s4, -1
	s_cbranch_vccz .LBB21_1078
; %bb.1075:
	v_cmp_eq_u16_e32 vcc_lo, 15, v6
	s_mov_b32 s2, -1
	s_cbranch_vccz .LBB21_1077
; %bb.1076:
	v_bfe_u32 v0, v1, 16, 1
	v_cmp_o_f32_e32 vcc_lo, v1, v1
	s_mov_b32 s2, 0
	s_delay_alu instid0(VALU_DEP_2) | instskip(NEXT) | instid1(VALU_DEP_1)
	v_add3_u32 v0, v1, v0, 0x7fff
	v_lshrrev_b32_e32 v0, 16, v0
	s_delay_alu instid0(VALU_DEP_1)
	v_cndmask_b32_e32 v0, 0x7fc0, v0, vcc_lo
	global_store_b16 v[3:4], v0, off
.LBB21_1077:
	s_mov_b32 s4, 0
.LBB21_1078:
	s_delay_alu instid0(SALU_CYCLE_1)
	s_and_b32 vcc_lo, exec_lo, s4
	s_cbranch_vccz .LBB21_1081
; %bb.1079:
	v_cmp_ne_u16_e32 vcc_lo, 11, v6
	s_and_not1_b32 s2, s2, exec_lo
	s_mov_b32 s8, -1
	s_and_b32 s4, vcc_lo, exec_lo
	s_delay_alu instid0(SALU_CYCLE_1)
	s_or_b32 s2, s2, s4
	s_branch .LBB21_1081
.LBB21_1080:
	s_mov_b32 s8, 0
.LBB21_1081:
	s_and_not1_b32 s4, s34, exec_lo
	s_and_b32 s2, s2, exec_lo
	s_and_b32 s3, s3, exec_lo
	;; [unrolled: 1-line block ×3, first 2 shown]
	s_or_b32 s34, s4, s2
.LBB21_1082:
	s_or_b32 exec_lo, exec_lo, s7
	s_and_saveexec_b32 s2, s34
	s_cbranch_execnz .LBB21_1196
; %bb.1083:
	s_or_b32 exec_lo, exec_lo, s2
	s_and_saveexec_b32 s2, s8
	s_delay_alu instid0(SALU_CYCLE_1)
	s_xor_b32 s2, exec_lo, s2
	s_cbranch_execz .LBB21_1085
.LBB21_1084:
	v_cmp_neq_f32_e32 vcc_lo, 0, v1
	v_cndmask_b32_e64 v0, 0, 1, vcc_lo
	s_waitcnt vmcnt(0)
	global_store_b8 v[3:4], v0, off
.LBB21_1085:
	s_or_b32 exec_lo, exec_lo, s2
	s_and_saveexec_b32 s2, s3
	s_delay_alu instid0(SALU_CYCLE_1)
	s_xor_b32 s2, exec_lo, s2
	s_cbranch_execz .LBB21_1123
; %bb.1086:
	v_cmp_gt_i16_e32 vcc_lo, 5, v6
	s_mov_b32 s3, -1
	s_cbranch_vccnz .LBB21_1107
; %bb.1087:
	v_cmp_gt_i16_e32 vcc_lo, 8, v6
	s_cbranch_vccnz .LBB21_1097
; %bb.1088:
	v_cmp_gt_i16_e32 vcc_lo, 9, v6
	s_cbranch_vccnz .LBB21_1094
; %bb.1089:
	v_cmp_lt_i16_e32 vcc_lo, 9, v6
	s_cbranch_vccz .LBB21_1091
; %bb.1090:
	s_waitcnt vmcnt(0)
	v_cvt_f64_f32_e32 v[7:8], v1
	v_mov_b32_e32 v9, 0
	s_mov_b32 s3, 0
	s_delay_alu instid0(VALU_DEP_1)
	v_mov_b32_e32 v10, v9
	global_store_b128 v[3:4], v[7:10], off
.LBB21_1091:
	s_and_not1_b32 vcc_lo, exec_lo, s3
	s_cbranch_vccnz .LBB21_1093
; %bb.1092:
	v_mov_b32_e32 v2, 0
	s_waitcnt vmcnt(0)
	global_store_b64 v[3:4], v[1:2], off
.LBB21_1093:
	s_mov_b32 s3, 0
.LBB21_1094:
	s_delay_alu instid0(SALU_CYCLE_1)
	s_and_not1_b32 vcc_lo, exec_lo, s3
	s_cbranch_vccnz .LBB21_1096
; %bb.1095:
	v_cvt_f16_f32_e32 v0, v1
	s_delay_alu instid0(VALU_DEP_1)
	v_and_b32_e32 v0, 0xffff, v0
	s_waitcnt vmcnt(0)
	global_store_b32 v[3:4], v0, off
.LBB21_1096:
	s_mov_b32 s3, 0
.LBB21_1097:
	s_delay_alu instid0(SALU_CYCLE_1)
	s_and_not1_b32 vcc_lo, exec_lo, s3
	s_cbranch_vccnz .LBB21_1106
; %bb.1098:
	v_cmp_gt_i16_e32 vcc_lo, 6, v6
	s_mov_b32 s3, -1
	s_cbranch_vccnz .LBB21_1104
; %bb.1099:
	v_cmp_lt_i16_e32 vcc_lo, 6, v6
	s_cbranch_vccz .LBB21_1101
; %bb.1100:
	s_waitcnt vmcnt(0)
	v_cvt_f64_f32_e32 v[7:8], v1
	s_mov_b32 s3, 0
	global_store_b64 v[3:4], v[7:8], off
.LBB21_1101:
	s_and_not1_b32 vcc_lo, exec_lo, s3
	s_cbranch_vccnz .LBB21_1103
; %bb.1102:
	s_waitcnt vmcnt(0)
	global_store_b32 v[3:4], v1, off
.LBB21_1103:
	s_mov_b32 s3, 0
.LBB21_1104:
	s_delay_alu instid0(SALU_CYCLE_1)
	s_and_not1_b32 vcc_lo, exec_lo, s3
	s_cbranch_vccnz .LBB21_1106
; %bb.1105:
	v_cvt_f16_f32_e32 v0, v1
	s_waitcnt vmcnt(0)
	global_store_b16 v[3:4], v0, off
.LBB21_1106:
	s_mov_b32 s3, 0
.LBB21_1107:
	s_delay_alu instid0(SALU_CYCLE_1)
	s_and_not1_b32 vcc_lo, exec_lo, s3
	s_cbranch_vccnz .LBB21_1123
; %bb.1108:
	v_cmp_gt_i16_e32 vcc_lo, 2, v6
	s_mov_b32 s3, -1
	s_cbranch_vccnz .LBB21_1118
; %bb.1109:
	v_cmp_gt_i16_e32 vcc_lo, 3, v6
	s_cbranch_vccnz .LBB21_1115
; %bb.1110:
	v_cmp_lt_i16_e32 vcc_lo, 3, v6
	s_cbranch_vccz .LBB21_1112
; %bb.1111:
	v_trunc_f32_e32 v0, v1
	s_mov_b32 s3, 0
	s_delay_alu instid0(VALU_DEP_1) | instskip(NEXT) | instid1(VALU_DEP_1)
	v_mul_f32_e64 v2, 0x2f800000, |v0|
	v_floor_f32_e32 v2, v2
	s_delay_alu instid0(VALU_DEP_1) | instskip(SKIP_2) | instid1(VALU_DEP_3)
	v_fma_f32 v5, 0xcf800000, v2, |v0|
	v_ashrrev_i32_e32 v0, 31, v0
	v_cvt_u32_f32_e32 v2, v2
	v_cvt_u32_f32_e32 v5, v5
	s_delay_alu instid0(VALU_DEP_2) | instskip(NEXT) | instid1(VALU_DEP_2)
	v_xor_b32_e32 v2, v2, v0
	v_xor_b32_e32 v5, v5, v0
	s_delay_alu instid0(VALU_DEP_1) | instskip(SKIP_1) | instid1(VALU_DEP_3)
	v_sub_co_u32 v7, vcc_lo, v5, v0
	s_waitcnt vmcnt(0)
	v_sub_co_ci_u32_e32 v8, vcc_lo, v2, v0, vcc_lo
	global_store_b64 v[3:4], v[7:8], off
.LBB21_1112:
	s_and_not1_b32 vcc_lo, exec_lo, s3
	s_cbranch_vccnz .LBB21_1114
; %bb.1113:
	v_cvt_i32_f32_e32 v0, v1
	s_waitcnt vmcnt(0)
	global_store_b32 v[3:4], v0, off
.LBB21_1114:
	s_mov_b32 s3, 0
.LBB21_1115:
	s_delay_alu instid0(SALU_CYCLE_1)
	s_and_not1_b32 vcc_lo, exec_lo, s3
	s_cbranch_vccnz .LBB21_1117
; %bb.1116:
	v_cvt_i32_f32_e32 v0, v1
	s_waitcnt vmcnt(0)
	global_store_b16 v[3:4], v0, off
.LBB21_1117:
	s_mov_b32 s3, 0
.LBB21_1118:
	s_delay_alu instid0(SALU_CYCLE_1)
	s_and_not1_b32 vcc_lo, exec_lo, s3
	s_cbranch_vccnz .LBB21_1123
; %bb.1119:
	v_cmp_lt_i16_e32 vcc_lo, 0, v6
	s_mov_b32 s3, -1
	s_cbranch_vccz .LBB21_1121
; %bb.1120:
	v_cvt_i32_f32_e32 v0, v1
	s_mov_b32 s3, 0
	s_waitcnt vmcnt(0)
	global_store_b8 v[3:4], v0, off
.LBB21_1121:
	s_and_not1_b32 vcc_lo, exec_lo, s3
	s_cbranch_vccnz .LBB21_1123
; %bb.1122:
	v_trunc_f32_e32 v0, v1
	s_delay_alu instid0(VALU_DEP_1) | instskip(NEXT) | instid1(VALU_DEP_1)
	v_mul_f32_e64 v1, 0x2f800000, |v0|
	v_floor_f32_e32 v1, v1
	s_delay_alu instid0(VALU_DEP_1) | instskip(SKIP_1) | instid1(VALU_DEP_2)
	v_fma_f32 v1, 0xcf800000, v1, |v0|
	v_ashrrev_i32_e32 v0, 31, v0
	v_cvt_u32_f32_e32 v1, v1
	s_delay_alu instid0(VALU_DEP_1) | instskip(NEXT) | instid1(VALU_DEP_1)
	v_xor_b32_e32 v1, v1, v0
	v_sub_nc_u32_e32 v0, v1, v0
	s_waitcnt vmcnt(0)
	global_store_b8 v[3:4], v0, off
.LBB21_1123:
	s_or_b32 exec_lo, exec_lo, s2
	s_delay_alu instid0(SALU_CYCLE_1)
	s_and_b32 s8, s6, exec_lo
                                        ; implicit-def: $vgpr8
                                        ; implicit-def: $vgpr7
.LBB21_1124:
	s_or_saveexec_b32 s9, s28
	s_mov_b32 s3, 0
                                        ; implicit-def: $vgpr0_vgpr1
                                        ; implicit-def: $vgpr13
                                        ; implicit-def: $vgpr10
	s_xor_b32 exec_lo, exec_lo, s9
	s_cbranch_execz .LBB21_2188
; %bb.1125:
	v_cndmask_b32_e64 v0, 0, 1, s27
	s_and_not1_b32 vcc_lo, exec_lo, s27
	s_cbranch_vccnz .LBB21_1131
; %bb.1126:
	s_waitcnt vmcnt(0)
	v_dual_mov_b32 v3, 0 :: v_dual_mov_b32 v4, 0
	s_cmp_lg_u32 s24, 0
	s_mov_b32 s6, 0
	s_cbranch_scc0 .LBB21_1135
; %bb.1127:
	s_min_u32 s7, s25, 15
	v_mov_b32_e32 v3, 0
	s_add_i32 s7, s7, 1
	s_cmp_eq_u32 s25, 2
	s_mov_b32 s10, 0
	s_cbranch_scc1 .LBB21_1132
; %bb.1128:
	v_dual_mov_b32 v4, 0 :: v_dual_mov_b32 v3, 0
	v_mov_b32_e32 v1, v7
	s_add_u32 s2, s16, 0xc4
	s_addc_u32 s3, s17, 0
	s_and_b32 s10, s7, 28
	s_mov_b32 s11, 0
	s_mov_b64 s[4:5], s[16:17]
.LBB21_1129:                            ; =>This Inner Loop Header: Depth=1
	s_clause 0x1
	s_load_b256 s[36:43], s[4:5], 0x4
	s_load_b128 s[12:15], s[4:5], 0x24
	s_load_b256 s[44:51], s[2:3], 0x0
	s_add_u32 s4, s4, 48
	s_addc_u32 s5, s5, 0
	s_add_i32 s11, s11, 4
	s_add_u32 s2, s2, 32
	s_addc_u32 s3, s3, 0
	s_cmp_lg_u32 s10, s11
	s_waitcnt lgkmcnt(0)
	v_mul_hi_u32 v2, s37, v1
	s_delay_alu instid0(VALU_DEP_1) | instskip(NEXT) | instid1(VALU_DEP_1)
	v_add_nc_u32_e32 v2, v1, v2
	v_lshrrev_b32_e32 v2, s38, v2
	s_delay_alu instid0(VALU_DEP_1) | instskip(SKIP_1) | instid1(VALU_DEP_2)
	v_mul_hi_u32 v5, s40, v2
	v_mul_lo_u32 v9, v2, s36
	v_add_nc_u32_e32 v5, v2, v5
	s_delay_alu instid0(VALU_DEP_2) | instskip(NEXT) | instid1(VALU_DEP_2)
	v_sub_nc_u32_e32 v1, v1, v9
	v_lshrrev_b32_e32 v5, s41, v5
	s_delay_alu instid0(VALU_DEP_2) | instskip(SKIP_1) | instid1(VALU_DEP_3)
	v_mul_lo_u32 v9, v1, s44
	v_mul_lo_u32 v11, v1, s45
	v_mul_hi_u32 v6, s43, v5
	s_delay_alu instid0(VALU_DEP_1) | instskip(NEXT) | instid1(VALU_DEP_1)
	v_add_nc_u32_e32 v6, v5, v6
	v_lshrrev_b32_e32 v6, s12, v6
	s_delay_alu instid0(VALU_DEP_1) | instskip(SKIP_1) | instid1(VALU_DEP_2)
	v_mul_hi_u32 v10, s14, v6
	v_mul_lo_u32 v12, v6, s42
	v_add_nc_u32_e32 v1, v6, v10
	v_mul_lo_u32 v10, v5, s39
	s_delay_alu instid0(VALU_DEP_3) | instskip(NEXT) | instid1(VALU_DEP_3)
	v_sub_nc_u32_e32 v5, v5, v12
	v_lshrrev_b32_e32 v1, s15, v1
	s_delay_alu instid0(VALU_DEP_2) | instskip(SKIP_2) | instid1(VALU_DEP_4)
	v_mul_lo_u32 v12, v5, s48
	v_mul_lo_u32 v5, v5, s49
	v_sub_nc_u32_e32 v2, v2, v10
	v_mul_lo_u32 v13, v1, s13
	s_delay_alu instid0(VALU_DEP_2) | instskip(SKIP_1) | instid1(VALU_DEP_3)
	v_mul_lo_u32 v10, v2, s46
	v_mul_lo_u32 v2, v2, s47
	v_sub_nc_u32_e32 v6, v6, v13
	s_delay_alu instid0(VALU_DEP_3) | instskip(NEXT) | instid1(VALU_DEP_2)
	v_add3_u32 v3, v9, v3, v10
	v_mul_lo_u32 v13, v6, s50
	v_mul_lo_u32 v6, v6, s51
	v_add3_u32 v2, v11, v4, v2
	s_delay_alu instid0(VALU_DEP_3) | instskip(NEXT) | instid1(VALU_DEP_2)
	v_add3_u32 v3, v12, v3, v13
	v_add3_u32 v4, v5, v2, v6
	s_cbranch_scc1 .LBB21_1129
; %bb.1130:
	s_and_b32 s7, s7, 3
	s_delay_alu instid0(SALU_CYCLE_1)
	s_cmp_eq_u32 s7, 0
	s_cbranch_scc0 .LBB21_1133
	s_branch .LBB21_1135
.LBB21_1131:
	s_mov_b32 s6, -1
                                        ; implicit-def: $vgpr3
                                        ; implicit-def: $vgpr4
	s_branch .LBB21_1135
.LBB21_1132:
	v_dual_mov_b32 v1, v7 :: v_dual_mov_b32 v4, 0
	s_and_b32 s7, s7, 3
	s_delay_alu instid0(SALU_CYCLE_1)
	s_cmp_eq_u32 s7, 0
	s_cbranch_scc1 .LBB21_1135
.LBB21_1133:
	s_lshl_b32 s2, s10, 3
	s_mul_i32 s4, s10, 12
	s_add_u32 s2, s2, s16
	s_addc_u32 s3, 0, s17
	s_add_u32 s2, s2, 0xc4
	s_addc_u32 s3, s3, 0
	;; [unrolled: 2-line block ×3, first 2 shown]
	.p2align	6
.LBB21_1134:                            ; =>This Inner Loop Header: Depth=1
	s_clause 0x1
	s_load_b64 s[10:11], s[4:5], 0x4
	s_load_b32 s14, s[4:5], 0xc
	s_load_b64 s[12:13], s[2:3], 0x0
	s_add_u32 s4, s4, 12
	s_addc_u32 s5, s5, 0
	s_add_u32 s2, s2, 8
	s_addc_u32 s3, s3, 0
	s_add_i32 s7, s7, -1
	s_delay_alu instid0(SALU_CYCLE_1) | instskip(SKIP_2) | instid1(VALU_DEP_1)
	s_cmp_lg_u32 s7, 0
	s_waitcnt lgkmcnt(0)
	v_mul_hi_u32 v2, s11, v1
	v_add_nc_u32_e32 v2, v1, v2
	s_delay_alu instid0(VALU_DEP_1) | instskip(NEXT) | instid1(VALU_DEP_1)
	v_lshrrev_b32_e32 v9, s14, v2
	v_mul_lo_u32 v2, v9, s10
	s_delay_alu instid0(VALU_DEP_1) | instskip(NEXT) | instid1(VALU_DEP_1)
	v_sub_nc_u32_e32 v1, v1, v2
	v_mad_u64_u32 v[5:6], null, v1, s12, v[3:4]
	s_delay_alu instid0(VALU_DEP_1) | instskip(SKIP_1) | instid1(VALU_DEP_2)
	v_mad_u64_u32 v[2:3], null, v1, s13, v[4:5]
	v_mov_b32_e32 v1, v9
	v_dual_mov_b32 v3, v5 :: v_dual_mov_b32 v4, v2
	s_cbranch_scc1 .LBB21_1134
.LBB21_1135:
	s_and_not1_b32 vcc_lo, exec_lo, s6
	s_cbranch_vccnz .LBB21_1138
; %bb.1136:
	s_clause 0x1
	s_load_b128 s[4:7], s[16:17], 0x4
	s_load_b64 s[2:3], s[16:17], 0xc4
	s_cmp_lt_u32 s24, 2
	s_waitcnt lgkmcnt(0)
	v_mul_hi_u32 v1, s5, v7
	s_delay_alu instid0(VALU_DEP_1) | instskip(NEXT) | instid1(VALU_DEP_1)
	v_add_nc_u32_e32 v1, v7, v1
	v_lshrrev_b32_e32 v1, s6, v1
	s_delay_alu instid0(VALU_DEP_1) | instskip(NEXT) | instid1(VALU_DEP_1)
	v_mul_lo_u32 v2, v1, s4
	v_sub_nc_u32_e32 v2, v7, v2
	s_waitcnt vmcnt(0)
	s_delay_alu instid0(VALU_DEP_1)
	v_mul_lo_u32 v3, v2, s2
	v_mul_lo_u32 v4, v2, s3
	s_cbranch_scc1 .LBB21_1138
; %bb.1137:
	s_clause 0x1
	s_load_b128 s[4:7], s[16:17], 0x10
	s_load_b64 s[2:3], s[16:17], 0xcc
	s_waitcnt lgkmcnt(0)
	v_mul_hi_u32 v2, s5, v1
	s_delay_alu instid0(VALU_DEP_1) | instskip(NEXT) | instid1(VALU_DEP_1)
	v_add_nc_u32_e32 v2, v1, v2
	v_lshrrev_b32_e32 v2, s6, v2
	s_delay_alu instid0(VALU_DEP_1) | instskip(NEXT) | instid1(VALU_DEP_1)
	v_mul_lo_u32 v2, v2, s4
	v_sub_nc_u32_e32 v5, v1, v2
	s_delay_alu instid0(VALU_DEP_1) | instskip(SKIP_1) | instid1(VALU_DEP_1)
	v_mad_u64_u32 v[1:2], null, v5, s2, v[3:4]
	v_mad_u64_u32 v[2:3], null, v5, s3, v[4:5]
	v_dual_mov_b32 v3, v1 :: v_dual_mov_b32 v4, v2
.LBB21_1138:
	v_cmp_ne_u32_e32 vcc_lo, 1, v0
	v_add_nc_u32_e32 v1, 0x80, v7
	s_cbranch_vccnz .LBB21_1144
; %bb.1139:
	v_mov_b32_e32 v2, 0
	v_mov_b32_e32 v6, 0
	s_cmp_lg_u32 s24, 0
	s_mov_b32 s6, 0
	s_cbranch_scc0 .LBB21_1148
; %bb.1140:
	s_min_u32 s7, s25, 15
	v_mov_b32_e32 v2, 0
	s_add_i32 s7, s7, 1
	s_cmp_eq_u32 s25, 2
	s_mov_b32 s10, 0
	s_cbranch_scc1 .LBB21_1145
; %bb.1141:
	v_dual_mov_b32 v6, 0 :: v_dual_mov_b32 v5, v1
	v_mov_b32_e32 v2, 0
	s_add_u32 s2, s16, 0xc4
	s_addc_u32 s3, s17, 0
	s_and_b32 s10, s7, 28
	s_mov_b32 s11, 0
	s_mov_b64 s[4:5], s[16:17]
.LBB21_1142:                            ; =>This Inner Loop Header: Depth=1
	s_clause 0x1
	s_load_b256 s[36:43], s[4:5], 0x4
	s_load_b128 s[12:15], s[4:5], 0x24
	s_load_b256 s[44:51], s[2:3], 0x0
	s_add_u32 s4, s4, 48
	s_addc_u32 s5, s5, 0
	s_add_i32 s11, s11, 4
	s_add_u32 s2, s2, 32
	s_addc_u32 s3, s3, 0
	s_cmp_lg_u32 s10, s11
	s_waitcnt lgkmcnt(0)
	v_mul_hi_u32 v9, s37, v5
	s_delay_alu instid0(VALU_DEP_1) | instskip(NEXT) | instid1(VALU_DEP_1)
	v_add_nc_u32_e32 v9, v5, v9
	v_lshrrev_b32_e32 v9, s38, v9
	s_delay_alu instid0(VALU_DEP_1) | instskip(SKIP_1) | instid1(VALU_DEP_2)
	v_mul_hi_u32 v10, s40, v9
	v_mul_lo_u32 v12, v9, s36
	v_add_nc_u32_e32 v10, v9, v10
	s_delay_alu instid0(VALU_DEP_2) | instskip(NEXT) | instid1(VALU_DEP_2)
	v_sub_nc_u32_e32 v5, v5, v12
	v_lshrrev_b32_e32 v10, s41, v10
	s_delay_alu instid0(VALU_DEP_2) | instskip(SKIP_1) | instid1(VALU_DEP_3)
	v_mul_lo_u32 v12, v5, s44
	v_mul_lo_u32 v14, v5, s45
	v_mul_hi_u32 v11, s43, v10
	s_delay_alu instid0(VALU_DEP_1) | instskip(NEXT) | instid1(VALU_DEP_1)
	v_add_nc_u32_e32 v11, v10, v11
	v_lshrrev_b32_e32 v11, s12, v11
	s_delay_alu instid0(VALU_DEP_1) | instskip(SKIP_1) | instid1(VALU_DEP_2)
	v_mul_hi_u32 v13, s14, v11
	v_mul_lo_u32 v15, v11, s42
	v_add_nc_u32_e32 v5, v11, v13
	v_mul_lo_u32 v13, v10, s39
	s_delay_alu instid0(VALU_DEP_3) | instskip(NEXT) | instid1(VALU_DEP_3)
	v_sub_nc_u32_e32 v10, v10, v15
	v_lshrrev_b32_e32 v5, s15, v5
	s_delay_alu instid0(VALU_DEP_2) | instskip(SKIP_2) | instid1(VALU_DEP_4)
	v_mul_lo_u32 v15, v10, s48
	v_mul_lo_u32 v10, v10, s49
	v_sub_nc_u32_e32 v9, v9, v13
	v_mul_lo_u32 v16, v5, s13
	s_delay_alu instid0(VALU_DEP_2) | instskip(SKIP_1) | instid1(VALU_DEP_3)
	v_mul_lo_u32 v13, v9, s46
	v_mul_lo_u32 v9, v9, s47
	v_sub_nc_u32_e32 v11, v11, v16
	s_delay_alu instid0(VALU_DEP_3) | instskip(NEXT) | instid1(VALU_DEP_2)
	v_add3_u32 v2, v12, v2, v13
	v_mul_lo_u32 v16, v11, s50
	v_mul_lo_u32 v11, v11, s51
	v_add3_u32 v6, v14, v6, v9
	s_delay_alu instid0(VALU_DEP_3) | instskip(NEXT) | instid1(VALU_DEP_2)
	v_add3_u32 v2, v15, v2, v16
	v_add3_u32 v6, v10, v6, v11
	s_cbranch_scc1 .LBB21_1142
; %bb.1143:
	s_and_b32 s7, s7, 3
	s_delay_alu instid0(SALU_CYCLE_1)
	s_cmp_eq_u32 s7, 0
	s_cbranch_scc0 .LBB21_1146
	s_branch .LBB21_1148
.LBB21_1144:
	s_mov_b32 s6, -1
                                        ; implicit-def: $vgpr2
                                        ; implicit-def: $vgpr6
	s_branch .LBB21_1148
.LBB21_1145:
	v_dual_mov_b32 v5, v1 :: v_dual_mov_b32 v6, 0
	s_and_b32 s7, s7, 3
	s_delay_alu instid0(SALU_CYCLE_1)
	s_cmp_eq_u32 s7, 0
	s_cbranch_scc1 .LBB21_1148
.LBB21_1146:
	s_lshl_b32 s2, s10, 3
	s_mul_i32 s4, s10, 12
	s_add_u32 s2, s2, s16
	s_addc_u32 s3, 0, s17
	s_add_u32 s2, s2, 0xc4
	s_addc_u32 s3, s3, 0
	;; [unrolled: 2-line block ×3, first 2 shown]
	.p2align	6
.LBB21_1147:                            ; =>This Inner Loop Header: Depth=1
	s_clause 0x1
	s_load_b64 s[10:11], s[4:5], 0x4
	s_load_b32 s14, s[4:5], 0xc
	s_load_b64 s[12:13], s[2:3], 0x0
	s_add_u32 s4, s4, 12
	s_addc_u32 s5, s5, 0
	s_add_u32 s2, s2, 8
	s_addc_u32 s3, s3, 0
	s_add_i32 s7, s7, -1
	s_delay_alu instid0(SALU_CYCLE_1) | instskip(SKIP_2) | instid1(VALU_DEP_1)
	s_cmp_lg_u32 s7, 0
	s_waitcnt lgkmcnt(0)
	v_mul_hi_u32 v9, s11, v5
	v_add_nc_u32_e32 v9, v5, v9
	s_delay_alu instid0(VALU_DEP_1) | instskip(NEXT) | instid1(VALU_DEP_1)
	v_lshrrev_b32_e32 v12, s14, v9
	v_mul_lo_u32 v9, v12, s10
	s_delay_alu instid0(VALU_DEP_1) | instskip(SKIP_1) | instid1(VALU_DEP_1)
	v_sub_nc_u32_e32 v5, v5, v9
	s_waitcnt vmcnt(0)
	v_mad_u64_u32 v[9:10], null, v5, s12, v[2:3]
	v_mad_u64_u32 v[10:11], null, v5, s13, v[6:7]
	s_delay_alu instid0(VALU_DEP_2) | instskip(NEXT) | instid1(VALU_DEP_2)
	v_dual_mov_b32 v5, v12 :: v_dual_mov_b32 v2, v9
	v_mov_b32_e32 v6, v10
	s_cbranch_scc1 .LBB21_1147
.LBB21_1148:
	s_and_not1_b32 vcc_lo, exec_lo, s6
	s_cbranch_vccnz .LBB21_1151
; %bb.1149:
	s_clause 0x1
	s_load_b128 s[4:7], s[16:17], 0x4
	s_load_b64 s[2:3], s[16:17], 0xc4
	s_cmp_lt_u32 s24, 2
	s_waitcnt lgkmcnt(0)
	v_mul_hi_u32 v2, s5, v1
	s_delay_alu instid0(VALU_DEP_1) | instskip(NEXT) | instid1(VALU_DEP_1)
	v_add_nc_u32_e32 v2, v1, v2
	v_lshrrev_b32_e32 v5, s6, v2
	s_delay_alu instid0(VALU_DEP_1) | instskip(NEXT) | instid1(VALU_DEP_1)
	v_mul_lo_u32 v2, v5, s4
	v_sub_nc_u32_e32 v1, v1, v2
	s_delay_alu instid0(VALU_DEP_1)
	v_mul_lo_u32 v2, v1, s2
	v_mul_lo_u32 v6, v1, s3
	s_cbranch_scc1 .LBB21_1151
; %bb.1150:
	s_clause 0x1
	s_load_b128 s[4:7], s[16:17], 0x10
	s_load_b64 s[2:3], s[16:17], 0xcc
	s_waitcnt lgkmcnt(0)
	v_mul_hi_u32 v1, s5, v5
	s_delay_alu instid0(VALU_DEP_1) | instskip(NEXT) | instid1(VALU_DEP_1)
	v_add_nc_u32_e32 v1, v5, v1
	v_lshrrev_b32_e32 v1, s6, v1
	s_delay_alu instid0(VALU_DEP_1) | instskip(NEXT) | instid1(VALU_DEP_1)
	v_mul_lo_u32 v1, v1, s4
	v_sub_nc_u32_e32 v5, v5, v1
	s_waitcnt vmcnt(0)
	s_delay_alu instid0(VALU_DEP_1) | instskip(SKIP_1) | instid1(VALU_DEP_2)
	v_mad_u64_u32 v[9:10], null, v5, s2, v[2:3]
	v_mad_u64_u32 v[1:2], null, v5, s3, v[6:7]
	v_mov_b32_e32 v2, v9
	s_delay_alu instid0(VALU_DEP_2)
	v_mov_b32_e32 v6, v1
.LBB21_1151:
	v_cmp_ne_u32_e32 vcc_lo, 1, v0
	v_add_nc_u32_e32 v5, 0x100, v7
	s_cbranch_vccnz .LBB21_1157
; %bb.1152:
	v_mov_b32_e32 v1, 0
	v_mov_b32_e32 v7, 0
	s_cmp_lg_u32 s24, 0
	s_mov_b32 s6, 0
	s_cbranch_scc0 .LBB21_1161
; %bb.1153:
	s_min_u32 s7, s25, 15
	v_mov_b32_e32 v1, 0
	s_add_i32 s7, s7, 1
	s_cmp_eq_u32 s25, 2
	s_mov_b32 s10, 0
	s_cbranch_scc1 .LBB21_1158
; %bb.1154:
	v_mov_b32_e32 v7, 0
	v_mov_b32_e32 v1, 0
	;; [unrolled: 1-line block ×3, first 2 shown]
	s_add_u32 s2, s16, 0xc4
	s_addc_u32 s3, s17, 0
	s_and_b32 s10, s7, 28
	s_mov_b32 s11, 0
	s_mov_b64 s[4:5], s[16:17]
.LBB21_1155:                            ; =>This Inner Loop Header: Depth=1
	s_clause 0x1
	s_load_b256 s[36:43], s[4:5], 0x4
	s_load_b128 s[12:15], s[4:5], 0x24
	s_load_b256 s[44:51], s[2:3], 0x0
	s_add_u32 s4, s4, 48
	s_addc_u32 s5, s5, 0
	s_add_i32 s11, s11, 4
	s_add_u32 s2, s2, 32
	s_addc_u32 s3, s3, 0
	s_cmp_lg_u32 s10, s11
	s_waitcnt lgkmcnt(0)
	v_mul_hi_u32 v10, s37, v9
	s_delay_alu instid0(VALU_DEP_1) | instskip(NEXT) | instid1(VALU_DEP_1)
	v_add_nc_u32_e32 v10, v9, v10
	v_lshrrev_b32_e32 v10, s38, v10
	s_delay_alu instid0(VALU_DEP_1) | instskip(SKIP_1) | instid1(VALU_DEP_2)
	v_mul_hi_u32 v11, s40, v10
	v_mul_lo_u32 v13, v10, s36
	v_add_nc_u32_e32 v11, v10, v11
	s_delay_alu instid0(VALU_DEP_2) | instskip(NEXT) | instid1(VALU_DEP_2)
	v_sub_nc_u32_e32 v9, v9, v13
	v_lshrrev_b32_e32 v11, s41, v11
	s_delay_alu instid0(VALU_DEP_2) | instskip(SKIP_1) | instid1(VALU_DEP_3)
	v_mul_lo_u32 v13, v9, s44
	v_mul_lo_u32 v15, v9, s45
	v_mul_hi_u32 v12, s43, v11
	s_delay_alu instid0(VALU_DEP_1) | instskip(NEXT) | instid1(VALU_DEP_1)
	v_add_nc_u32_e32 v12, v11, v12
	v_lshrrev_b32_e32 v12, s12, v12
	s_delay_alu instid0(VALU_DEP_1) | instskip(SKIP_1) | instid1(VALU_DEP_2)
	v_mul_hi_u32 v14, s14, v12
	v_mul_lo_u32 v16, v12, s42
	v_add_nc_u32_e32 v9, v12, v14
	v_mul_lo_u32 v14, v11, s39
	s_delay_alu instid0(VALU_DEP_3) | instskip(NEXT) | instid1(VALU_DEP_3)
	v_sub_nc_u32_e32 v11, v11, v16
	v_lshrrev_b32_e32 v9, s15, v9
	s_delay_alu instid0(VALU_DEP_2) | instskip(SKIP_2) | instid1(VALU_DEP_4)
	v_mul_lo_u32 v16, v11, s48
	v_mul_lo_u32 v11, v11, s49
	v_sub_nc_u32_e32 v10, v10, v14
	v_mul_lo_u32 v17, v9, s13
	s_delay_alu instid0(VALU_DEP_2) | instskip(SKIP_1) | instid1(VALU_DEP_3)
	v_mul_lo_u32 v14, v10, s46
	v_mul_lo_u32 v10, v10, s47
	v_sub_nc_u32_e32 v12, v12, v17
	s_delay_alu instid0(VALU_DEP_3) | instskip(NEXT) | instid1(VALU_DEP_2)
	v_add3_u32 v1, v13, v1, v14
	v_mul_lo_u32 v17, v12, s50
	v_mul_lo_u32 v12, v12, s51
	v_add3_u32 v7, v15, v7, v10
	s_delay_alu instid0(VALU_DEP_3) | instskip(NEXT) | instid1(VALU_DEP_2)
	v_add3_u32 v1, v16, v1, v17
	v_add3_u32 v7, v11, v7, v12
	s_cbranch_scc1 .LBB21_1155
; %bb.1156:
	s_and_b32 s7, s7, 3
	s_delay_alu instid0(SALU_CYCLE_1)
	s_cmp_eq_u32 s7, 0
	s_cbranch_scc0 .LBB21_1159
	s_branch .LBB21_1161
.LBB21_1157:
	s_mov_b32 s6, -1
                                        ; implicit-def: $vgpr1
                                        ; implicit-def: $vgpr7
	s_branch .LBB21_1161
.LBB21_1158:
	v_mov_b32_e32 v9, v5
	v_mov_b32_e32 v7, 0
	s_and_b32 s7, s7, 3
	s_delay_alu instid0(SALU_CYCLE_1)
	s_cmp_eq_u32 s7, 0
	s_cbranch_scc1 .LBB21_1161
.LBB21_1159:
	s_lshl_b32 s2, s10, 3
	s_mul_i32 s4, s10, 12
	s_add_u32 s2, s2, s16
	s_addc_u32 s3, 0, s17
	s_add_u32 s2, s2, 0xc4
	s_addc_u32 s3, s3, 0
	;; [unrolled: 2-line block ×3, first 2 shown]
	.p2align	6
.LBB21_1160:                            ; =>This Inner Loop Header: Depth=1
	s_clause 0x1
	s_load_b64 s[10:11], s[4:5], 0x4
	s_load_b32 s14, s[4:5], 0xc
	s_load_b64 s[12:13], s[2:3], 0x0
	s_add_u32 s4, s4, 12
	s_addc_u32 s5, s5, 0
	s_add_u32 s2, s2, 8
	s_addc_u32 s3, s3, 0
	s_add_i32 s7, s7, -1
	s_delay_alu instid0(SALU_CYCLE_1) | instskip(SKIP_2) | instid1(VALU_DEP_1)
	s_cmp_lg_u32 s7, 0
	s_waitcnt lgkmcnt(0)
	v_mul_hi_u32 v10, s11, v9
	v_add_nc_u32_e32 v10, v9, v10
	s_delay_alu instid0(VALU_DEP_1) | instskip(NEXT) | instid1(VALU_DEP_1)
	v_lshrrev_b32_e32 v13, s14, v10
	v_mul_lo_u32 v10, v13, s10
	s_delay_alu instid0(VALU_DEP_1) | instskip(NEXT) | instid1(VALU_DEP_1)
	v_sub_nc_u32_e32 v9, v9, v10
	v_mad_u64_u32 v[10:11], null, v9, s12, v[1:2]
	s_waitcnt vmcnt(0)
	v_mad_u64_u32 v[11:12], null, v9, s13, v[7:8]
	v_mov_b32_e32 v9, v13
	s_delay_alu instid0(VALU_DEP_3) | instskip(NEXT) | instid1(VALU_DEP_3)
	v_mov_b32_e32 v1, v10
	v_mov_b32_e32 v7, v11
	s_cbranch_scc1 .LBB21_1160
.LBB21_1161:
	s_and_not1_b32 vcc_lo, exec_lo, s6
	s_cbranch_vccnz .LBB21_1164
; %bb.1162:
	s_clause 0x1
	s_load_b128 s[4:7], s[16:17], 0x4
	s_load_b64 s[2:3], s[16:17], 0xc4
	s_cmp_lt_u32 s24, 2
	s_waitcnt lgkmcnt(0)
	v_mul_hi_u32 v1, s5, v5
	s_delay_alu instid0(VALU_DEP_1) | instskip(NEXT) | instid1(VALU_DEP_1)
	v_add_nc_u32_e32 v1, v5, v1
	v_lshrrev_b32_e32 v9, s6, v1
	s_delay_alu instid0(VALU_DEP_1) | instskip(NEXT) | instid1(VALU_DEP_1)
	v_mul_lo_u32 v1, v9, s4
	v_sub_nc_u32_e32 v5, v5, v1
	s_delay_alu instid0(VALU_DEP_1)
	v_mul_lo_u32 v1, v5, s2
	v_mul_lo_u32 v7, v5, s3
	s_cbranch_scc1 .LBB21_1164
; %bb.1163:
	s_clause 0x1
	s_load_b128 s[4:7], s[16:17], 0x10
	s_load_b64 s[2:3], s[16:17], 0xcc
	s_waitcnt lgkmcnt(0)
	v_mul_hi_u32 v5, s5, v9
	s_delay_alu instid0(VALU_DEP_1) | instskip(NEXT) | instid1(VALU_DEP_1)
	v_add_nc_u32_e32 v5, v9, v5
	v_lshrrev_b32_e32 v5, s6, v5
	s_delay_alu instid0(VALU_DEP_1) | instskip(NEXT) | instid1(VALU_DEP_1)
	v_mul_lo_u32 v5, v5, s4
	v_sub_nc_u32_e32 v5, v9, v5
	s_delay_alu instid0(VALU_DEP_1) | instskip(SKIP_2) | instid1(VALU_DEP_2)
	v_mad_u64_u32 v[9:10], null, v5, s2, v[1:2]
	s_waitcnt vmcnt(0)
	v_mad_u64_u32 v[10:11], null, v5, s3, v[7:8]
	v_mov_b32_e32 v1, v9
	s_delay_alu instid0(VALU_DEP_2)
	v_mov_b32_e32 v7, v10
.LBB21_1164:
	v_cmp_ne_u32_e32 vcc_lo, 1, v0
	s_cbranch_vccnz .LBB21_1170
; %bb.1165:
	v_dual_mov_b32 v0, 0 :: v_dual_mov_b32 v5, 0
	s_cmp_lg_u32 s24, 0
	s_mov_b32 s6, 0
	s_cbranch_scc0 .LBB21_1174
; %bb.1166:
	s_min_u32 s7, s25, 15
	v_mov_b32_e32 v0, 0
	s_add_i32 s7, s7, 1
	s_cmp_eq_u32 s25, 2
	s_mov_b32 s10, 0
	s_cbranch_scc1 .LBB21_1171
; %bb.1167:
	v_dual_mov_b32 v5, 0 :: v_dual_mov_b32 v0, 0
	s_waitcnt vmcnt(0)
	v_mov_b32_e32 v9, v8
	s_add_u32 s2, s16, 0xc4
	s_addc_u32 s3, s17, 0
	s_and_b32 s10, s7, 28
	s_mov_b32 s11, 0
	s_mov_b64 s[4:5], s[16:17]
.LBB21_1168:                            ; =>This Inner Loop Header: Depth=1
	s_clause 0x1
	s_load_b256 s[36:43], s[4:5], 0x4
	s_load_b128 s[12:15], s[4:5], 0x24
	s_load_b256 s[44:51], s[2:3], 0x0
	s_add_u32 s4, s4, 48
	s_addc_u32 s5, s5, 0
	s_add_i32 s11, s11, 4
	s_add_u32 s2, s2, 32
	s_addc_u32 s3, s3, 0
	s_cmp_lg_u32 s10, s11
	s_waitcnt lgkmcnt(0)
	v_mul_hi_u32 v10, s37, v9
	s_delay_alu instid0(VALU_DEP_1) | instskip(NEXT) | instid1(VALU_DEP_1)
	v_add_nc_u32_e32 v10, v9, v10
	v_lshrrev_b32_e32 v10, s38, v10
	s_delay_alu instid0(VALU_DEP_1) | instskip(SKIP_1) | instid1(VALU_DEP_2)
	v_mul_hi_u32 v11, s40, v10
	v_mul_lo_u32 v13, v10, s36
	v_add_nc_u32_e32 v11, v10, v11
	s_delay_alu instid0(VALU_DEP_2) | instskip(NEXT) | instid1(VALU_DEP_2)
	v_sub_nc_u32_e32 v9, v9, v13
	v_lshrrev_b32_e32 v11, s41, v11
	s_delay_alu instid0(VALU_DEP_2) | instskip(SKIP_1) | instid1(VALU_DEP_3)
	v_mul_lo_u32 v13, v9, s44
	v_mul_lo_u32 v15, v9, s45
	v_mul_hi_u32 v12, s43, v11
	s_delay_alu instid0(VALU_DEP_1) | instskip(NEXT) | instid1(VALU_DEP_1)
	v_add_nc_u32_e32 v12, v11, v12
	v_lshrrev_b32_e32 v12, s12, v12
	s_delay_alu instid0(VALU_DEP_1) | instskip(SKIP_1) | instid1(VALU_DEP_2)
	v_mul_hi_u32 v14, s14, v12
	v_mul_lo_u32 v16, v12, s42
	v_add_nc_u32_e32 v9, v12, v14
	v_mul_lo_u32 v14, v11, s39
	s_delay_alu instid0(VALU_DEP_3) | instskip(NEXT) | instid1(VALU_DEP_3)
	v_sub_nc_u32_e32 v11, v11, v16
	v_lshrrev_b32_e32 v9, s15, v9
	s_delay_alu instid0(VALU_DEP_2) | instskip(SKIP_2) | instid1(VALU_DEP_4)
	v_mul_lo_u32 v16, v11, s48
	v_mul_lo_u32 v11, v11, s49
	v_sub_nc_u32_e32 v10, v10, v14
	v_mul_lo_u32 v17, v9, s13
	s_delay_alu instid0(VALU_DEP_2) | instskip(SKIP_1) | instid1(VALU_DEP_3)
	v_mul_lo_u32 v14, v10, s46
	v_mul_lo_u32 v10, v10, s47
	v_sub_nc_u32_e32 v12, v12, v17
	s_delay_alu instid0(VALU_DEP_3) | instskip(NEXT) | instid1(VALU_DEP_2)
	v_add3_u32 v0, v13, v0, v14
	v_mul_lo_u32 v17, v12, s50
	v_mul_lo_u32 v12, v12, s51
	v_add3_u32 v5, v15, v5, v10
	s_delay_alu instid0(VALU_DEP_3) | instskip(NEXT) | instid1(VALU_DEP_2)
	v_add3_u32 v0, v16, v0, v17
	v_add3_u32 v5, v11, v5, v12
	s_cbranch_scc1 .LBB21_1168
; %bb.1169:
	s_and_b32 s7, s7, 3
	s_delay_alu instid0(SALU_CYCLE_1)
	s_cmp_eq_u32 s7, 0
	s_cbranch_scc0 .LBB21_1172
	s_branch .LBB21_1174
.LBB21_1170:
	s_mov_b32 s6, -1
                                        ; implicit-def: $vgpr0
                                        ; implicit-def: $vgpr5
	s_branch .LBB21_1174
.LBB21_1171:
	s_waitcnt vmcnt(0)
	v_mov_b32_e32 v9, v8
	v_mov_b32_e32 v5, 0
	s_and_b32 s7, s7, 3
	s_delay_alu instid0(SALU_CYCLE_1)
	s_cmp_eq_u32 s7, 0
	s_cbranch_scc1 .LBB21_1174
.LBB21_1172:
	s_lshl_b32 s2, s10, 3
	s_mul_i32 s4, s10, 12
	s_add_u32 s2, s2, s16
	s_addc_u32 s3, 0, s17
	s_add_u32 s2, s2, 0xc4
	s_addc_u32 s3, s3, 0
	;; [unrolled: 2-line block ×3, first 2 shown]
	.p2align	6
.LBB21_1173:                            ; =>This Inner Loop Header: Depth=1
	s_clause 0x1
	s_load_b64 s[10:11], s[4:5], 0x4
	s_load_b32 s14, s[4:5], 0xc
	s_load_b64 s[12:13], s[2:3], 0x0
	s_add_u32 s4, s4, 12
	s_addc_u32 s5, s5, 0
	s_add_u32 s2, s2, 8
	s_addc_u32 s3, s3, 0
	s_add_i32 s7, s7, -1
	s_delay_alu instid0(SALU_CYCLE_1) | instskip(SKIP_2) | instid1(VALU_DEP_1)
	s_cmp_lg_u32 s7, 0
	s_waitcnt lgkmcnt(0)
	v_mul_hi_u32 v10, s11, v9
	v_add_nc_u32_e32 v10, v9, v10
	s_delay_alu instid0(VALU_DEP_1) | instskip(NEXT) | instid1(VALU_DEP_1)
	v_lshrrev_b32_e32 v13, s14, v10
	v_mul_lo_u32 v10, v13, s10
	s_delay_alu instid0(VALU_DEP_1) | instskip(NEXT) | instid1(VALU_DEP_1)
	v_sub_nc_u32_e32 v9, v9, v10
	v_mad_u64_u32 v[10:11], null, v9, s12, v[0:1]
	v_mad_u64_u32 v[11:12], null, v9, s13, v[5:6]
	s_delay_alu instid0(VALU_DEP_2) | instskip(NEXT) | instid1(VALU_DEP_2)
	v_dual_mov_b32 v9, v13 :: v_dual_mov_b32 v0, v10
	v_mov_b32_e32 v5, v11
	s_cbranch_scc1 .LBB21_1173
.LBB21_1174:
	s_and_not1_b32 vcc_lo, exec_lo, s6
	s_cbranch_vccnz .LBB21_1177
; %bb.1175:
	s_clause 0x1
	s_load_b128 s[4:7], s[16:17], 0x4
	s_load_b64 s[2:3], s[16:17], 0xc4
	s_cmp_lt_u32 s24, 2
	s_waitcnt vmcnt(0) lgkmcnt(0)
	v_mul_hi_u32 v0, s5, v8
	s_delay_alu instid0(VALU_DEP_1) | instskip(NEXT) | instid1(VALU_DEP_1)
	v_add_nc_u32_e32 v0, v8, v0
	v_lshrrev_b32_e32 v9, s6, v0
	s_delay_alu instid0(VALU_DEP_1) | instskip(NEXT) | instid1(VALU_DEP_1)
	v_mul_lo_u32 v0, v9, s4
	v_sub_nc_u32_e32 v5, v8, v0
	s_delay_alu instid0(VALU_DEP_1)
	v_mul_lo_u32 v0, v5, s2
	v_mul_lo_u32 v5, v5, s3
	s_cbranch_scc1 .LBB21_1177
; %bb.1176:
	s_clause 0x1
	s_load_b128 s[4:7], s[16:17], 0x10
	s_load_b64 s[2:3], s[16:17], 0xcc
	s_waitcnt lgkmcnt(0)
	v_mul_hi_u32 v8, s5, v9
	s_delay_alu instid0(VALU_DEP_1) | instskip(NEXT) | instid1(VALU_DEP_1)
	v_add_nc_u32_e32 v8, v9, v8
	v_lshrrev_b32_e32 v8, s6, v8
	s_delay_alu instid0(VALU_DEP_1) | instskip(NEXT) | instid1(VALU_DEP_1)
	v_mul_lo_u32 v8, v8, s4
	v_sub_nc_u32_e32 v11, v9, v8
	s_delay_alu instid0(VALU_DEP_1) | instskip(SKIP_1) | instid1(VALU_DEP_1)
	v_mad_u64_u32 v[8:9], null, v11, s2, v[0:1]
	v_mad_u64_u32 v[9:10], null, v11, s3, v[5:6]
	v_dual_mov_b32 v0, v8 :: v_dual_mov_b32 v5, v9
.LBB21_1177:
	s_clause 0x1
	s_load_b32 s3, s[0:1], 0x160
	s_load_b128 s[4:7], s[16:17], 0x148
	s_mov_b32 s10, 0
	s_waitcnt lgkmcnt(0)
	s_lshr_b32 s0, s3, 16
	s_delay_alu instid0(SALU_CYCLE_1) | instskip(SKIP_2) | instid1(VALU_DEP_1)
	v_and_b32_e64 v11, 0xff, s0
	s_waitcnt vmcnt(0)
	v_add_co_u32 v8, s0, s6, v4
	v_add_co_ci_u32_e64 v9, null, s7, 0, s0
	s_delay_alu instid0(VALU_DEP_3)
	v_cmp_gt_i16_e32 vcc_lo, 11, v11
	s_cbranch_vccnz .LBB21_1184
; %bb.1178:
	v_cmp_lt_i16_e32 vcc_lo, 25, v11
	s_mov_b32 s1, 0
	s_cbranch_vccz .LBB21_1190
; %bb.1179:
	v_cmp_lt_i16_e32 vcc_lo, 28, v11
	s_cbranch_vccz .LBB21_1192
; %bb.1180:
	v_cmp_lt_i16_e32 vcc_lo, 43, v11
	;; [unrolled: 3-line block ×3, first 2 shown]
	s_cbranch_vccz .LBB21_1198
; %bb.1182:
	v_cmp_eq_u16_e32 vcc_lo, 46, v11
	s_mov_b32 s2, 0
	s_cbranch_vccz .LBB21_1240
; %bb.1183:
	global_load_b32 v4, v[8:9], off
	s_mov_b32 s0, 0
	s_mov_b32 s10, -1
	s_waitcnt vmcnt(0)
	v_lshlrev_b32_e32 v10, 16, v4
	s_branch .LBB21_1242
.LBB21_1184:
	s_mov_b32 s2, s8
                                        ; implicit-def: $vgpr10
	s_cbranch_execz .LBB21_1305
; %bb.1185:
	v_cmp_gt_i16_e32 vcc_lo, 5, v11
	s_cbranch_vccnz .LBB21_1191
; %bb.1186:
	v_cmp_gt_i16_e32 vcc_lo, 8, v11
	s_cbranch_vccnz .LBB21_1193
	;; [unrolled: 3-line block ×3, first 2 shown]
; %bb.1188:
	v_cmp_lt_i16_e32 vcc_lo, 9, v11
	s_cbranch_vccz .LBB21_1199
; %bb.1189:
	global_load_b64 v[12:13], v[8:9], off
	s_mov_b32 s0, 0
	s_waitcnt vmcnt(0)
	v_cvt_f32_f64_e32 v10, v[12:13]
	s_branch .LBB21_1200
.LBB21_1190:
	s_mov_b32 s0, 0
                                        ; implicit-def: $vgpr10
	s_cbranch_execnz .LBB21_1270
	s_branch .LBB21_1301
.LBB21_1191:
                                        ; implicit-def: $vgpr10
	s_branch .LBB21_1217
.LBB21_1192:
	s_mov_b32 s2, -1
	s_mov_b32 s0, 0
                                        ; implicit-def: $vgpr10
	s_branch .LBB21_1251
.LBB21_1193:
                                        ; implicit-def: $vgpr10
	s_branch .LBB21_1206
.LBB21_1194:
	s_mov_b32 s0, 0
                                        ; implicit-def: $vgpr10
	s_cbranch_execnz .LBB21_1247
	s_branch .LBB21_1250
.LBB21_1195:
	s_mov_b32 s0, -1
                                        ; implicit-def: $vgpr10
	s_branch .LBB21_1203
.LBB21_1196:
	s_cbranch_execnz .LBB21_1238
; %bb.1197:
	s_or_b32 s6, s6, exec_lo
	s_and_not1_b32 s8, s8, exec_lo
	s_or_b32 exec_lo, exec_lo, s2
	s_and_saveexec_b32 s2, s8
	s_delay_alu instid0(SALU_CYCLE_1)
	s_xor_b32 s2, exec_lo, s2
	s_cbranch_execnz .LBB21_1084
	s_branch .LBB21_1085
.LBB21_1198:
	s_mov_b32 s2, -1
	s_mov_b32 s0, 0
	s_branch .LBB21_1241
.LBB21_1199:
	s_mov_b32 s0, -1
                                        ; implicit-def: $vgpr10
.LBB21_1200:
	s_delay_alu instid0(SALU_CYCLE_1)
	s_and_not1_b32 vcc_lo, exec_lo, s0
	s_cbranch_vccnz .LBB21_1202
; %bb.1201:
	global_load_b32 v10, v[8:9], off
.LBB21_1202:
	s_mov_b32 s0, 0
.LBB21_1203:
	s_delay_alu instid0(SALU_CYCLE_1)
	s_and_not1_b32 vcc_lo, exec_lo, s0
	s_cbranch_vccnz .LBB21_1205
; %bb.1204:
	global_load_b32 v4, v[8:9], off
	s_waitcnt vmcnt(0)
	v_cvt_f32_f16_e32 v10, v4
.LBB21_1205:
	s_cbranch_execnz .LBB21_1216
.LBB21_1206:
	v_cmp_gt_i16_e32 vcc_lo, 6, v11
	s_cbranch_vccnz .LBB21_1209
; %bb.1207:
	v_cmp_lt_i16_e32 vcc_lo, 6, v11
	s_cbranch_vccz .LBB21_1210
; %bb.1208:
	global_load_b64 v[12:13], v[8:9], off
	s_mov_b32 s0, 0
	s_waitcnt vmcnt(0)
	v_cvt_f32_f64_e32 v10, v[12:13]
	s_branch .LBB21_1211
.LBB21_1209:
	s_mov_b32 s0, -1
                                        ; implicit-def: $vgpr10
	s_branch .LBB21_1214
.LBB21_1210:
	s_mov_b32 s0, -1
                                        ; implicit-def: $vgpr10
.LBB21_1211:
	s_delay_alu instid0(SALU_CYCLE_1)
	s_and_not1_b32 vcc_lo, exec_lo, s0
	s_cbranch_vccnz .LBB21_1213
; %bb.1212:
	global_load_b32 v10, v[8:9], off
.LBB21_1213:
	s_mov_b32 s0, 0
.LBB21_1214:
	s_delay_alu instid0(SALU_CYCLE_1)
	s_and_not1_b32 vcc_lo, exec_lo, s0
	s_cbranch_vccnz .LBB21_1216
; %bb.1215:
	global_load_u16 v4, v[8:9], off
	s_waitcnt vmcnt(0)
	v_cvt_f32_f16_e32 v10, v4
.LBB21_1216:
	s_cbranch_execnz .LBB21_1235
.LBB21_1217:
	v_cmp_gt_i16_e32 vcc_lo, 2, v11
	s_cbranch_vccnz .LBB21_1221
; %bb.1218:
	v_cmp_gt_i16_e32 vcc_lo, 3, v11
	s_cbranch_vccnz .LBB21_1222
; %bb.1219:
	v_cmp_lt_i16_e32 vcc_lo, 3, v11
	s_cbranch_vccz .LBB21_1223
; %bb.1220:
	global_load_b64 v[12:13], v[8:9], off
	s_mov_b32 s0, 0
	s_waitcnt vmcnt(0)
	v_xor_b32_e32 v4, v12, v13
	v_cls_i32_e32 v10, v13
	s_delay_alu instid0(VALU_DEP_2) | instskip(NEXT) | instid1(VALU_DEP_2)
	v_ashrrev_i32_e32 v4, 31, v4
	v_add_nc_u32_e32 v10, -1, v10
	s_delay_alu instid0(VALU_DEP_2) | instskip(NEXT) | instid1(VALU_DEP_1)
	v_add_nc_u32_e32 v4, 32, v4
	v_min_u32_e32 v4, v10, v4
	s_delay_alu instid0(VALU_DEP_1) | instskip(SKIP_1) | instid1(VALU_DEP_2)
	v_lshlrev_b64 v[12:13], v4, v[12:13]
	v_sub_nc_u32_e32 v4, 32, v4
	v_min_u32_e32 v10, 1, v12
	s_delay_alu instid0(VALU_DEP_1) | instskip(NEXT) | instid1(VALU_DEP_1)
	v_or_b32_e32 v10, v13, v10
	v_cvt_f32_i32_e32 v10, v10
	s_delay_alu instid0(VALU_DEP_1)
	v_ldexp_f32 v10, v10, v4
	s_branch .LBB21_1224
.LBB21_1221:
                                        ; implicit-def: $vgpr10
	s_branch .LBB21_1230
.LBB21_1222:
	s_mov_b32 s0, -1
                                        ; implicit-def: $vgpr10
	s_branch .LBB21_1227
.LBB21_1223:
	s_mov_b32 s0, -1
                                        ; implicit-def: $vgpr10
.LBB21_1224:
	s_delay_alu instid0(SALU_CYCLE_1)
	s_and_not1_b32 vcc_lo, exec_lo, s0
	s_cbranch_vccnz .LBB21_1226
; %bb.1225:
	global_load_b32 v4, v[8:9], off
	s_waitcnt vmcnt(0)
	v_cvt_f32_i32_e32 v10, v4
.LBB21_1226:
	s_mov_b32 s0, 0
.LBB21_1227:
	s_delay_alu instid0(SALU_CYCLE_1)
	s_and_not1_b32 vcc_lo, exec_lo, s0
	s_cbranch_vccnz .LBB21_1229
; %bb.1228:
	global_load_i16 v4, v[8:9], off
	s_waitcnt vmcnt(0)
	v_cvt_f32_i32_e32 v10, v4
.LBB21_1229:
	s_cbranch_execnz .LBB21_1235
.LBB21_1230:
	v_cmp_lt_i16_e32 vcc_lo, 0, v11
	s_mov_b32 s0, 0
	s_cbranch_vccz .LBB21_1232
; %bb.1231:
	global_load_i8 v4, v[8:9], off
	s_waitcnt vmcnt(0)
	v_cvt_f32_i32_e32 v10, v4
	s_branch .LBB21_1233
.LBB21_1232:
	s_mov_b32 s0, -1
                                        ; implicit-def: $vgpr10
.LBB21_1233:
	s_delay_alu instid0(SALU_CYCLE_1)
	s_and_not1_b32 vcc_lo, exec_lo, s0
	s_cbranch_vccnz .LBB21_1235
; %bb.1234:
	global_load_u8 v4, v[8:9], off
	s_waitcnt vmcnt(0)
	v_cvt_f32_ubyte0_e32 v10, v4
.LBB21_1235:
	s_branch .LBB21_1306
.LBB21_1236:
	s_trap 2
	s_sendmsg_rtn_b32 s0, sendmsg(MSG_RTN_GET_DOORBELL)
	s_mov_b32 ttmp2, m0
	s_waitcnt lgkmcnt(0)
	s_and_b32 s0, s0, 0x3ff
	s_delay_alu instid0(SALU_CYCLE_1) | instskip(NEXT) | instid1(SALU_CYCLE_1)
	s_bitset1_b32 s0, 10
	s_mov_b32 m0, s0
	s_sendmsg sendmsg(MSG_INTERRUPT)
	s_mov_b32 m0, ttmp2
.LBB21_1237:                            ; =>This Inner Loop Header: Depth=1
	s_sethalt 5
	s_branch .LBB21_1237
.LBB21_1238:
	s_trap 2
	s_sendmsg_rtn_b32 s0, sendmsg(MSG_RTN_GET_DOORBELL)
	s_mov_b32 ttmp2, m0
	s_waitcnt lgkmcnt(0)
	s_and_b32 s0, s0, 0x3ff
	s_delay_alu instid0(SALU_CYCLE_1) | instskip(NEXT) | instid1(SALU_CYCLE_1)
	s_bitset1_b32 s0, 10
	s_mov_b32 m0, s0
	s_sendmsg sendmsg(MSG_INTERRUPT)
	s_mov_b32 m0, ttmp2
.LBB21_1239:                            ; =>This Inner Loop Header: Depth=1
	s_sethalt 5
	s_branch .LBB21_1239
.LBB21_1240:
	s_mov_b32 s0, -1
.LBB21_1241:
                                        ; implicit-def: $vgpr10
.LBB21_1242:
	s_and_b32 vcc_lo, exec_lo, s2
	s_cbranch_vccz .LBB21_1245
; %bb.1243:
	v_cmp_eq_u16_e32 vcc_lo, 44, v11
	s_cbranch_vccz .LBB21_1246
; %bb.1244:
	global_load_u8 v4, v[8:9], off
	s_mov_b32 s0, 0
	s_mov_b32 s10, -1
	s_waitcnt vmcnt(0)
	v_lshlrev_b32_e32 v10, 23, v4
	v_cmp_ne_u32_e32 vcc_lo, 0xff, v4
	s_delay_alu instid0(VALU_DEP_2) | instskip(SKIP_1) | instid1(VALU_DEP_2)
	v_cndmask_b32_e32 v10, 0x7f800001, v10, vcc_lo
	v_cmp_ne_u32_e32 vcc_lo, 0, v4
	v_cndmask_b32_e32 v10, 0x400000, v10, vcc_lo
.LBB21_1245:
	s_branch .LBB21_1250
.LBB21_1246:
	s_mov_b32 s0, -1
                                        ; implicit-def: $vgpr10
	s_branch .LBB21_1250
.LBB21_1247:
	v_cmp_eq_u16_e32 vcc_lo, 29, v11
	s_cbranch_vccz .LBB21_1249
; %bb.1248:
	global_load_b64 v[12:13], v[8:9], off
	s_mov_b32 s0, 0
	s_mov_b32 s10, -1
	s_mov_b32 s2, 0
	s_waitcnt vmcnt(0)
	v_clz_i32_u32_e32 v4, v13
	s_delay_alu instid0(VALU_DEP_1) | instskip(NEXT) | instid1(VALU_DEP_1)
	v_min_u32_e32 v4, 32, v4
	v_lshlrev_b64 v[12:13], v4, v[12:13]
	v_sub_nc_u32_e32 v4, 32, v4
	s_delay_alu instid0(VALU_DEP_2) | instskip(NEXT) | instid1(VALU_DEP_1)
	v_min_u32_e32 v10, 1, v12
	v_or_b32_e32 v10, v13, v10
	s_delay_alu instid0(VALU_DEP_1) | instskip(NEXT) | instid1(VALU_DEP_1)
	v_cvt_f32_u32_e32 v10, v10
	v_ldexp_f32 v10, v10, v4
	s_branch .LBB21_1251
.LBB21_1249:
	s_mov_b32 s0, -1
                                        ; implicit-def: $vgpr10
.LBB21_1250:
	s_mov_b32 s2, 0
.LBB21_1251:
	s_delay_alu instid0(SALU_CYCLE_1)
	s_and_b32 vcc_lo, exec_lo, s2
	s_cbranch_vccz .LBB21_1269
; %bb.1252:
	v_cmp_gt_i16_e32 vcc_lo, 27, v11
	s_cbranch_vccnz .LBB21_1255
; %bb.1253:
	v_cmp_lt_i16_e32 vcc_lo, 27, v11
	s_cbranch_vccz .LBB21_1256
; %bb.1254:
	global_load_b32 v4, v[8:9], off
	s_mov_b32 s2, 0
	s_waitcnt vmcnt(0)
	v_cvt_f32_u32_e32 v10, v4
	s_branch .LBB21_1257
.LBB21_1255:
	s_mov_b32 s2, -1
                                        ; implicit-def: $vgpr10
	s_branch .LBB21_1260
.LBB21_1256:
	s_mov_b32 s2, -1
                                        ; implicit-def: $vgpr10
.LBB21_1257:
	s_delay_alu instid0(SALU_CYCLE_1)
	s_and_not1_b32 vcc_lo, exec_lo, s2
	s_cbranch_vccnz .LBB21_1259
; %bb.1258:
	global_load_u16 v4, v[8:9], off
	s_waitcnt vmcnt(0)
	v_cvt_f32_u32_e32 v10, v4
.LBB21_1259:
	s_mov_b32 s2, 0
.LBB21_1260:
	s_delay_alu instid0(SALU_CYCLE_1)
	s_and_not1_b32 vcc_lo, exec_lo, s2
	s_cbranch_vccnz .LBB21_1268
; %bb.1261:
	global_load_u8 v4, v[8:9], off
	s_mov_b32 s2, 0
	s_mov_b32 s11, exec_lo
                                        ; implicit-def: $sgpr10
	s_waitcnt vmcnt(0)
	v_cmpx_lt_i16_e32 0x7f, v4
	s_xor_b32 s11, exec_lo, s11
	s_cbranch_execz .LBB21_1281
; %bb.1262:
	s_mov_b32 s2, -1
	s_mov_b32 s12, exec_lo
                                        ; implicit-def: $sgpr10
	v_cmpx_eq_u16_e32 0x80, v4
; %bb.1263:
	s_mov_b32 s10, 0x7f800001
	s_xor_b32 s2, exec_lo, -1
; %bb.1264:
	s_or_b32 exec_lo, exec_lo, s12
	s_delay_alu instid0(SALU_CYCLE_1)
	s_and_b32 s2, s2, exec_lo
	s_or_saveexec_b32 s11, s11
	v_mov_b32_e32 v10, s10
	s_xor_b32 exec_lo, exec_lo, s11
	s_cbranch_execnz .LBB21_1282
.LBB21_1265:
	s_or_b32 exec_lo, exec_lo, s11
	s_and_saveexec_b32 s10, s2
	s_cbranch_execz .LBB21_1267
.LBB21_1266:
	v_and_b32_e32 v10, 0xffff, v4
	v_lshlrev_b32_e32 v4, 24, v4
	s_delay_alu instid0(VALU_DEP_2) | instskip(NEXT) | instid1(VALU_DEP_2)
	v_and_b32_e32 v12, 7, v10
	v_and_b32_e32 v4, 0x80000000, v4
	s_delay_alu instid0(VALU_DEP_2) | instskip(NEXT) | instid1(VALU_DEP_1)
	v_clz_i32_u32_e32 v13, v12
	v_min_u32_e32 v13, 32, v13
	s_delay_alu instid0(VALU_DEP_1) | instskip(SKIP_1) | instid1(VALU_DEP_2)
	v_subrev_nc_u32_e32 v14, 28, v13
	v_sub_nc_u32_e32 v13, 29, v13
	v_lshlrev_b32_e32 v14, v14, v10
	v_bfe_u32 v10, v10, 3, 4
	s_delay_alu instid0(VALU_DEP_2) | instskip(NEXT) | instid1(VALU_DEP_2)
	v_and_b32_e32 v14, 7, v14
	v_cmp_eq_u32_e32 vcc_lo, 0, v10
	v_cndmask_b32_e32 v10, v10, v13, vcc_lo
	s_delay_alu instid0(VALU_DEP_3) | instskip(NEXT) | instid1(VALU_DEP_2)
	v_cndmask_b32_e32 v12, v12, v14, vcc_lo
	v_lshl_add_u32 v10, v10, 23, 0x3b800000
	s_delay_alu instid0(VALU_DEP_2) | instskip(NEXT) | instid1(VALU_DEP_1)
	v_lshlrev_b32_e32 v12, 20, v12
	v_or3_b32 v10, v4, v10, v12
.LBB21_1267:
	s_or_b32 exec_lo, exec_lo, s10
.LBB21_1268:
	s_mov_b32 s10, -1
.LBB21_1269:
	s_branch .LBB21_1301
.LBB21_1270:
	v_cmp_lt_i16_e32 vcc_lo, 22, v11
	s_cbranch_vccz .LBB21_1280
; %bb.1271:
	v_cmp_gt_i16_e32 vcc_lo, 24, v11
	s_cbranch_vccnz .LBB21_1283
; %bb.1272:
	v_cmp_lt_i16_e32 vcc_lo, 24, v11
	s_cbranch_vccz .LBB21_1284
; %bb.1273:
	global_load_u8 v4, v[8:9], off
	s_mov_b32 s10, exec_lo
                                        ; implicit-def: $sgpr2
	s_waitcnt vmcnt(0)
	v_cmpx_lt_i16_e32 0x7f, v4
	s_xor_b32 s10, exec_lo, s10
	s_cbranch_execz .LBB21_1295
; %bb.1274:
	s_mov_b32 s1, -1
	s_mov_b32 s11, exec_lo
                                        ; implicit-def: $sgpr2
	v_cmpx_eq_u16_e32 0x80, v4
; %bb.1275:
	s_mov_b32 s2, 0x7f800001
	s_xor_b32 s1, exec_lo, -1
; %bb.1276:
	s_or_b32 exec_lo, exec_lo, s11
	s_delay_alu instid0(SALU_CYCLE_1)
	s_and_b32 s1, s1, exec_lo
	s_or_saveexec_b32 s10, s10
	v_mov_b32_e32 v10, s2
	s_xor_b32 exec_lo, exec_lo, s10
	s_cbranch_execnz .LBB21_1296
.LBB21_1277:
	s_or_b32 exec_lo, exec_lo, s10
	s_and_saveexec_b32 s2, s1
	s_cbranch_execz .LBB21_1279
.LBB21_1278:
	v_and_b32_e32 v10, 0xffff, v4
	v_lshlrev_b32_e32 v4, 24, v4
	s_delay_alu instid0(VALU_DEP_2) | instskip(NEXT) | instid1(VALU_DEP_2)
	v_and_b32_e32 v12, 3, v10
	v_and_b32_e32 v4, 0x80000000, v4
	s_delay_alu instid0(VALU_DEP_2) | instskip(NEXT) | instid1(VALU_DEP_1)
	v_clz_i32_u32_e32 v13, v12
	v_min_u32_e32 v13, 32, v13
	s_delay_alu instid0(VALU_DEP_1) | instskip(SKIP_1) | instid1(VALU_DEP_2)
	v_subrev_nc_u32_e32 v14, 29, v13
	v_sub_nc_u32_e32 v13, 30, v13
	v_lshlrev_b32_e32 v14, v14, v10
	v_bfe_u32 v10, v10, 2, 5
	s_delay_alu instid0(VALU_DEP_2) | instskip(NEXT) | instid1(VALU_DEP_2)
	v_and_b32_e32 v14, 3, v14
	v_cmp_eq_u32_e32 vcc_lo, 0, v10
	v_cndmask_b32_e32 v10, v10, v13, vcc_lo
	s_delay_alu instid0(VALU_DEP_3) | instskip(NEXT) | instid1(VALU_DEP_2)
	v_cndmask_b32_e32 v12, v12, v14, vcc_lo
	v_lshl_add_u32 v10, v10, 23, 0x37800000
	s_delay_alu instid0(VALU_DEP_2) | instskip(NEXT) | instid1(VALU_DEP_1)
	v_lshlrev_b32_e32 v12, 21, v12
	v_or3_b32 v10, v4, v10, v12
.LBB21_1279:
	s_or_b32 exec_lo, exec_lo, s2
	s_mov_b32 s1, 0
	s_branch .LBB21_1285
.LBB21_1280:
                                        ; implicit-def: $vgpr10
	s_mov_b32 s1, 0
	s_branch .LBB21_1291
.LBB21_1281:
	s_or_saveexec_b32 s11, s11
	v_mov_b32_e32 v10, s10
	s_xor_b32 exec_lo, exec_lo, s11
	s_cbranch_execz .LBB21_1265
.LBB21_1282:
	v_cmp_ne_u16_e32 vcc_lo, 0, v4
	v_mov_b32_e32 v10, 0
	s_and_not1_b32 s2, s2, exec_lo
	s_and_b32 s10, vcc_lo, exec_lo
	s_delay_alu instid0(SALU_CYCLE_1)
	s_or_b32 s2, s2, s10
	s_or_b32 exec_lo, exec_lo, s11
	s_and_saveexec_b32 s10, s2
	s_cbranch_execnz .LBB21_1266
	s_branch .LBB21_1267
.LBB21_1283:
	s_mov_b32 s1, -1
                                        ; implicit-def: $vgpr10
	s_branch .LBB21_1288
.LBB21_1284:
	s_mov_b32 s1, -1
                                        ; implicit-def: $vgpr10
.LBB21_1285:
	s_delay_alu instid0(SALU_CYCLE_1)
	s_and_b32 vcc_lo, exec_lo, s1
	s_cbranch_vccz .LBB21_1287
; %bb.1286:
	global_load_u8 v4, v[8:9], off
	s_waitcnt vmcnt(0)
	v_lshlrev_b32_e32 v4, 24, v4
	s_delay_alu instid0(VALU_DEP_1) | instskip(NEXT) | instid1(VALU_DEP_1)
	v_and_b32_e32 v10, 0x7f000000, v4
	v_clz_i32_u32_e32 v12, v10
	v_cmp_ne_u32_e32 vcc_lo, 0, v10
	v_add_nc_u32_e32 v14, 0x1000000, v10
	s_delay_alu instid0(VALU_DEP_3) | instskip(NEXT) | instid1(VALU_DEP_1)
	v_min_u32_e32 v12, 32, v12
	v_sub_nc_u32_e64 v12, v12, 4 clamp
	s_delay_alu instid0(VALU_DEP_1) | instskip(SKIP_1) | instid1(VALU_DEP_2)
	v_lshlrev_b32_e32 v13, v12, v10
	v_lshlrev_b32_e32 v12, 23, v12
	v_lshrrev_b32_e32 v13, 4, v13
	s_delay_alu instid0(VALU_DEP_1) | instskip(SKIP_1) | instid1(VALU_DEP_2)
	v_sub_nc_u32_e32 v12, v13, v12
	v_ashrrev_i32_e32 v13, 8, v14
	v_add_nc_u32_e32 v12, 0x3c000000, v12
	s_delay_alu instid0(VALU_DEP_1) | instskip(NEXT) | instid1(VALU_DEP_1)
	v_and_or_b32 v12, 0x7f800000, v13, v12
	v_cndmask_b32_e32 v10, 0, v12, vcc_lo
	s_delay_alu instid0(VALU_DEP_1)
	v_and_or_b32 v10, 0x80000000, v4, v10
.LBB21_1287:
	s_mov_b32 s1, 0
.LBB21_1288:
	s_delay_alu instid0(SALU_CYCLE_1)
	s_and_not1_b32 vcc_lo, exec_lo, s1
	s_cbranch_vccnz .LBB21_1290
; %bb.1289:
	global_load_u8 v4, v[8:9], off
	s_waitcnt vmcnt(0)
	v_lshlrev_b32_e32 v10, 25, v4
	v_lshlrev_b16 v4, 8, v4
	s_delay_alu instid0(VALU_DEP_1) | instskip(SKIP_1) | instid1(VALU_DEP_2)
	v_and_or_b32 v13, 0x7f00, v4, 0.5
	v_bfe_i32 v4, v4, 0, 16
	v_add_f32_e32 v13, -0.5, v13
	v_lshrrev_b32_e32 v12, 4, v10
	v_cmp_gt_u32_e32 vcc_lo, 0x8000000, v10
	s_delay_alu instid0(VALU_DEP_2) | instskip(NEXT) | instid1(VALU_DEP_1)
	v_or_b32_e32 v12, 0x70000000, v12
	v_mul_f32_e32 v12, 0x7800000, v12
	s_delay_alu instid0(VALU_DEP_1) | instskip(NEXT) | instid1(VALU_DEP_1)
	v_cndmask_b32_e32 v10, v12, v13, vcc_lo
	v_and_or_b32 v10, 0x80000000, v4, v10
.LBB21_1290:
	s_mov_b32 s10, -1
	s_mov_b32 s1, 0
	s_cbranch_execnz .LBB21_1301
.LBB21_1291:
	v_cmp_lt_i16_e32 vcc_lo, 14, v11
	s_cbranch_vccz .LBB21_1294
; %bb.1292:
	v_cmp_eq_u16_e32 vcc_lo, 15, v11
	s_cbranch_vccz .LBB21_1297
; %bb.1293:
	global_load_u16 v4, v[8:9], off
	s_mov_b32 s0, 0
	s_mov_b32 s10, -1
	s_waitcnt vmcnt(0)
	v_lshlrev_b32_e32 v10, 16, v4
	s_branch .LBB21_1299
.LBB21_1294:
	s_mov_b32 s1, -1
	s_branch .LBB21_1298
.LBB21_1295:
	s_or_saveexec_b32 s10, s10
	v_mov_b32_e32 v10, s2
	s_xor_b32 exec_lo, exec_lo, s10
	s_cbranch_execz .LBB21_1277
.LBB21_1296:
	v_cmp_ne_u16_e32 vcc_lo, 0, v4
	v_mov_b32_e32 v10, 0
	s_and_not1_b32 s1, s1, exec_lo
	s_and_b32 s2, vcc_lo, exec_lo
	s_delay_alu instid0(SALU_CYCLE_1)
	s_or_b32 s1, s1, s2
	s_or_b32 exec_lo, exec_lo, s10
	s_and_saveexec_b32 s2, s1
	s_cbranch_execnz .LBB21_1278
	s_branch .LBB21_1279
.LBB21_1297:
	s_mov_b32 s0, -1
.LBB21_1298:
                                        ; implicit-def: $vgpr10
.LBB21_1299:
	s_and_b32 vcc_lo, exec_lo, s1
	s_mov_b32 s1, 0
	s_cbranch_vccz .LBB21_1301
; %bb.1300:
	v_cmp_ne_u16_e64 s0, 11, v11
	s_mov_b32 s1, -1
                                        ; implicit-def: $vgpr10
.LBB21_1301:
	s_delay_alu instid0(VALU_DEP_1)
	s_and_b32 vcc_lo, exec_lo, s0
	s_mov_b32 s2, s8
	s_cbranch_vccnz .LBB21_1337
; %bb.1302:
	s_and_not1_b32 vcc_lo, exec_lo, s1
	s_cbranch_vccnz .LBB21_1304
.LBB21_1303:
	global_load_u8 v4, v[8:9], off
	s_mov_b32 s10, -1
	s_waitcnt vmcnt(0)
	v_cmp_ne_u16_e32 vcc_lo, 0, v4
	v_cndmask_b32_e64 v10, 0, 1.0, vcc_lo
.LBB21_1304:
.LBB21_1305:
	s_and_not1_b32 vcc_lo, exec_lo, s10
	s_cbranch_vccnz .LBB21_2186
.LBB21_1306:
	v_mov_b32_e32 v4, 0x7f800000
	s_mov_b32 s10, exec_lo
	s_waitcnt vmcnt(0)
	s_delay_alu instid0(VALU_DEP_2)
	v_cmpx_neq_f32_e32 0, v10
	s_cbranch_execz .LBB21_1318
; %bb.1307:
	v_mov_b32_e32 v4, 0x7fc00000
	s_mov_b32 s11, exec_lo
	v_cmpx_ngt_f32_e32 0, v10
	s_cbranch_execz .LBB21_1317
; %bb.1308:
                                        ; implicit-def: $vgpr4
	s_mov_b32 s0, exec_lo
	v_cmpx_ge_f32_e32 2.0, v10
	s_xor_b32 s12, exec_lo, s0
	s_cbranch_execz .LBB21_1314
; %bb.1309:
	v_mul_f32_e32 v4, 0.5, v10
	v_mul_f32_e32 v8, 0x3fb8aa3b, v10
	s_mov_b32 s0, exec_lo
                                        ; implicit-def: $vgpr12
                                        ; implicit-def: $vgpr9
	v_cmpx_ge_f32_e32 0x41000000, v10
	s_xor_b32 s0, exec_lo, s0
	s_cbranch_execz .LBB21_1311
; %bb.1310:
	v_rndne_f32_e32 v14, v8
	v_add_f32_e32 v9, -2.0, v4
	s_mov_b32 s1, 0x224cf950
	v_fma_f32 v15, 0x3fb8aa3b, v10, -v8
	v_cmp_ngt_f32_e32 vcc_lo, 0xc2ce8ed0, v10
	v_sub_f32_e32 v8, v8, v14
	v_fmaak_f32 v12, s1, v9, 0xa3c2be86
	s_delay_alu instid0(VALU_DEP_4) | instskip(NEXT) | instid1(VALU_DEP_1)
	v_fmamk_f32 v15, v10, 0x32a5705f, v15
	v_dual_fmaak_f32 v13, v9, v12, 0xa24cf950 :: v_dual_add_f32 v8, v8, v15
	s_delay_alu instid0(VALU_DEP_1) | instskip(NEXT) | instid1(VALU_DEP_2)
	v_add_f32_e32 v13, 0x25331f1f, v13
	v_exp_f32_e32 v8, v8
	s_delay_alu instid0(VALU_DEP_1) | instskip(NEXT) | instid1(VALU_DEP_1)
	v_fma_f32 v12, v9, v13, -v12
	v_add_f32_e32 v12, 0xa69f5554, v12
	s_delay_alu instid0(VALU_DEP_1) | instskip(NEXT) | instid1(VALU_DEP_1)
	v_fma_f32 v13, v9, v12, -v13
	v_add_f32_e32 v13, 0x2808ebf8, v13
	;; [unrolled: 3-line block ×25, first 2 shown]
	s_delay_alu instid0(VALU_DEP_1) | instskip(SKIP_1) | instid1(VALU_DEP_2)
	v_fma_f32 v9, v9, v12, -v13
	v_cvt_i32_f32_e32 v12, v14
	v_add_f32_e32 v9, 0x3e81531c, v9
	s_delay_alu instid0(VALU_DEP_2) | instskip(NEXT) | instid1(VALU_DEP_1)
	v_ldexp_f32 v8, v8, v12
	v_dual_sub_f32 v9, v9, v13 :: v_dual_cndmask_b32 v8, 0, v8
	v_cmp_nlt_f32_e32 vcc_lo, 0x42b17218, v10
	s_delay_alu instid0(VALU_DEP_2) | instskip(NEXT) | instid1(VALU_DEP_1)
	v_mul_f32_e32 v9, 0.5, v9
	v_dual_mul_f32 v12, v10, v9 :: v_dual_cndmask_b32 v9, 0x7f800000, v8
                                        ; implicit-def: $vgpr8
	s_delay_alu instid0(VALU_DEP_1)
	v_mul_f32_e32 v12, v9, v12
.LBB21_1311:
	s_and_not1_saveexec_b32 s1, s0
	s_cbranch_execz .LBB21_1313
; %bb.1312:
	v_div_scale_f32 v9, null, v10, v10, 0x42000000
	v_div_scale_f32 v14, vcc_lo, 0x42000000, v10, 0x42000000
	s_mov_b32 s0, 0x230aab6e
	s_delay_alu instid0(VALU_DEP_2) | instskip(SKIP_1) | instid1(VALU_DEP_1)
	v_rcp_f32_e32 v12, v9
	v_fma_f32 v16, 0x3fb8aa3b, v10, -v8
	v_fmamk_f32 v16, v10, 0x32a5705f, v16
	s_waitcnt_depctr 0xfff
	v_fma_f32 v13, -v9, v12, 1.0
	s_delay_alu instid0(VALU_DEP_1) | instskip(NEXT) | instid1(VALU_DEP_1)
	v_fmac_f32_e32 v12, v13, v12
	v_mul_f32_e32 v13, v14, v12
	s_delay_alu instid0(VALU_DEP_1) | instskip(NEXT) | instid1(VALU_DEP_1)
	v_fma_f32 v15, -v9, v13, v14
	v_fmac_f32_e32 v13, v15, v12
	v_rndne_f32_e32 v15, v8
	s_delay_alu instid0(VALU_DEP_2) | instskip(SKIP_1) | instid1(VALU_DEP_3)
	v_fma_f32 v9, -v9, v13, v14
	v_mul_f32_e32 v14, 0x4f800000, v10
	v_sub_f32_e32 v8, v8, v15
	v_cvt_i32_f32_e32 v15, v15
	s_delay_alu instid0(VALU_DEP_4) | instskip(SKIP_1) | instid1(VALU_DEP_4)
	v_div_fmas_f32 v9, v9, v12, v13
	v_cmp_gt_f32_e32 vcc_lo, 0xf800000, v10
	v_add_f32_e32 v8, v8, v16
	s_delay_alu instid0(VALU_DEP_3) | instskip(SKIP_1) | instid1(VALU_DEP_3)
	v_div_fixup_f32 v9, v9, v10, 0x42000000
	v_cndmask_b32_e32 v14, v10, v14, vcc_lo
	v_exp_f32_e32 v8, v8
	s_delay_alu instid0(VALU_DEP_2) | instskip(NEXT) | instid1(VALU_DEP_2)
	v_add_f32_e32 v9, -2.0, v9
	v_sqrt_f32_e32 v17, v14
	s_delay_alu instid0(VALU_DEP_1) | instskip(SKIP_4) | instid1(VALU_DEP_2)
	v_fmaak_f32 v12, s0, v9, 0x22a2dc57
	s_waitcnt_depctr 0xfff
	v_ldexp_f32 v8, v8, v15
	v_dual_fmaak_f32 v13, v9, v12, 0xa30aab6e :: v_dual_add_nc_u32 v16, -1, v17
	v_add_nc_u32_e32 v18, 1, v17
	v_add_f32_e32 v13, 0xa456751e, v13
	s_delay_alu instid0(VALU_DEP_3) | instskip(NEXT) | instid1(VALU_DEP_3)
	v_fma_f32 v19, -v16, v17, v14
	v_fma_f32 v20, -v18, v17, v14
	s_delay_alu instid0(VALU_DEP_3) | instskip(NEXT) | instid1(VALU_DEP_3)
	v_fma_f32 v12, v9, v13, -v12
	v_cmp_ge_f32_e64 s0, 0, v19
	s_delay_alu instid0(VALU_DEP_2) | instskip(NEXT) | instid1(VALU_DEP_2)
	v_add_f32_e32 v12, 0xa4140365, v12
	v_cndmask_b32_e64 v16, v17, v16, s0
	v_cmp_lt_f32_e64 s0, 0, v20
	s_delay_alu instid0(VALU_DEP_3) | instskip(NEXT) | instid1(VALU_DEP_1)
	v_fma_f32 v13, v9, v12, -v13
	v_add_f32_e32 v13, 0x25aac8b0, v13
	s_delay_alu instid0(VALU_DEP_1) | instskip(NEXT) | instid1(VALU_DEP_1)
	v_fma_f32 v12, v9, v13, -v12
	v_add_f32_e32 v12, 0x25beb473, v12
	s_delay_alu instid0(VALU_DEP_1) | instskip(NEXT) | instid1(VALU_DEP_1)
	;; [unrolled: 3-line block ×19, first 2 shown]
	v_fma_f32 v12, v9, v13, -v12
	v_add_f32_e32 v12, 0xbc1fed03, v12
	s_delay_alu instid0(VALU_DEP_1) | instskip(SKIP_2) | instid1(VALU_DEP_3)
	v_fma_f32 v9, v9, v12, -v13
	v_cndmask_b32_e64 v12, v16, v18, s0
	v_cmp_ngt_f32_e64 s0, 0xc2ce8ed0, v10
	v_add_f32_e32 v9, 0x3f4750c6, v9
	s_delay_alu instid0(VALU_DEP_3) | instskip(NEXT) | instid1(VALU_DEP_3)
	v_mul_f32_e32 v15, 0x37800000, v12
	v_cndmask_b32_e64 v8, 0, v8, s0
	v_cmp_nlt_f32_e64 s0, 0x42b17218, v10
	s_delay_alu instid0(VALU_DEP_4) | instskip(NEXT) | instid1(VALU_DEP_2)
	v_sub_f32_e32 v13, v9, v13
	v_cndmask_b32_e64 v9, 0x7f800000, v8, s0
	v_cndmask_b32_e32 v8, v12, v15, vcc_lo
	s_delay_alu instid0(VALU_DEP_3) | instskip(SKIP_1) | instid1(VALU_DEP_2)
	v_mul_f32_e32 v12, 0.5, v13
	v_cmp_class_f32_e64 vcc_lo, v14, 0x260
	v_mul_f32_e32 v12, v9, v12
	s_delay_alu instid0(VALU_DEP_4) | instskip(NEXT) | instid1(VALU_DEP_1)
	v_cndmask_b32_e32 v8, v8, v14, vcc_lo
	v_div_scale_f32 v13, null, v8, v8, v12
	s_delay_alu instid0(VALU_DEP_1) | instskip(SKIP_2) | instid1(VALU_DEP_1)
	v_rcp_f32_e32 v14, v13
	s_waitcnt_depctr 0xfff
	v_fma_f32 v15, -v13, v14, 1.0
	v_fmac_f32_e32 v14, v15, v14
	v_div_scale_f32 v15, vcc_lo, v12, v8, v12
	s_delay_alu instid0(VALU_DEP_1) | instskip(NEXT) | instid1(VALU_DEP_1)
	v_mul_f32_e32 v16, v15, v14
	v_fma_f32 v17, -v13, v16, v15
	s_delay_alu instid0(VALU_DEP_1) | instskip(NEXT) | instid1(VALU_DEP_1)
	v_fmac_f32_e32 v16, v17, v14
	v_fma_f32 v13, -v13, v16, v15
	s_delay_alu instid0(VALU_DEP_1) | instskip(NEXT) | instid1(VALU_DEP_1)
	v_div_fmas_f32 v13, v13, v14, v16
	v_div_fixup_f32 v12, v13, v8, v12
.LBB21_1313:
	s_or_b32 exec_lo, exec_lo, s1
	v_fma_f32 v8, v10, v10, -2.0
	s_mov_b32 s0, 0xa3019142
	v_cmp_gt_f32_e32 vcc_lo, 0x800000, v4
	s_delay_alu instid0(VALU_DEP_2) | instskip(NEXT) | instid1(VALU_DEP_1)
	v_fmaak_f32 v13, s0, v8, 0xa72eea8c
	v_fmaak_f32 v14, v8, v13, 0x23019142
	s_delay_alu instid0(VALU_DEP_1) | instskip(NEXT) | instid1(VALU_DEP_1)
	v_add_f32_e32 v14, 0xab3ba817, v14
	v_fma_f32 v13, v8, v14, -v13
	s_delay_alu instid0(VALU_DEP_1) | instskip(NEXT) | instid1(VALU_DEP_1)
	v_add_f32_e32 v13, 0xaf1b31de, v13
	v_fma_f32 v14, v8, v13, -v14
	;; [unrolled: 3-line block ×8, first 2 shown]
	s_delay_alu instid0(VALU_DEP_1) | instskip(NEXT) | instid1(VALU_DEP_1)
	v_add_f32_e32 v8, 0x3fc33d0a, v8
	v_sub_f32_e32 v8, v8, v14
	v_cndmask_b32_e64 v14, 1.0, 0x4f800000, vcc_lo
	s_delay_alu instid0(VALU_DEP_2) | instskip(NEXT) | instid1(VALU_DEP_2)
	v_mul_f32_e32 v8, 0.5, v8
	v_mul_f32_e32 v4, v4, v14
	s_delay_alu instid0(VALU_DEP_2) | instskip(NEXT) | instid1(VALU_DEP_2)
	v_div_scale_f32 v13, null, v10, v10, v8
	v_log_f32_e32 v4, v4
	v_div_scale_f32 v16, s0, v8, v10, v8
	s_delay_alu instid0(VALU_DEP_2) | instskip(SKIP_3) | instid1(VALU_DEP_1)
	v_rcp_f32_e32 v15, v13
	s_waitcnt_depctr 0xfff
	v_cmp_gt_f32_e64 s1, 0x7f800000, |v4|
	v_fma_f32 v14, -v13, v15, 1.0
	v_dual_fmac_f32 v15, v14, v15 :: v_dual_mul_f32 v14, 0x3f317217, v4
	s_delay_alu instid0(VALU_DEP_1) | instskip(NEXT) | instid1(VALU_DEP_2)
	v_mul_f32_e32 v17, v16, v15
	v_fma_f32 v18, 0x3f317217, v4, -v14
	s_delay_alu instid0(VALU_DEP_2) | instskip(NEXT) | instid1(VALU_DEP_1)
	v_fma_f32 v19, -v13, v17, v16
	v_dual_fmamk_f32 v18, v4, 0x3377d1cf, v18 :: v_dual_fmac_f32 v17, v19, v15
	s_delay_alu instid0(VALU_DEP_1) | instskip(NEXT) | instid1(VALU_DEP_2)
	v_add_f32_e32 v14, v14, v18
	v_fma_f32 v13, -v13, v17, v16
	s_delay_alu instid0(VALU_DEP_2) | instskip(SKIP_2) | instid1(VALU_DEP_3)
	v_cndmask_b32_e64 v4, v4, v14, s1
	v_cndmask_b32_e64 v14, 0, 0x41b17218, vcc_lo
	s_mov_b32 vcc_lo, s0
	v_div_fmas_f32 v13, v13, v15, v17
	s_delay_alu instid0(VALU_DEP_2) | instskip(NEXT) | instid1(VALU_DEP_2)
	v_sub_f32_e32 v4, v4, v14
	v_div_fixup_f32 v8, v13, v10, v8
                                        ; implicit-def: $vgpr10
	s_delay_alu instid0(VALU_DEP_1) | instskip(NEXT) | instid1(VALU_DEP_1)
	v_fmac_f32_e32 v8, v4, v12
	v_mul_f32_e32 v4, v9, v8
.LBB21_1314:
	s_and_not1_saveexec_b32 s1, s12
	s_cbranch_execz .LBB21_1316
; %bb.1315:
	v_div_scale_f32 v4, null, v10, v10, 0x41000000
	v_div_scale_f32 v12, vcc_lo, 0x41000000, v10, 0x41000000
	s_mov_b32 s0, 0xa2d462ea
	s_delay_alu instid0(VALU_DEP_2) | instskip(SKIP_2) | instid1(VALU_DEP_1)
	v_rcp_f32_e32 v8, v4
	s_waitcnt_depctr 0xfff
	v_fma_f32 v9, -v4, v8, 1.0
	v_fmac_f32_e32 v8, v9, v8
	s_delay_alu instid0(VALU_DEP_1) | instskip(NEXT) | instid1(VALU_DEP_1)
	v_mul_f32_e32 v9, v12, v8
	v_fma_f32 v13, -v4, v9, v12
	s_delay_alu instid0(VALU_DEP_1) | instskip(NEXT) | instid1(VALU_DEP_1)
	v_fmac_f32_e32 v9, v13, v8
	v_fma_f32 v4, -v4, v9, v12
	v_mul_f32_e32 v12, 0x4f800000, v10
	s_delay_alu instid0(VALU_DEP_2) | instskip(SKIP_1) | instid1(VALU_DEP_2)
	v_div_fmas_f32 v4, v4, v8, v9
	v_cmp_gt_f32_e32 vcc_lo, 0xf800000, v10
	v_div_fixup_f32 v4, v4, v10, 0x41000000
	s_delay_alu instid0(VALU_DEP_4) | instskip(NEXT) | instid1(VALU_DEP_2)
	v_cndmask_b32_e32 v10, v10, v12, vcc_lo
	v_add_f32_e32 v4, -2.0, v4
	s_delay_alu instid0(VALU_DEP_2) | instskip(NEXT) | instid1(VALU_DEP_1)
	v_sqrt_f32_e32 v12, v10
	v_fmaak_f32 v8, s0, v4, 0x23a578d4
	s_delay_alu instid0(VALU_DEP_1) | instskip(SKIP_3) | instid1(VALU_DEP_2)
	v_fmaak_f32 v9, v4, v8, 0x22d462ea
	s_waitcnt_depctr 0xfff
	v_add_nc_u32_e32 v13, -1, v12
	v_dual_add_f32 v9, 0xa48330a9, v9 :: v_dual_add_nc_u32 v14, 1, v12
	v_fma_f32 v15, -v13, v12, v10
	s_delay_alu instid0(VALU_DEP_2) | instskip(NEXT) | instid1(VALU_DEP_3)
	v_fma_f32 v16, -v14, v12, v10
	v_fma_f32 v8, v4, v9, -v8
	s_delay_alu instid0(VALU_DEP_3) | instskip(NEXT) | instid1(VALU_DEP_2)
	v_cmp_ge_f32_e64 s0, 0, v15
	v_add_f32_e32 v8, 0x2553eaf2, v8
	s_delay_alu instid0(VALU_DEP_2) | instskip(SKIP_1) | instid1(VALU_DEP_3)
	v_cndmask_b32_e64 v12, v12, v13, s0
	v_cmp_lt_f32_e64 s0, 0, v16
	v_fma_f32 v9, v4, v8, -v9
	s_delay_alu instid0(VALU_DEP_2) | instskip(NEXT) | instid1(VALU_DEP_2)
	v_cndmask_b32_e64 v12, v12, v14, s0
	v_add_f32_e32 v9, 0xa62e951f, v9
	s_delay_alu instid0(VALU_DEP_1) | instskip(NEXT) | instid1(VALU_DEP_1)
	v_fma_f32 v8, v4, v9, -v8
	v_add_f32_e32 v8, 0x2712e76f, v8
	s_delay_alu instid0(VALU_DEP_1) | instskip(NEXT) | instid1(VALU_DEP_1)
	v_fma_f32 v9, v4, v8, -v9
	;; [unrolled: 3-line block ×19, first 2 shown]
	v_add_f32_e32 v8, 0x3dd4d5f8, v8
	s_delay_alu instid0(VALU_DEP_1) | instskip(SKIP_1) | instid1(VALU_DEP_2)
	v_fma_f32 v4, v4, v8, -v9
	v_mul_f32_e32 v8, 0x37800000, v12
	v_add_f32_e32 v4, 0x402e1ebd, v4
	s_delay_alu instid0(VALU_DEP_2) | instskip(SKIP_1) | instid1(VALU_DEP_3)
	v_cndmask_b32_e32 v8, v12, v8, vcc_lo
	v_cmp_class_f32_e64 vcc_lo, v10, 0x260
	v_sub_f32_e32 v4, v4, v9
	s_delay_alu instid0(VALU_DEP_3) | instskip(NEXT) | instid1(VALU_DEP_2)
	v_cndmask_b32_e32 v8, v8, v10, vcc_lo
	v_mul_f32_e32 v4, 0.5, v4
	s_delay_alu instid0(VALU_DEP_1) | instskip(NEXT) | instid1(VALU_DEP_1)
	v_div_scale_f32 v9, null, v8, v8, v4
	v_rcp_f32_e32 v10, v9
	s_waitcnt_depctr 0xfff
	v_fma_f32 v12, -v9, v10, 1.0
	s_delay_alu instid0(VALU_DEP_1) | instskip(SKIP_1) | instid1(VALU_DEP_1)
	v_fmac_f32_e32 v10, v12, v10
	v_div_scale_f32 v12, vcc_lo, v4, v8, v4
	v_mul_f32_e32 v13, v12, v10
	s_delay_alu instid0(VALU_DEP_1) | instskip(NEXT) | instid1(VALU_DEP_1)
	v_fma_f32 v14, -v9, v13, v12
	v_fmac_f32_e32 v13, v14, v10
	s_delay_alu instid0(VALU_DEP_1) | instskip(NEXT) | instid1(VALU_DEP_1)
	v_fma_f32 v9, -v9, v13, v12
	v_div_fmas_f32 v9, v9, v10, v13
	s_delay_alu instid0(VALU_DEP_1)
	v_div_fixup_f32 v4, v9, v8, v4
.LBB21_1316:
	s_or_b32 exec_lo, exec_lo, s1
.LBB21_1317:
	s_delay_alu instid0(SALU_CYCLE_1)
	s_or_b32 exec_lo, exec_lo, s11
.LBB21_1318:
	s_delay_alu instid0(SALU_CYCLE_1) | instskip(SKIP_2) | instid1(VALU_DEP_1)
	s_or_b32 exec_lo, exec_lo, s10
	v_cmp_gt_i16_e32 vcc_lo, 11, v11
	v_add_co_u32 v8, s0, s6, v6
	v_add_co_ci_u32_e64 v9, null, s7, 0, s0
	s_mov_b32 s10, 0
	s_cbranch_vccnz .LBB21_1325
; %bb.1319:
	v_cmp_lt_i16_e32 vcc_lo, 25, v11
	s_mov_b32 s1, 0
	s_cbranch_vccz .LBB21_1331
; %bb.1320:
	v_cmp_lt_i16_e32 vcc_lo, 28, v11
	s_cbranch_vccz .LBB21_1333
; %bb.1321:
	v_cmp_lt_i16_e32 vcc_lo, 43, v11
	;; [unrolled: 3-line block ×3, first 2 shown]
	s_cbranch_vccz .LBB21_1341
; %bb.1323:
	v_cmp_eq_u16_e32 vcc_lo, 46, v11
	s_mov_b32 s11, 0
	s_cbranch_vccz .LBB21_1385
; %bb.1324:
	global_load_b32 v6, v[8:9], off
	s_mov_b32 s0, 0
	s_mov_b32 s10, -1
	s_waitcnt vmcnt(0)
	v_lshlrev_b32_e32 v10, 16, v6
	s_branch .LBB21_1387
.LBB21_1325:
                                        ; implicit-def: $vgpr10
	s_cbranch_execz .LBB21_1452
; %bb.1326:
	v_cmp_gt_i16_e32 vcc_lo, 5, v11
	s_cbranch_vccnz .LBB21_1332
; %bb.1327:
	v_cmp_gt_i16_e32 vcc_lo, 8, v11
	s_cbranch_vccnz .LBB21_1334
	;; [unrolled: 3-line block ×3, first 2 shown]
; %bb.1329:
	v_cmp_lt_i16_e32 vcc_lo, 9, v11
	s_cbranch_vccz .LBB21_1342
; %bb.1330:
	global_load_b64 v[12:13], v[8:9], off
	s_mov_b32 s0, 0
	s_waitcnt vmcnt(0)
	v_cvt_f32_f64_e32 v10, v[12:13]
	s_branch .LBB21_1343
.LBB21_1331:
	s_mov_b32 s0, 0
                                        ; implicit-def: $vgpr10
	s_cbranch_execnz .LBB21_1416
	s_branch .LBB21_1448
.LBB21_1332:
                                        ; implicit-def: $vgpr10
	s_branch .LBB21_1361
.LBB21_1333:
	s_mov_b32 s11, -1
	s_mov_b32 s0, 0
                                        ; implicit-def: $vgpr10
	s_branch .LBB21_1397
.LBB21_1334:
	s_mov_b32 s0, -1
                                        ; implicit-def: $vgpr10
	s_branch .LBB21_1349
.LBB21_1335:
	s_mov_b32 s11, -1
	s_mov_b32 s0, 0
                                        ; implicit-def: $vgpr10
	s_branch .LBB21_1392
.LBB21_1336:
	s_mov_b32 s0, -1
                                        ; implicit-def: $vgpr10
	s_branch .LBB21_1346
.LBB21_1337:
	s_cbranch_execnz .LBB21_1381
; %bb.1338:
	s_or_b32 s2, s8, exec_lo
                                        ; implicit-def: $vgpr10
	s_cbranch_execz .LBB21_1303
	s_branch .LBB21_1304
.LBB21_1339:
	s_or_saveexec_b32 s5, s5
                                        ; implicit-def: $sgpr8
	s_delay_alu instid0(SALU_CYCLE_1)
	s_xor_b32 exec_lo, exec_lo, s5
	s_cbranch_execz .LBB21_1035
.LBB21_1340:
	v_add_f32_e64 v0, 0x46000000, |v1|
	s_and_not1_b32 s4, s4, exec_lo
	s_mov_b32 s8, 0
	s_delay_alu instid0(VALU_DEP_1) | instskip(NEXT) | instid1(VALU_DEP_1)
	v_and_b32_e32 v0, 0xff, v0
	v_cmp_ne_u32_e32 vcc_lo, 0, v0
	s_and_b32 s9, vcc_lo, exec_lo
	s_delay_alu instid0(SALU_CYCLE_1)
	s_or_b32 s4, s4, s9
	s_or_b32 exec_lo, exec_lo, s5
	v_mov_b32_e32 v2, s8
	s_and_saveexec_b32 s5, s4
	s_cbranch_execnz .LBB21_1036
	s_branch .LBB21_1037
.LBB21_1341:
	s_mov_b32 s11, -1
	s_mov_b32 s0, 0
	s_branch .LBB21_1386
.LBB21_1342:
	s_mov_b32 s0, -1
                                        ; implicit-def: $vgpr10
.LBB21_1343:
	s_delay_alu instid0(SALU_CYCLE_1)
	s_and_not1_b32 vcc_lo, exec_lo, s0
	s_cbranch_vccnz .LBB21_1345
; %bb.1344:
	global_load_b32 v10, v[8:9], off
.LBB21_1345:
	s_mov_b32 s0, 0
.LBB21_1346:
	s_delay_alu instid0(SALU_CYCLE_1)
	s_and_not1_b32 vcc_lo, exec_lo, s0
	s_cbranch_vccnz .LBB21_1348
; %bb.1347:
	global_load_b32 v6, v[8:9], off
	s_waitcnt vmcnt(0)
	v_cvt_f32_f16_e32 v10, v6
.LBB21_1348:
	s_mov_b32 s0, 0
.LBB21_1349:
	s_delay_alu instid0(SALU_CYCLE_1)
	s_and_not1_b32 vcc_lo, exec_lo, s0
	s_cbranch_vccnz .LBB21_1360
; %bb.1350:
	v_cmp_gt_i16_e32 vcc_lo, 6, v11
	s_cbranch_vccnz .LBB21_1353
; %bb.1351:
	v_cmp_lt_i16_e32 vcc_lo, 6, v11
	s_cbranch_vccz .LBB21_1354
; %bb.1352:
	global_load_b64 v[12:13], v[8:9], off
	s_mov_b32 s0, 0
	s_waitcnt vmcnt(0)
	v_cvt_f32_f64_e32 v10, v[12:13]
	s_branch .LBB21_1355
.LBB21_1353:
	s_mov_b32 s0, -1
                                        ; implicit-def: $vgpr10
	s_branch .LBB21_1358
.LBB21_1354:
	s_mov_b32 s0, -1
                                        ; implicit-def: $vgpr10
.LBB21_1355:
	s_delay_alu instid0(SALU_CYCLE_1)
	s_and_not1_b32 vcc_lo, exec_lo, s0
	s_cbranch_vccnz .LBB21_1357
; %bb.1356:
	global_load_b32 v10, v[8:9], off
.LBB21_1357:
	s_mov_b32 s0, 0
.LBB21_1358:
	s_delay_alu instid0(SALU_CYCLE_1)
	s_and_not1_b32 vcc_lo, exec_lo, s0
	s_cbranch_vccnz .LBB21_1360
; %bb.1359:
	global_load_u16 v6, v[8:9], off
	s_waitcnt vmcnt(0)
	v_cvt_f32_f16_e32 v10, v6
.LBB21_1360:
	s_cbranch_execnz .LBB21_1380
.LBB21_1361:
	v_cmp_gt_i16_e32 vcc_lo, 2, v11
	s_cbranch_vccnz .LBB21_1365
; %bb.1362:
	v_cmp_gt_i16_e32 vcc_lo, 3, v11
	s_cbranch_vccnz .LBB21_1366
; %bb.1363:
	v_cmp_lt_i16_e32 vcc_lo, 3, v11
	s_cbranch_vccz .LBB21_1367
; %bb.1364:
	global_load_b64 v[12:13], v[8:9], off
	s_mov_b32 s0, 0
	s_waitcnt vmcnt(0)
	v_xor_b32_e32 v6, v12, v13
	v_cls_i32_e32 v10, v13
	s_delay_alu instid0(VALU_DEP_2) | instskip(NEXT) | instid1(VALU_DEP_2)
	v_ashrrev_i32_e32 v6, 31, v6
	v_add_nc_u32_e32 v10, -1, v10
	s_delay_alu instid0(VALU_DEP_2) | instskip(NEXT) | instid1(VALU_DEP_1)
	v_add_nc_u32_e32 v6, 32, v6
	v_min_u32_e32 v6, v10, v6
	s_delay_alu instid0(VALU_DEP_1) | instskip(SKIP_1) | instid1(VALU_DEP_2)
	v_lshlrev_b64 v[12:13], v6, v[12:13]
	v_sub_nc_u32_e32 v6, 32, v6
	v_min_u32_e32 v10, 1, v12
	s_delay_alu instid0(VALU_DEP_1) | instskip(NEXT) | instid1(VALU_DEP_1)
	v_or_b32_e32 v10, v13, v10
	v_cvt_f32_i32_e32 v10, v10
	s_delay_alu instid0(VALU_DEP_1)
	v_ldexp_f32 v10, v10, v6
	s_branch .LBB21_1368
.LBB21_1365:
	s_mov_b32 s0, -1
                                        ; implicit-def: $vgpr10
	s_branch .LBB21_1374
.LBB21_1366:
	s_mov_b32 s0, -1
                                        ; implicit-def: $vgpr10
	s_branch .LBB21_1371
.LBB21_1367:
	s_mov_b32 s0, -1
                                        ; implicit-def: $vgpr10
.LBB21_1368:
	s_delay_alu instid0(SALU_CYCLE_1)
	s_and_not1_b32 vcc_lo, exec_lo, s0
	s_cbranch_vccnz .LBB21_1370
; %bb.1369:
	global_load_b32 v6, v[8:9], off
	s_waitcnt vmcnt(0)
	v_cvt_f32_i32_e32 v10, v6
.LBB21_1370:
	s_mov_b32 s0, 0
.LBB21_1371:
	s_delay_alu instid0(SALU_CYCLE_1)
	s_and_not1_b32 vcc_lo, exec_lo, s0
	s_cbranch_vccnz .LBB21_1373
; %bb.1372:
	global_load_i16 v6, v[8:9], off
	s_waitcnt vmcnt(0)
	v_cvt_f32_i32_e32 v10, v6
.LBB21_1373:
	s_mov_b32 s0, 0
.LBB21_1374:
	s_delay_alu instid0(SALU_CYCLE_1)
	s_and_not1_b32 vcc_lo, exec_lo, s0
	s_cbranch_vccnz .LBB21_1380
; %bb.1375:
	v_cmp_lt_i16_e32 vcc_lo, 0, v11
	s_mov_b32 s0, 0
	s_cbranch_vccz .LBB21_1377
; %bb.1376:
	global_load_i8 v6, v[8:9], off
	s_waitcnt vmcnt(0)
	v_cvt_f32_i32_e32 v10, v6
	s_branch .LBB21_1378
.LBB21_1377:
	s_mov_b32 s0, -1
                                        ; implicit-def: $vgpr10
.LBB21_1378:
	s_delay_alu instid0(SALU_CYCLE_1)
	s_and_not1_b32 vcc_lo, exec_lo, s0
	s_cbranch_vccnz .LBB21_1380
; %bb.1379:
	global_load_u8 v6, v[8:9], off
	s_waitcnt vmcnt(0)
	v_cvt_f32_ubyte0_e32 v10, v6
.LBB21_1380:
	s_branch .LBB21_1453
.LBB21_1381:
	s_trap 2
	s_sendmsg_rtn_b32 s0, sendmsg(MSG_RTN_GET_DOORBELL)
	s_mov_b32 ttmp2, m0
	s_waitcnt lgkmcnt(0)
	s_and_b32 s0, s0, 0x3ff
	s_delay_alu instid0(SALU_CYCLE_1) | instskip(NEXT) | instid1(SALU_CYCLE_1)
	s_bitset1_b32 s0, 10
	s_mov_b32 m0, s0
	s_sendmsg sendmsg(MSG_INTERRUPT)
	s_mov_b32 m0, ttmp2
.LBB21_1382:                            ; =>This Inner Loop Header: Depth=1
	s_sethalt 5
	s_branch .LBB21_1382
.LBB21_1383:
	s_or_saveexec_b32 s8, s8
                                        ; implicit-def: $sgpr9
	s_delay_alu instid0(SALU_CYCLE_1)
	s_xor_b32 exec_lo, exec_lo, s8
	s_cbranch_execz .LBB21_1047
.LBB21_1384:
	v_add_f32_e64 v0, 0x42800000, |v1|
	s_and_not1_b32 s5, s5, exec_lo
	s_mov_b32 s9, 0
	s_delay_alu instid0(VALU_DEP_1) | instskip(NEXT) | instid1(VALU_DEP_1)
	v_and_b32_e32 v0, 0xff, v0
	v_cmp_ne_u32_e32 vcc_lo, 0, v0
	s_and_b32 s10, vcc_lo, exec_lo
	s_delay_alu instid0(SALU_CYCLE_1)
	s_or_b32 s5, s5, s10
	s_or_b32 exec_lo, exec_lo, s8
	v_mov_b32_e32 v2, s9
	s_and_saveexec_b32 s8, s5
	s_cbranch_execnz .LBB21_1048
	s_branch .LBB21_1049
.LBB21_1385:
	s_mov_b32 s0, -1
.LBB21_1386:
                                        ; implicit-def: $vgpr10
.LBB21_1387:
	s_and_b32 vcc_lo, exec_lo, s11
	s_cbranch_vccz .LBB21_1391
; %bb.1388:
	v_cmp_eq_u16_e32 vcc_lo, 44, v11
	s_cbranch_vccz .LBB21_1390
; %bb.1389:
	global_load_u8 v6, v[8:9], off
	s_mov_b32 s0, 0
	s_mov_b32 s10, -1
	s_waitcnt vmcnt(0)
	v_lshlrev_b32_e32 v10, 23, v6
	v_cmp_ne_u32_e32 vcc_lo, 0xff, v6
	s_delay_alu instid0(VALU_DEP_2) | instskip(SKIP_1) | instid1(VALU_DEP_2)
	v_cndmask_b32_e32 v10, 0x7f800001, v10, vcc_lo
	v_cmp_ne_u32_e32 vcc_lo, 0, v6
	v_cndmask_b32_e32 v10, 0x400000, v10, vcc_lo
	s_branch .LBB21_1391
.LBB21_1390:
	s_mov_b32 s0, -1
                                        ; implicit-def: $vgpr10
.LBB21_1391:
	s_mov_b32 s11, 0
.LBB21_1392:
	s_delay_alu instid0(SALU_CYCLE_1)
	s_and_b32 vcc_lo, exec_lo, s11
	s_cbranch_vccz .LBB21_1396
; %bb.1393:
	v_cmp_eq_u16_e32 vcc_lo, 29, v11
	s_cbranch_vccz .LBB21_1395
; %bb.1394:
	global_load_b64 v[12:13], v[8:9], off
	s_mov_b32 s0, 0
	s_mov_b32 s10, -1
	s_mov_b32 s11, 0
	s_waitcnt vmcnt(0)
	v_clz_i32_u32_e32 v6, v13
	s_delay_alu instid0(VALU_DEP_1) | instskip(NEXT) | instid1(VALU_DEP_1)
	v_min_u32_e32 v6, 32, v6
	v_lshlrev_b64 v[12:13], v6, v[12:13]
	v_sub_nc_u32_e32 v6, 32, v6
	s_delay_alu instid0(VALU_DEP_2) | instskip(NEXT) | instid1(VALU_DEP_1)
	v_min_u32_e32 v10, 1, v12
	v_or_b32_e32 v10, v13, v10
	s_delay_alu instid0(VALU_DEP_1) | instskip(NEXT) | instid1(VALU_DEP_1)
	v_cvt_f32_u32_e32 v10, v10
	v_ldexp_f32 v10, v10, v6
	s_branch .LBB21_1397
.LBB21_1395:
	s_mov_b32 s0, -1
                                        ; implicit-def: $vgpr10
.LBB21_1396:
	s_mov_b32 s11, 0
.LBB21_1397:
	s_delay_alu instid0(SALU_CYCLE_1)
	s_and_b32 vcc_lo, exec_lo, s11
	s_cbranch_vccz .LBB21_1415
; %bb.1398:
	v_cmp_gt_i16_e32 vcc_lo, 27, v11
	s_cbranch_vccnz .LBB21_1401
; %bb.1399:
	v_cmp_lt_i16_e32 vcc_lo, 27, v11
	s_cbranch_vccz .LBB21_1402
; %bb.1400:
	global_load_b32 v6, v[8:9], off
	s_mov_b32 s10, 0
	s_waitcnt vmcnt(0)
	v_cvt_f32_u32_e32 v10, v6
	s_branch .LBB21_1403
.LBB21_1401:
	s_mov_b32 s10, -1
                                        ; implicit-def: $vgpr10
	s_branch .LBB21_1406
.LBB21_1402:
	s_mov_b32 s10, -1
                                        ; implicit-def: $vgpr10
.LBB21_1403:
	s_delay_alu instid0(SALU_CYCLE_1)
	s_and_not1_b32 vcc_lo, exec_lo, s10
	s_cbranch_vccnz .LBB21_1405
; %bb.1404:
	global_load_u16 v6, v[8:9], off
	s_waitcnt vmcnt(0)
	v_cvt_f32_u32_e32 v10, v6
.LBB21_1405:
	s_mov_b32 s10, 0
.LBB21_1406:
	s_delay_alu instid0(SALU_CYCLE_1)
	s_and_not1_b32 vcc_lo, exec_lo, s10
	s_cbranch_vccnz .LBB21_1414
; %bb.1407:
	global_load_u8 v6, v[8:9], off
	s_mov_b32 s10, 0
	s_mov_b32 s12, exec_lo
                                        ; implicit-def: $sgpr11
	s_waitcnt vmcnt(0)
	v_cmpx_lt_i16_e32 0x7f, v6
	s_xor_b32 s12, exec_lo, s12
	s_cbranch_execz .LBB21_1427
; %bb.1408:
	s_mov_b32 s10, -1
	s_mov_b32 s13, exec_lo
                                        ; implicit-def: $sgpr11
	v_cmpx_eq_u16_e32 0x80, v6
; %bb.1409:
	s_mov_b32 s11, 0x7f800001
	s_xor_b32 s10, exec_lo, -1
; %bb.1410:
	s_or_b32 exec_lo, exec_lo, s13
	s_delay_alu instid0(SALU_CYCLE_1)
	s_and_b32 s10, s10, exec_lo
	s_or_saveexec_b32 s12, s12
	v_mov_b32_e32 v10, s11
	s_xor_b32 exec_lo, exec_lo, s12
	s_cbranch_execnz .LBB21_1428
.LBB21_1411:
	s_or_b32 exec_lo, exec_lo, s12
	s_and_saveexec_b32 s11, s10
	s_cbranch_execz .LBB21_1413
.LBB21_1412:
	v_and_b32_e32 v10, 0xffff, v6
	v_lshlrev_b32_e32 v6, 24, v6
	s_delay_alu instid0(VALU_DEP_2) | instskip(NEXT) | instid1(VALU_DEP_2)
	v_and_b32_e32 v12, 7, v10
	v_and_b32_e32 v6, 0x80000000, v6
	s_delay_alu instid0(VALU_DEP_2) | instskip(NEXT) | instid1(VALU_DEP_1)
	v_clz_i32_u32_e32 v13, v12
	v_min_u32_e32 v13, 32, v13
	s_delay_alu instid0(VALU_DEP_1) | instskip(SKIP_1) | instid1(VALU_DEP_2)
	v_subrev_nc_u32_e32 v14, 28, v13
	v_sub_nc_u32_e32 v13, 29, v13
	v_lshlrev_b32_e32 v14, v14, v10
	v_bfe_u32 v10, v10, 3, 4
	s_delay_alu instid0(VALU_DEP_2) | instskip(NEXT) | instid1(VALU_DEP_2)
	v_and_b32_e32 v14, 7, v14
	v_cmp_eq_u32_e32 vcc_lo, 0, v10
	v_cndmask_b32_e32 v10, v10, v13, vcc_lo
	s_delay_alu instid0(VALU_DEP_3) | instskip(NEXT) | instid1(VALU_DEP_2)
	v_cndmask_b32_e32 v12, v12, v14, vcc_lo
	v_lshl_add_u32 v10, v10, 23, 0x3b800000
	s_delay_alu instid0(VALU_DEP_2) | instskip(NEXT) | instid1(VALU_DEP_1)
	v_lshlrev_b32_e32 v12, 20, v12
	v_or3_b32 v10, v6, v10, v12
.LBB21_1413:
	s_or_b32 exec_lo, exec_lo, s11
.LBB21_1414:
	s_mov_b32 s10, -1
.LBB21_1415:
	s_branch .LBB21_1448
.LBB21_1416:
	v_cmp_lt_i16_e32 vcc_lo, 22, v11
	s_cbranch_vccz .LBB21_1426
; %bb.1417:
	v_cmp_gt_i16_e32 vcc_lo, 24, v11
	s_cbranch_vccnz .LBB21_1429
; %bb.1418:
	v_cmp_lt_i16_e32 vcc_lo, 24, v11
	s_cbranch_vccz .LBB21_1430
; %bb.1419:
	global_load_u8 v6, v[8:9], off
	s_mov_b32 s11, exec_lo
                                        ; implicit-def: $sgpr10
	s_waitcnt vmcnt(0)
	v_cmpx_lt_i16_e32 0x7f, v6
	s_xor_b32 s11, exec_lo, s11
	s_cbranch_execz .LBB21_1442
; %bb.1420:
	s_mov_b32 s1, -1
	s_mov_b32 s12, exec_lo
                                        ; implicit-def: $sgpr10
	v_cmpx_eq_u16_e32 0x80, v6
; %bb.1421:
	s_mov_b32 s10, 0x7f800001
	s_xor_b32 s1, exec_lo, -1
; %bb.1422:
	s_or_b32 exec_lo, exec_lo, s12
	s_delay_alu instid0(SALU_CYCLE_1)
	s_and_b32 s1, s1, exec_lo
	s_or_saveexec_b32 s11, s11
	v_mov_b32_e32 v10, s10
	s_xor_b32 exec_lo, exec_lo, s11
	s_cbranch_execnz .LBB21_1443
.LBB21_1423:
	s_or_b32 exec_lo, exec_lo, s11
	s_and_saveexec_b32 s10, s1
	s_cbranch_execz .LBB21_1425
.LBB21_1424:
	v_and_b32_e32 v10, 0xffff, v6
	v_lshlrev_b32_e32 v6, 24, v6
	s_delay_alu instid0(VALU_DEP_2) | instskip(NEXT) | instid1(VALU_DEP_2)
	v_and_b32_e32 v12, 3, v10
	v_and_b32_e32 v6, 0x80000000, v6
	s_delay_alu instid0(VALU_DEP_2) | instskip(NEXT) | instid1(VALU_DEP_1)
	v_clz_i32_u32_e32 v13, v12
	v_min_u32_e32 v13, 32, v13
	s_delay_alu instid0(VALU_DEP_1) | instskip(SKIP_1) | instid1(VALU_DEP_2)
	v_subrev_nc_u32_e32 v14, 29, v13
	v_sub_nc_u32_e32 v13, 30, v13
	v_lshlrev_b32_e32 v14, v14, v10
	v_bfe_u32 v10, v10, 2, 5
	s_delay_alu instid0(VALU_DEP_2) | instskip(NEXT) | instid1(VALU_DEP_2)
	v_and_b32_e32 v14, 3, v14
	v_cmp_eq_u32_e32 vcc_lo, 0, v10
	v_cndmask_b32_e32 v10, v10, v13, vcc_lo
	s_delay_alu instid0(VALU_DEP_3) | instskip(NEXT) | instid1(VALU_DEP_2)
	v_cndmask_b32_e32 v12, v12, v14, vcc_lo
	v_lshl_add_u32 v10, v10, 23, 0x37800000
	s_delay_alu instid0(VALU_DEP_2) | instskip(NEXT) | instid1(VALU_DEP_1)
	v_lshlrev_b32_e32 v12, 21, v12
	v_or3_b32 v10, v6, v10, v12
.LBB21_1425:
	s_or_b32 exec_lo, exec_lo, s10
	s_mov_b32 s1, 0
	s_branch .LBB21_1431
.LBB21_1426:
	s_mov_b32 s1, -1
                                        ; implicit-def: $vgpr10
	s_branch .LBB21_1437
.LBB21_1427:
	s_or_saveexec_b32 s12, s12
	v_mov_b32_e32 v10, s11
	s_xor_b32 exec_lo, exec_lo, s12
	s_cbranch_execz .LBB21_1411
.LBB21_1428:
	v_cmp_ne_u16_e32 vcc_lo, 0, v6
	v_mov_b32_e32 v10, 0
	s_and_not1_b32 s10, s10, exec_lo
	s_and_b32 s11, vcc_lo, exec_lo
	s_delay_alu instid0(SALU_CYCLE_1)
	s_or_b32 s10, s10, s11
	s_or_b32 exec_lo, exec_lo, s12
	s_and_saveexec_b32 s11, s10
	s_cbranch_execnz .LBB21_1412
	s_branch .LBB21_1413
.LBB21_1429:
	s_mov_b32 s1, -1
                                        ; implicit-def: $vgpr10
	s_branch .LBB21_1434
.LBB21_1430:
	s_mov_b32 s1, -1
                                        ; implicit-def: $vgpr10
.LBB21_1431:
	s_delay_alu instid0(SALU_CYCLE_1)
	s_and_b32 vcc_lo, exec_lo, s1
	s_cbranch_vccz .LBB21_1433
; %bb.1432:
	global_load_u8 v6, v[8:9], off
	s_waitcnt vmcnt(0)
	v_lshlrev_b32_e32 v6, 24, v6
	s_delay_alu instid0(VALU_DEP_1) | instskip(NEXT) | instid1(VALU_DEP_1)
	v_and_b32_e32 v10, 0x7f000000, v6
	v_clz_i32_u32_e32 v12, v10
	v_cmp_ne_u32_e32 vcc_lo, 0, v10
	v_add_nc_u32_e32 v14, 0x1000000, v10
	s_delay_alu instid0(VALU_DEP_3) | instskip(NEXT) | instid1(VALU_DEP_1)
	v_min_u32_e32 v12, 32, v12
	v_sub_nc_u32_e64 v12, v12, 4 clamp
	s_delay_alu instid0(VALU_DEP_1) | instskip(SKIP_1) | instid1(VALU_DEP_2)
	v_lshlrev_b32_e32 v13, v12, v10
	v_lshlrev_b32_e32 v12, 23, v12
	v_lshrrev_b32_e32 v13, 4, v13
	s_delay_alu instid0(VALU_DEP_1) | instskip(SKIP_1) | instid1(VALU_DEP_2)
	v_sub_nc_u32_e32 v12, v13, v12
	v_ashrrev_i32_e32 v13, 8, v14
	v_add_nc_u32_e32 v12, 0x3c000000, v12
	s_delay_alu instid0(VALU_DEP_1) | instskip(NEXT) | instid1(VALU_DEP_1)
	v_and_or_b32 v12, 0x7f800000, v13, v12
	v_cndmask_b32_e32 v10, 0, v12, vcc_lo
	s_delay_alu instid0(VALU_DEP_1)
	v_and_or_b32 v10, 0x80000000, v6, v10
.LBB21_1433:
	s_mov_b32 s1, 0
.LBB21_1434:
	s_delay_alu instid0(SALU_CYCLE_1)
	s_and_not1_b32 vcc_lo, exec_lo, s1
	s_cbranch_vccnz .LBB21_1436
; %bb.1435:
	global_load_u8 v6, v[8:9], off
	s_waitcnt vmcnt(0)
	v_lshlrev_b32_e32 v10, 25, v6
	v_lshlrev_b16 v6, 8, v6
	s_delay_alu instid0(VALU_DEP_1) | instskip(SKIP_1) | instid1(VALU_DEP_2)
	v_and_or_b32 v13, 0x7f00, v6, 0.5
	v_bfe_i32 v6, v6, 0, 16
	v_add_f32_e32 v13, -0.5, v13
	v_lshrrev_b32_e32 v12, 4, v10
	v_cmp_gt_u32_e32 vcc_lo, 0x8000000, v10
	s_delay_alu instid0(VALU_DEP_2) | instskip(NEXT) | instid1(VALU_DEP_1)
	v_or_b32_e32 v12, 0x70000000, v12
	v_mul_f32_e32 v12, 0x7800000, v12
	s_delay_alu instid0(VALU_DEP_1) | instskip(NEXT) | instid1(VALU_DEP_1)
	v_cndmask_b32_e32 v10, v12, v13, vcc_lo
	v_and_or_b32 v10, 0x80000000, v6, v10
.LBB21_1436:
	s_mov_b32 s1, 0
	s_mov_b32 s10, -1
.LBB21_1437:
	s_and_not1_b32 vcc_lo, exec_lo, s1
	s_mov_b32 s1, 0
	s_cbranch_vccnz .LBB21_1448
; %bb.1438:
	v_cmp_lt_i16_e32 vcc_lo, 14, v11
	s_cbranch_vccz .LBB21_1441
; %bb.1439:
	v_cmp_eq_u16_e32 vcc_lo, 15, v11
	s_cbranch_vccz .LBB21_1444
; %bb.1440:
	global_load_u16 v6, v[8:9], off
	s_mov_b32 s0, 0
	s_mov_b32 s10, -1
	s_waitcnt vmcnt(0)
	v_lshlrev_b32_e32 v10, 16, v6
	s_branch .LBB21_1446
.LBB21_1441:
	s_mov_b32 s1, -1
	s_branch .LBB21_1445
.LBB21_1442:
	s_or_saveexec_b32 s11, s11
	v_mov_b32_e32 v10, s10
	s_xor_b32 exec_lo, exec_lo, s11
	s_cbranch_execz .LBB21_1423
.LBB21_1443:
	v_cmp_ne_u16_e32 vcc_lo, 0, v6
	v_mov_b32_e32 v10, 0
	s_and_not1_b32 s1, s1, exec_lo
	s_and_b32 s10, vcc_lo, exec_lo
	s_delay_alu instid0(SALU_CYCLE_1)
	s_or_b32 s1, s1, s10
	s_or_b32 exec_lo, exec_lo, s11
	s_and_saveexec_b32 s10, s1
	s_cbranch_execnz .LBB21_1424
	s_branch .LBB21_1425
.LBB21_1444:
	s_mov_b32 s0, -1
.LBB21_1445:
                                        ; implicit-def: $vgpr10
.LBB21_1446:
	s_and_b32 vcc_lo, exec_lo, s1
	s_mov_b32 s1, 0
	s_cbranch_vccz .LBB21_1448
; %bb.1447:
	v_cmp_ne_u16_e64 s0, 11, v11
	s_mov_b32 s1, -1
                                        ; implicit-def: $vgpr10
.LBB21_1448:
	s_delay_alu instid0(VALU_DEP_1)
	s_and_b32 vcc_lo, exec_lo, s0
	s_cbranch_vccnz .LBB21_1484
; %bb.1449:
	s_and_not1_b32 vcc_lo, exec_lo, s1
	s_cbranch_vccnz .LBB21_1451
.LBB21_1450:
	global_load_u8 v6, v[8:9], off
	s_mov_b32 s10, -1
	s_waitcnt vmcnt(0)
	v_cmp_ne_u16_e32 vcc_lo, 0, v6
	v_cndmask_b32_e64 v10, 0, 1.0, vcc_lo
.LBB21_1451:
.LBB21_1452:
	s_and_not1_b32 vcc_lo, exec_lo, s10
	s_cbranch_vccnz .LBB21_2186
.LBB21_1453:
	v_mov_b32_e32 v6, 0x7f800000
	s_mov_b32 s10, exec_lo
	s_waitcnt vmcnt(0)
	s_delay_alu instid0(VALU_DEP_2)
	v_cmpx_neq_f32_e32 0, v10
	s_cbranch_execz .LBB21_1465
; %bb.1454:
	v_mov_b32_e32 v6, 0x7fc00000
	s_mov_b32 s11, exec_lo
	v_cmpx_ngt_f32_e32 0, v10
	s_cbranch_execz .LBB21_1464
; %bb.1455:
                                        ; implicit-def: $vgpr6
	s_mov_b32 s0, exec_lo
	v_cmpx_ge_f32_e32 2.0, v10
	s_xor_b32 s12, exec_lo, s0
	s_cbranch_execz .LBB21_1461
; %bb.1456:
	v_mul_f32_e32 v6, 0.5, v10
	s_mov_b32 s0, exec_lo
                                        ; implicit-def: $vgpr9
                                        ; implicit-def: $vgpr8
	v_cmpx_ge_f32_e32 0x41000000, v10
	s_xor_b32 s0, exec_lo, s0
	s_cbranch_execz .LBB21_1458
; %bb.1457:
	v_add_f32_e32 v8, -2.0, v6
	s_mov_b32 s1, 0x224cf950
	v_mul_f32_e32 v13, 0x3fb8aa3b, v10
	v_cmp_ngt_f32_e32 vcc_lo, 0xc2ce8ed0, v10
	s_delay_alu instid0(VALU_DEP_3) | instskip(NEXT) | instid1(VALU_DEP_3)
	v_fmaak_f32 v9, s1, v8, 0xa3c2be86
	v_rndne_f32_e32 v14, v13
	v_fma_f32 v15, 0x3fb8aa3b, v10, -v13
	s_delay_alu instid0(VALU_DEP_2) | instskip(NEXT) | instid1(VALU_DEP_2)
	v_dual_fmaak_f32 v12, v8, v9, 0xa24cf950 :: v_dual_sub_f32 v13, v13, v14
	v_fmamk_f32 v15, v10, 0x32a5705f, v15
	s_delay_alu instid0(VALU_DEP_1) | instskip(NEXT) | instid1(VALU_DEP_1)
	v_dual_add_f32 v12, 0x25331f1f, v12 :: v_dual_add_f32 v13, v13, v15
	v_fma_f32 v9, v8, v12, -v9
	s_delay_alu instid0(VALU_DEP_1) | instskip(NEXT) | instid1(VALU_DEP_1)
	v_add_f32_e32 v9, 0xa69f5554, v9
	v_fma_f32 v12, v8, v9, -v12
	s_delay_alu instid0(VALU_DEP_1) | instskip(NEXT) | instid1(VALU_DEP_1)
	v_add_f32_e32 v12, 0x2808ebf8, v12
	;; [unrolled: 3-line block ×25, first 2 shown]
	v_fma_f32 v8, v8, v9, -v12
	v_exp_f32_e32 v9, v13
	v_cvt_i32_f32_e32 v13, v14
	s_delay_alu instid0(VALU_DEP_2) | instskip(NEXT) | instid1(VALU_DEP_1)
	v_add_f32_e32 v8, 0x3e81531c, v8
	v_sub_f32_e32 v8, v8, v12
	s_waitcnt_depctr 0xfff
	v_ldexp_f32 v9, v9, v13
	s_delay_alu instid0(VALU_DEP_1) | instskip(SKIP_1) | instid1(VALU_DEP_2)
	v_dual_mul_f32 v8, 0.5, v8 :: v_dual_cndmask_b32 v9, 0, v9
	v_cmp_nlt_f32_e32 vcc_lo, 0x42b17218, v10
	v_mul_f32_e32 v12, v10, v8
	s_delay_alu instid0(VALU_DEP_3) | instskip(NEXT) | instid1(VALU_DEP_1)
	v_cndmask_b32_e32 v8, 0x7f800000, v9, vcc_lo
	v_mul_f32_e32 v9, v8, v12
.LBB21_1458:
	s_and_not1_saveexec_b32 s1, s0
	s_cbranch_execz .LBB21_1460
; %bb.1459:
	v_div_scale_f32 v8, null, v10, v10, 0x42000000
	v_div_scale_f32 v13, vcc_lo, 0x42000000, v10, 0x42000000
	s_mov_b32 s0, 0x230aab6e
	s_delay_alu instid0(VALU_DEP_2) | instskip(SKIP_2) | instid1(VALU_DEP_1)
	v_rcp_f32_e32 v9, v8
	s_waitcnt_depctr 0xfff
	v_fma_f32 v12, -v8, v9, 1.0
	v_fmac_f32_e32 v9, v12, v9
	s_delay_alu instid0(VALU_DEP_1) | instskip(NEXT) | instid1(VALU_DEP_1)
	v_mul_f32_e32 v12, v13, v9
	v_fma_f32 v14, -v8, v12, v13
	s_delay_alu instid0(VALU_DEP_1) | instskip(SKIP_1) | instid1(VALU_DEP_2)
	v_fmac_f32_e32 v12, v14, v9
	v_mul_f32_e32 v14, 0x3fb8aa3b, v10
	v_fma_f32 v8, -v8, v12, v13
	v_mul_f32_e32 v13, 0x4f800000, v10
	s_delay_alu instid0(VALU_DEP_3) | instskip(SKIP_1) | instid1(VALU_DEP_4)
	v_rndne_f32_e32 v15, v14
	v_fma_f32 v16, 0x3fb8aa3b, v10, -v14
	v_div_fmas_f32 v8, v8, v9, v12
	v_cmp_gt_f32_e32 vcc_lo, 0xf800000, v10
	s_delay_alu instid0(VALU_DEP_4) | instskip(NEXT) | instid1(VALU_DEP_4)
	v_sub_f32_e32 v14, v14, v15
	v_fmamk_f32 v16, v10, 0x32a5705f, v16
	v_cvt_i32_f32_e32 v15, v15
	v_div_fixup_f32 v8, v8, v10, 0x42000000
	v_cndmask_b32_e32 v13, v10, v13, vcc_lo
	s_delay_alu instid0(VALU_DEP_4) | instskip(NEXT) | instid1(VALU_DEP_3)
	v_add_f32_e32 v14, v14, v16
	v_add_f32_e32 v8, -2.0, v8
	s_delay_alu instid0(VALU_DEP_3) | instskip(NEXT) | instid1(VALU_DEP_2)
	v_sqrt_f32_e32 v17, v13
	v_exp_f32_e32 v14, v14
	s_delay_alu instid0(VALU_DEP_1) | instskip(NEXT) | instid1(VALU_DEP_1)
	v_fmaak_f32 v9, s0, v8, 0x22a2dc57
	v_fmaak_f32 v12, v8, v9, 0xa30aab6e
	s_waitcnt_depctr 0xfff
	v_add_nc_u32_e32 v16, -1, v17
	v_add_nc_u32_e32 v18, 1, v17
	v_add_f32_e32 v12, 0xa456751e, v12
	s_delay_alu instid0(VALU_DEP_3) | instskip(NEXT) | instid1(VALU_DEP_3)
	v_fma_f32 v19, -v16, v17, v13
	v_fma_f32 v20, -v18, v17, v13
	s_delay_alu instid0(VALU_DEP_3) | instskip(NEXT) | instid1(VALU_DEP_3)
	v_fma_f32 v9, v8, v12, -v9
	v_cmp_ge_f32_e64 s0, 0, v19
	s_delay_alu instid0(VALU_DEP_2) | instskip(NEXT) | instid1(VALU_DEP_2)
	v_add_f32_e32 v9, 0xa4140365, v9
	v_cndmask_b32_e64 v16, v17, v16, s0
	v_cmp_lt_f32_e64 s0, 0, v20
	s_delay_alu instid0(VALU_DEP_3) | instskip(NEXT) | instid1(VALU_DEP_1)
	v_fma_f32 v12, v8, v9, -v12
	v_add_f32_e32 v12, 0x25aac8b0, v12
	s_delay_alu instid0(VALU_DEP_1) | instskip(NEXT) | instid1(VALU_DEP_1)
	v_fma_f32 v9, v8, v12, -v9
	v_add_f32_e32 v9, 0x25beb473, v9
	s_delay_alu instid0(VALU_DEP_1) | instskip(NEXT) | instid1(VALU_DEP_1)
	;; [unrolled: 3-line block ×19, first 2 shown]
	v_fma_f32 v9, v8, v12, -v9
	v_add_f32_e32 v9, 0xbc1fed03, v9
	s_delay_alu instid0(VALU_DEP_1) | instskip(SKIP_3) | instid1(VALU_DEP_4)
	v_fma_f32 v8, v8, v9, -v12
	v_ldexp_f32 v9, v14, v15
	v_cndmask_b32_e64 v14, v16, v18, s0
	v_cmp_ngt_f32_e64 s0, 0xc2ce8ed0, v10
	v_add_f32_e32 v8, 0x3f4750c6, v8
	s_delay_alu instid0(VALU_DEP_3) | instskip(NEXT) | instid1(VALU_DEP_3)
	v_mul_f32_e32 v15, 0x37800000, v14
	v_cndmask_b32_e64 v9, 0, v9, s0
	v_cmp_nlt_f32_e64 s0, 0x42b17218, v10
	s_delay_alu instid0(VALU_DEP_4) | instskip(NEXT) | instid1(VALU_DEP_2)
	v_sub_f32_e32 v12, v8, v12
	v_cndmask_b32_e64 v8, 0x7f800000, v9, s0
	s_delay_alu instid0(VALU_DEP_2) | instskip(SKIP_1) | instid1(VALU_DEP_2)
	v_dual_cndmask_b32 v9, v14, v15 :: v_dual_mul_f32 v12, 0.5, v12
	v_cmp_class_f32_e64 vcc_lo, v13, 0x260
	v_dual_mul_f32 v12, v8, v12 :: v_dual_cndmask_b32 v9, v9, v13
	s_delay_alu instid0(VALU_DEP_1) | instskip(NEXT) | instid1(VALU_DEP_1)
	v_div_scale_f32 v13, null, v9, v9, v12
	v_rcp_f32_e32 v14, v13
	s_waitcnt_depctr 0xfff
	v_fma_f32 v15, -v13, v14, 1.0
	s_delay_alu instid0(VALU_DEP_1) | instskip(SKIP_1) | instid1(VALU_DEP_1)
	v_fmac_f32_e32 v14, v15, v14
	v_div_scale_f32 v15, vcc_lo, v12, v9, v12
	v_mul_f32_e32 v16, v15, v14
	s_delay_alu instid0(VALU_DEP_1) | instskip(NEXT) | instid1(VALU_DEP_1)
	v_fma_f32 v17, -v13, v16, v15
	v_fmac_f32_e32 v16, v17, v14
	s_delay_alu instid0(VALU_DEP_1) | instskip(NEXT) | instid1(VALU_DEP_1)
	v_fma_f32 v13, -v13, v16, v15
	v_div_fmas_f32 v13, v13, v14, v16
	s_delay_alu instid0(VALU_DEP_1)
	v_div_fixup_f32 v9, v13, v9, v12
.LBB21_1460:
	s_or_b32 exec_lo, exec_lo, s1
	v_fma_f32 v12, v10, v10, -2.0
	s_mov_b32 s0, 0xa3019142
	v_cmp_gt_f32_e32 vcc_lo, 0x800000, v6
	s_delay_alu instid0(VALU_DEP_2) | instskip(NEXT) | instid1(VALU_DEP_1)
	v_fmaak_f32 v13, s0, v12, 0xa72eea8c
	v_fmaak_f32 v14, v12, v13, 0x23019142
	s_delay_alu instid0(VALU_DEP_1) | instskip(NEXT) | instid1(VALU_DEP_1)
	v_add_f32_e32 v14, 0xab3ba817, v14
	v_fma_f32 v13, v12, v14, -v13
	s_delay_alu instid0(VALU_DEP_1) | instskip(NEXT) | instid1(VALU_DEP_1)
	v_add_f32_e32 v13, 0xaf1b31de, v13
	v_fma_f32 v14, v12, v13, -v14
	s_delay_alu instid0(VALU_DEP_1) | instskip(NEXT) | instid1(VALU_DEP_1)
	v_add_f32_e32 v14, 0xb2be20e9, v14
	v_fma_f32 v13, v12, v14, -v13
	s_delay_alu instid0(VALU_DEP_1) | instskip(NEXT) | instid1(VALU_DEP_1)
	v_add_f32_e32 v13, 0xb6234d99, v13
	v_fma_f32 v14, v12, v13, -v14
	s_delay_alu instid0(VALU_DEP_1) | instskip(NEXT) | instid1(VALU_DEP_1)
	v_add_f32_e32 v14, 0xb9356f17, v14
	v_fma_f32 v13, v12, v14, -v13
	s_delay_alu instid0(VALU_DEP_1) | instskip(NEXT) | instid1(VALU_DEP_1)
	v_add_f32_e32 v13, 0xbbe4949d, v13
	v_fma_f32 v14, v12, v13, -v14
	s_delay_alu instid0(VALU_DEP_1) | instskip(NEXT) | instid1(VALU_DEP_1)
	v_add_f32_e32 v14, 0xbdfb1b92, v14
	v_fma_f32 v13, v12, v14, -v13
	s_delay_alu instid0(VALU_DEP_1) | instskip(NEXT) | instid1(VALU_DEP_1)
	v_add_f32_e32 v13, 0xbeb4d0dc, v13
	v_fma_f32 v12, v12, v13, -v14
	s_delay_alu instid0(VALU_DEP_1) | instskip(NEXT) | instid1(VALU_DEP_1)
	v_add_f32_e32 v12, 0x3fc33d0a, v12
	v_sub_f32_e32 v12, v12, v14
	v_cndmask_b32_e64 v14, 1.0, 0x4f800000, vcc_lo
	s_delay_alu instid0(VALU_DEP_2) | instskip(NEXT) | instid1(VALU_DEP_2)
	v_mul_f32_e32 v12, 0.5, v12
	v_mul_f32_e32 v6, v6, v14
	s_delay_alu instid0(VALU_DEP_2) | instskip(NEXT) | instid1(VALU_DEP_2)
	v_div_scale_f32 v13, null, v10, v10, v12
	v_log_f32_e32 v6, v6
	v_div_scale_f32 v16, s0, v12, v10, v12
	s_delay_alu instid0(VALU_DEP_2) | instskip(SKIP_3) | instid1(VALU_DEP_1)
	v_rcp_f32_e32 v15, v13
	s_waitcnt_depctr 0xfff
	v_cmp_gt_f32_e64 s1, 0x7f800000, |v6|
	v_fma_f32 v14, -v13, v15, 1.0
	v_dual_fmac_f32 v15, v14, v15 :: v_dual_mul_f32 v14, 0x3f317217, v6
	s_delay_alu instid0(VALU_DEP_1) | instskip(NEXT) | instid1(VALU_DEP_2)
	v_mul_f32_e32 v17, v16, v15
	v_fma_f32 v18, 0x3f317217, v6, -v14
	s_delay_alu instid0(VALU_DEP_2) | instskip(NEXT) | instid1(VALU_DEP_1)
	v_fma_f32 v19, -v13, v17, v16
	v_dual_fmamk_f32 v18, v6, 0x3377d1cf, v18 :: v_dual_fmac_f32 v17, v19, v15
	s_delay_alu instid0(VALU_DEP_1) | instskip(NEXT) | instid1(VALU_DEP_2)
	v_add_f32_e32 v14, v14, v18
	v_fma_f32 v13, -v13, v17, v16
	s_delay_alu instid0(VALU_DEP_2) | instskip(SKIP_2) | instid1(VALU_DEP_3)
	v_cndmask_b32_e64 v6, v6, v14, s1
	v_cndmask_b32_e64 v14, 0, 0x41b17218, vcc_lo
	s_mov_b32 vcc_lo, s0
	v_div_fmas_f32 v13, v13, v15, v17
	s_delay_alu instid0(VALU_DEP_2) | instskip(NEXT) | instid1(VALU_DEP_2)
	v_sub_f32_e32 v6, v6, v14
	v_div_fixup_f32 v10, v13, v10, v12
	s_delay_alu instid0(VALU_DEP_1) | instskip(NEXT) | instid1(VALU_DEP_1)
	v_fmac_f32_e32 v10, v6, v9
	v_mul_f32_e32 v6, v8, v10
                                        ; implicit-def: $vgpr10
.LBB21_1461:
	s_and_not1_saveexec_b32 s1, s12
	s_cbranch_execz .LBB21_1463
; %bb.1462:
	v_div_scale_f32 v6, null, v10, v10, 0x41000000
	v_div_scale_f32 v12, vcc_lo, 0x41000000, v10, 0x41000000
	s_mov_b32 s0, 0xa2d462ea
	s_delay_alu instid0(VALU_DEP_2) | instskip(SKIP_2) | instid1(VALU_DEP_1)
	v_rcp_f32_e32 v8, v6
	s_waitcnt_depctr 0xfff
	v_fma_f32 v9, -v6, v8, 1.0
	v_fmac_f32_e32 v8, v9, v8
	s_delay_alu instid0(VALU_DEP_1) | instskip(NEXT) | instid1(VALU_DEP_1)
	v_mul_f32_e32 v9, v12, v8
	v_fma_f32 v13, -v6, v9, v12
	s_delay_alu instid0(VALU_DEP_1) | instskip(NEXT) | instid1(VALU_DEP_1)
	v_fmac_f32_e32 v9, v13, v8
	v_fma_f32 v6, -v6, v9, v12
	v_mul_f32_e32 v12, 0x4f800000, v10
	s_delay_alu instid0(VALU_DEP_2) | instskip(SKIP_1) | instid1(VALU_DEP_2)
	v_div_fmas_f32 v6, v6, v8, v9
	v_cmp_gt_f32_e32 vcc_lo, 0xf800000, v10
	v_div_fixup_f32 v6, v6, v10, 0x41000000
	s_delay_alu instid0(VALU_DEP_4) | instskip(NEXT) | instid1(VALU_DEP_2)
	v_cndmask_b32_e32 v10, v10, v12, vcc_lo
	v_add_f32_e32 v6, -2.0, v6
	s_delay_alu instid0(VALU_DEP_2) | instskip(NEXT) | instid1(VALU_DEP_1)
	v_sqrt_f32_e32 v12, v10
	v_fmaak_f32 v8, s0, v6, 0x23a578d4
	s_delay_alu instid0(VALU_DEP_1) | instskip(SKIP_3) | instid1(VALU_DEP_2)
	v_fmaak_f32 v9, v6, v8, 0x22d462ea
	s_waitcnt_depctr 0xfff
	v_add_nc_u32_e32 v13, -1, v12
	v_dual_add_f32 v9, 0xa48330a9, v9 :: v_dual_add_nc_u32 v14, 1, v12
	v_fma_f32 v15, -v13, v12, v10
	s_delay_alu instid0(VALU_DEP_2) | instskip(NEXT) | instid1(VALU_DEP_3)
	v_fma_f32 v16, -v14, v12, v10
	v_fma_f32 v8, v6, v9, -v8
	s_delay_alu instid0(VALU_DEP_3) | instskip(NEXT) | instid1(VALU_DEP_2)
	v_cmp_ge_f32_e64 s0, 0, v15
	v_add_f32_e32 v8, 0x2553eaf2, v8
	s_delay_alu instid0(VALU_DEP_2) | instskip(SKIP_1) | instid1(VALU_DEP_3)
	v_cndmask_b32_e64 v12, v12, v13, s0
	v_cmp_lt_f32_e64 s0, 0, v16
	v_fma_f32 v9, v6, v8, -v9
	s_delay_alu instid0(VALU_DEP_2) | instskip(NEXT) | instid1(VALU_DEP_2)
	v_cndmask_b32_e64 v12, v12, v14, s0
	v_add_f32_e32 v9, 0xa62e951f, v9
	s_delay_alu instid0(VALU_DEP_1) | instskip(NEXT) | instid1(VALU_DEP_1)
	v_fma_f32 v8, v6, v9, -v8
	v_add_f32_e32 v8, 0x2712e76f, v8
	s_delay_alu instid0(VALU_DEP_1) | instskip(NEXT) | instid1(VALU_DEP_1)
	v_fma_f32 v9, v6, v8, -v9
	;; [unrolled: 3-line block ×19, first 2 shown]
	v_add_f32_e32 v8, 0x3dd4d5f8, v8
	s_delay_alu instid0(VALU_DEP_1) | instskip(SKIP_1) | instid1(VALU_DEP_2)
	v_fma_f32 v6, v6, v8, -v9
	v_mul_f32_e32 v8, 0x37800000, v12
	v_add_f32_e32 v6, 0x402e1ebd, v6
	s_delay_alu instid0(VALU_DEP_2) | instskip(SKIP_1) | instid1(VALU_DEP_3)
	v_cndmask_b32_e32 v8, v12, v8, vcc_lo
	v_cmp_class_f32_e64 vcc_lo, v10, 0x260
	v_sub_f32_e32 v6, v6, v9
	s_delay_alu instid0(VALU_DEP_3) | instskip(NEXT) | instid1(VALU_DEP_2)
	v_cndmask_b32_e32 v8, v8, v10, vcc_lo
	v_mul_f32_e32 v6, 0.5, v6
	s_delay_alu instid0(VALU_DEP_1) | instskip(NEXT) | instid1(VALU_DEP_1)
	v_div_scale_f32 v9, null, v8, v8, v6
	v_rcp_f32_e32 v10, v9
	s_waitcnt_depctr 0xfff
	v_fma_f32 v12, -v9, v10, 1.0
	s_delay_alu instid0(VALU_DEP_1) | instskip(SKIP_1) | instid1(VALU_DEP_1)
	v_fmac_f32_e32 v10, v12, v10
	v_div_scale_f32 v12, vcc_lo, v6, v8, v6
	v_mul_f32_e32 v13, v12, v10
	s_delay_alu instid0(VALU_DEP_1) | instskip(NEXT) | instid1(VALU_DEP_1)
	v_fma_f32 v14, -v9, v13, v12
	v_fmac_f32_e32 v13, v14, v10
	s_delay_alu instid0(VALU_DEP_1) | instskip(NEXT) | instid1(VALU_DEP_1)
	v_fma_f32 v9, -v9, v13, v12
	v_div_fmas_f32 v9, v9, v10, v13
	s_delay_alu instid0(VALU_DEP_1)
	v_div_fixup_f32 v6, v9, v8, v6
.LBB21_1463:
	s_or_b32 exec_lo, exec_lo, s1
.LBB21_1464:
	s_delay_alu instid0(SALU_CYCLE_1)
	s_or_b32 exec_lo, exec_lo, s11
.LBB21_1465:
	s_delay_alu instid0(SALU_CYCLE_1) | instskip(SKIP_2) | instid1(VALU_DEP_1)
	s_or_b32 exec_lo, exec_lo, s10
	v_cmp_gt_i16_e32 vcc_lo, 11, v11
	v_add_co_u32 v7, s0, s6, v7
	v_add_co_ci_u32_e64 v8, null, s7, 0, s0
	s_mov_b32 s10, 0
	s_cbranch_vccnz .LBB21_1472
; %bb.1466:
	v_cmp_lt_i16_e32 vcc_lo, 25, v11
	s_mov_b32 s1, 0
	s_cbranch_vccz .LBB21_1478
; %bb.1467:
	v_cmp_lt_i16_e32 vcc_lo, 28, v11
	s_cbranch_vccz .LBB21_1480
; %bb.1468:
	v_cmp_lt_i16_e32 vcc_lo, 43, v11
	;; [unrolled: 3-line block ×3, first 2 shown]
	s_cbranch_vccz .LBB21_1486
; %bb.1470:
	v_cmp_eq_u16_e32 vcc_lo, 46, v11
	s_mov_b32 s11, 0
	s_cbranch_vccz .LBB21_1529
; %bb.1471:
	global_load_b32 v9, v[7:8], off
	s_mov_b32 s0, 0
	s_mov_b32 s10, -1
	s_waitcnt vmcnt(0)
	v_lshlrev_b32_e32 v9, 16, v9
	s_branch .LBB21_1531
.LBB21_1472:
                                        ; implicit-def: $vgpr9
	s_cbranch_execz .LBB21_1597
; %bb.1473:
	v_cmp_gt_i16_e32 vcc_lo, 5, v11
	s_cbranch_vccnz .LBB21_1479
; %bb.1474:
	v_cmp_gt_i16_e32 vcc_lo, 8, v11
	s_cbranch_vccnz .LBB21_1481
	;; [unrolled: 3-line block ×3, first 2 shown]
; %bb.1476:
	v_cmp_lt_i16_e32 vcc_lo, 9, v11
	s_cbranch_vccz .LBB21_1487
; %bb.1477:
	global_load_b64 v[9:10], v[7:8], off
	s_mov_b32 s0, 0
	s_waitcnt vmcnt(0)
	v_cvt_f32_f64_e32 v9, v[9:10]
	s_branch .LBB21_1488
.LBB21_1478:
	s_mov_b32 s11, -1
	s_mov_b32 s0, 0
                                        ; implicit-def: $vgpr9
	s_branch .LBB21_1560
.LBB21_1479:
	s_mov_b32 s0, -1
                                        ; implicit-def: $vgpr9
	s_branch .LBB21_1506
.LBB21_1480:
	s_mov_b32 s11, -1
	s_mov_b32 s0, 0
                                        ; implicit-def: $vgpr9
	s_branch .LBB21_1541
.LBB21_1481:
	s_mov_b32 s0, -1
                                        ; implicit-def: $vgpr9
	s_branch .LBB21_1494
.LBB21_1482:
	s_mov_b32 s11, -1
	s_mov_b32 s0, 0
                                        ; implicit-def: $vgpr9
	s_branch .LBB21_1536
.LBB21_1483:
	s_mov_b32 s0, -1
                                        ; implicit-def: $vgpr9
	s_branch .LBB21_1491
.LBB21_1484:
	s_cbranch_execnz .LBB21_1527
; %bb.1485:
	s_or_b32 s2, s2, exec_lo
                                        ; implicit-def: $vgpr10
	s_cbranch_execz .LBB21_1450
	s_branch .LBB21_1451
.LBB21_1486:
	s_mov_b32 s11, -1
	s_mov_b32 s0, 0
	s_branch .LBB21_1530
.LBB21_1487:
	s_mov_b32 s0, -1
                                        ; implicit-def: $vgpr9
.LBB21_1488:
	s_delay_alu instid0(SALU_CYCLE_1)
	s_and_not1_b32 vcc_lo, exec_lo, s0
	s_cbranch_vccnz .LBB21_1490
; %bb.1489:
	global_load_b32 v9, v[7:8], off
.LBB21_1490:
	s_mov_b32 s0, 0
.LBB21_1491:
	s_delay_alu instid0(SALU_CYCLE_1)
	s_and_not1_b32 vcc_lo, exec_lo, s0
	s_cbranch_vccnz .LBB21_1493
; %bb.1492:
	global_load_b32 v9, v[7:8], off
	s_waitcnt vmcnt(0)
	v_cvt_f32_f16_e32 v9, v9
.LBB21_1493:
	s_mov_b32 s0, 0
.LBB21_1494:
	s_delay_alu instid0(SALU_CYCLE_1)
	s_and_not1_b32 vcc_lo, exec_lo, s0
	s_cbranch_vccnz .LBB21_1505
; %bb.1495:
	v_cmp_gt_i16_e32 vcc_lo, 6, v11
	s_cbranch_vccnz .LBB21_1498
; %bb.1496:
	v_cmp_lt_i16_e32 vcc_lo, 6, v11
	s_cbranch_vccz .LBB21_1499
; %bb.1497:
	global_load_b64 v[9:10], v[7:8], off
	s_mov_b32 s0, 0
	s_waitcnt vmcnt(0)
	v_cvt_f32_f64_e32 v9, v[9:10]
	s_branch .LBB21_1500
.LBB21_1498:
	s_mov_b32 s0, -1
                                        ; implicit-def: $vgpr9
	s_branch .LBB21_1503
.LBB21_1499:
	s_mov_b32 s0, -1
                                        ; implicit-def: $vgpr9
.LBB21_1500:
	s_delay_alu instid0(SALU_CYCLE_1)
	s_and_not1_b32 vcc_lo, exec_lo, s0
	s_cbranch_vccnz .LBB21_1502
; %bb.1501:
	global_load_b32 v9, v[7:8], off
.LBB21_1502:
	s_mov_b32 s0, 0
.LBB21_1503:
	s_delay_alu instid0(SALU_CYCLE_1)
	s_and_not1_b32 vcc_lo, exec_lo, s0
	s_cbranch_vccnz .LBB21_1505
; %bb.1504:
	global_load_u16 v9, v[7:8], off
	s_waitcnt vmcnt(0)
	v_cvt_f32_f16_e32 v9, v9
.LBB21_1505:
	s_mov_b32 s0, 0
.LBB21_1506:
	s_delay_alu instid0(SALU_CYCLE_1)
	s_and_not1_b32 vcc_lo, exec_lo, s0
	s_cbranch_vccnz .LBB21_1526
; %bb.1507:
	v_cmp_gt_i16_e32 vcc_lo, 2, v11
	s_cbranch_vccnz .LBB21_1511
; %bb.1508:
	v_cmp_gt_i16_e32 vcc_lo, 3, v11
	s_cbranch_vccnz .LBB21_1512
; %bb.1509:
	v_cmp_lt_i16_e32 vcc_lo, 3, v11
	s_cbranch_vccz .LBB21_1513
; %bb.1510:
	global_load_b64 v[9:10], v[7:8], off
	s_mov_b32 s0, 0
	s_waitcnt vmcnt(0)
	v_xor_b32_e32 v12, v9, v10
	v_cls_i32_e32 v13, v10
	s_delay_alu instid0(VALU_DEP_2) | instskip(NEXT) | instid1(VALU_DEP_2)
	v_ashrrev_i32_e32 v12, 31, v12
	v_add_nc_u32_e32 v13, -1, v13
	s_delay_alu instid0(VALU_DEP_2) | instskip(NEXT) | instid1(VALU_DEP_1)
	v_add_nc_u32_e32 v12, 32, v12
	v_min_u32_e32 v12, v13, v12
	s_delay_alu instid0(VALU_DEP_1) | instskip(NEXT) | instid1(VALU_DEP_1)
	v_lshlrev_b64 v[9:10], v12, v[9:10]
	v_min_u32_e32 v9, 1, v9
	s_delay_alu instid0(VALU_DEP_1) | instskip(SKIP_1) | instid1(VALU_DEP_2)
	v_or_b32_e32 v9, v10, v9
	v_sub_nc_u32_e32 v10, 32, v12
	v_cvt_f32_i32_e32 v9, v9
	s_delay_alu instid0(VALU_DEP_1)
	v_ldexp_f32 v9, v9, v10
	s_branch .LBB21_1514
.LBB21_1511:
	s_mov_b32 s0, -1
                                        ; implicit-def: $vgpr9
	s_branch .LBB21_1520
.LBB21_1512:
	s_mov_b32 s0, -1
                                        ; implicit-def: $vgpr9
	s_branch .LBB21_1517
.LBB21_1513:
	s_mov_b32 s0, -1
                                        ; implicit-def: $vgpr9
.LBB21_1514:
	s_delay_alu instid0(SALU_CYCLE_1)
	s_and_not1_b32 vcc_lo, exec_lo, s0
	s_cbranch_vccnz .LBB21_1516
; %bb.1515:
	global_load_b32 v9, v[7:8], off
	s_waitcnt vmcnt(0)
	v_cvt_f32_i32_e32 v9, v9
.LBB21_1516:
	s_mov_b32 s0, 0
.LBB21_1517:
	s_delay_alu instid0(SALU_CYCLE_1)
	s_and_not1_b32 vcc_lo, exec_lo, s0
	s_cbranch_vccnz .LBB21_1519
; %bb.1518:
	global_load_i16 v9, v[7:8], off
	s_waitcnt vmcnt(0)
	v_cvt_f32_i32_e32 v9, v9
.LBB21_1519:
	s_mov_b32 s0, 0
.LBB21_1520:
	s_delay_alu instid0(SALU_CYCLE_1)
	s_and_not1_b32 vcc_lo, exec_lo, s0
	s_cbranch_vccnz .LBB21_1526
; %bb.1521:
	v_cmp_lt_i16_e32 vcc_lo, 0, v11
	s_mov_b32 s0, 0
	s_cbranch_vccz .LBB21_1523
; %bb.1522:
	global_load_i8 v9, v[7:8], off
	s_waitcnt vmcnt(0)
	v_cvt_f32_i32_e32 v9, v9
	s_branch .LBB21_1524
.LBB21_1523:
	s_mov_b32 s0, -1
                                        ; implicit-def: $vgpr9
.LBB21_1524:
	s_delay_alu instid0(SALU_CYCLE_1)
	s_and_not1_b32 vcc_lo, exec_lo, s0
	s_cbranch_vccnz .LBB21_1526
; %bb.1525:
	global_load_u8 v7, v[7:8], off
	s_waitcnt vmcnt(0)
	v_cvt_f32_ubyte0_e32 v9, v7
.LBB21_1526:
	s_branch .LBB21_1598
.LBB21_1527:
	s_trap 2
	s_sendmsg_rtn_b32 s0, sendmsg(MSG_RTN_GET_DOORBELL)
	s_mov_b32 ttmp2, m0
	s_waitcnt lgkmcnt(0)
	s_and_b32 s0, s0, 0x3ff
	s_delay_alu instid0(SALU_CYCLE_1) | instskip(NEXT) | instid1(SALU_CYCLE_1)
	s_bitset1_b32 s0, 10
	s_mov_b32 m0, s0
	s_sendmsg sendmsg(MSG_INTERRUPT)
	s_mov_b32 m0, ttmp2
.LBB21_1528:                            ; =>This Inner Loop Header: Depth=1
	s_sethalt 5
	s_branch .LBB21_1528
.LBB21_1529:
	s_mov_b32 s0, -1
.LBB21_1530:
                                        ; implicit-def: $vgpr9
.LBB21_1531:
	s_and_b32 vcc_lo, exec_lo, s11
	s_cbranch_vccz .LBB21_1535
; %bb.1532:
	v_cmp_eq_u16_e32 vcc_lo, 44, v11
	s_cbranch_vccz .LBB21_1534
; %bb.1533:
	global_load_u8 v9, v[7:8], off
	s_mov_b32 s0, 0
	s_mov_b32 s10, -1
	s_waitcnt vmcnt(0)
	v_lshlrev_b32_e32 v10, 23, v9
	v_cmp_ne_u32_e32 vcc_lo, 0xff, v9
	s_delay_alu instid0(VALU_DEP_2) | instskip(SKIP_1) | instid1(VALU_DEP_2)
	v_cndmask_b32_e32 v10, 0x7f800001, v10, vcc_lo
	v_cmp_ne_u32_e32 vcc_lo, 0, v9
	v_cndmask_b32_e32 v9, 0x400000, v10, vcc_lo
	s_branch .LBB21_1535
.LBB21_1534:
	s_mov_b32 s0, -1
                                        ; implicit-def: $vgpr9
.LBB21_1535:
	s_mov_b32 s11, 0
.LBB21_1536:
	s_delay_alu instid0(SALU_CYCLE_1)
	s_and_b32 vcc_lo, exec_lo, s11
	s_cbranch_vccz .LBB21_1540
; %bb.1537:
	v_cmp_eq_u16_e32 vcc_lo, 29, v11
	s_cbranch_vccz .LBB21_1539
; %bb.1538:
	global_load_b64 v[9:10], v[7:8], off
	s_mov_b32 s0, 0
	s_mov_b32 s10, -1
	s_mov_b32 s11, 0
	s_waitcnt vmcnt(0)
	v_clz_i32_u32_e32 v12, v10
	s_delay_alu instid0(VALU_DEP_1) | instskip(NEXT) | instid1(VALU_DEP_1)
	v_min_u32_e32 v12, 32, v12
	v_lshlrev_b64 v[9:10], v12, v[9:10]
	s_delay_alu instid0(VALU_DEP_1) | instskip(NEXT) | instid1(VALU_DEP_1)
	v_min_u32_e32 v9, 1, v9
	v_or_b32_e32 v9, v10, v9
	v_sub_nc_u32_e32 v10, 32, v12
	s_delay_alu instid0(VALU_DEP_2) | instskip(NEXT) | instid1(VALU_DEP_1)
	v_cvt_f32_u32_e32 v9, v9
	v_ldexp_f32 v9, v9, v10
	s_branch .LBB21_1541
.LBB21_1539:
	s_mov_b32 s0, -1
                                        ; implicit-def: $vgpr9
.LBB21_1540:
	s_mov_b32 s11, 0
.LBB21_1541:
	s_delay_alu instid0(SALU_CYCLE_1)
	s_and_b32 vcc_lo, exec_lo, s11
	s_cbranch_vccz .LBB21_1559
; %bb.1542:
	v_cmp_gt_i16_e32 vcc_lo, 27, v11
	s_cbranch_vccnz .LBB21_1545
; %bb.1543:
	v_cmp_lt_i16_e32 vcc_lo, 27, v11
	s_cbranch_vccz .LBB21_1546
; %bb.1544:
	global_load_b32 v9, v[7:8], off
	s_mov_b32 s10, 0
	s_waitcnt vmcnt(0)
	v_cvt_f32_u32_e32 v9, v9
	s_branch .LBB21_1547
.LBB21_1545:
	s_mov_b32 s10, -1
                                        ; implicit-def: $vgpr9
	s_branch .LBB21_1550
.LBB21_1546:
	s_mov_b32 s10, -1
                                        ; implicit-def: $vgpr9
.LBB21_1547:
	s_delay_alu instid0(SALU_CYCLE_1)
	s_and_not1_b32 vcc_lo, exec_lo, s10
	s_cbranch_vccnz .LBB21_1549
; %bb.1548:
	global_load_u16 v9, v[7:8], off
	s_waitcnt vmcnt(0)
	v_cvt_f32_u32_e32 v9, v9
.LBB21_1549:
	s_mov_b32 s10, 0
.LBB21_1550:
	s_delay_alu instid0(SALU_CYCLE_1)
	s_and_not1_b32 vcc_lo, exec_lo, s10
	s_cbranch_vccnz .LBB21_1558
; %bb.1551:
	global_load_u8 v10, v[7:8], off
	s_mov_b32 s10, 0
	s_mov_b32 s12, exec_lo
                                        ; implicit-def: $sgpr11
	s_waitcnt vmcnt(0)
	v_cmpx_lt_i16_e32 0x7f, v10
	s_xor_b32 s12, exec_lo, s12
	s_cbranch_execz .LBB21_1572
; %bb.1552:
	s_mov_b32 s10, -1
	s_mov_b32 s13, exec_lo
                                        ; implicit-def: $sgpr11
	v_cmpx_eq_u16_e32 0x80, v10
; %bb.1553:
	s_mov_b32 s11, 0x7f800001
	s_xor_b32 s10, exec_lo, -1
; %bb.1554:
	s_or_b32 exec_lo, exec_lo, s13
	s_delay_alu instid0(SALU_CYCLE_1)
	s_and_b32 s10, s10, exec_lo
	s_or_saveexec_b32 s12, s12
	v_mov_b32_e32 v9, s11
	s_xor_b32 exec_lo, exec_lo, s12
	s_cbranch_execnz .LBB21_1573
.LBB21_1555:
	s_or_b32 exec_lo, exec_lo, s12
	s_and_saveexec_b32 s11, s10
	s_cbranch_execz .LBB21_1557
.LBB21_1556:
	v_and_b32_e32 v9, 0xffff, v10
	v_lshlrev_b32_e32 v10, 24, v10
	s_delay_alu instid0(VALU_DEP_2) | instskip(NEXT) | instid1(VALU_DEP_2)
	v_and_b32_e32 v12, 7, v9
	v_and_b32_e32 v10, 0x80000000, v10
	s_delay_alu instid0(VALU_DEP_2) | instskip(NEXT) | instid1(VALU_DEP_1)
	v_clz_i32_u32_e32 v13, v12
	v_min_u32_e32 v13, 32, v13
	s_delay_alu instid0(VALU_DEP_1) | instskip(SKIP_1) | instid1(VALU_DEP_2)
	v_subrev_nc_u32_e32 v14, 28, v13
	v_sub_nc_u32_e32 v13, 29, v13
	v_lshlrev_b32_e32 v14, v14, v9
	v_bfe_u32 v9, v9, 3, 4
	s_delay_alu instid0(VALU_DEP_1) | instskip(NEXT) | instid1(VALU_DEP_3)
	v_cmp_eq_u32_e32 vcc_lo, 0, v9
	v_dual_cndmask_b32 v9, v9, v13 :: v_dual_and_b32 v14, 7, v14
	s_delay_alu instid0(VALU_DEP_1) | instskip(NEXT) | instid1(VALU_DEP_2)
	v_cndmask_b32_e32 v12, v12, v14, vcc_lo
	v_lshl_add_u32 v9, v9, 23, 0x3b800000
	s_delay_alu instid0(VALU_DEP_2) | instskip(NEXT) | instid1(VALU_DEP_1)
	v_lshlrev_b32_e32 v12, 20, v12
	v_or3_b32 v9, v10, v9, v12
.LBB21_1557:
	s_or_b32 exec_lo, exec_lo, s11
.LBB21_1558:
	s_mov_b32 s10, -1
.LBB21_1559:
	s_mov_b32 s11, 0
.LBB21_1560:
	s_delay_alu instid0(SALU_CYCLE_1)
	s_and_b32 vcc_lo, exec_lo, s11
	s_cbranch_vccz .LBB21_1593
; %bb.1561:
	v_cmp_lt_i16_e32 vcc_lo, 22, v11
	s_cbranch_vccz .LBB21_1571
; %bb.1562:
	v_cmp_gt_i16_e32 vcc_lo, 24, v11
	s_cbranch_vccnz .LBB21_1574
; %bb.1563:
	v_cmp_lt_i16_e32 vcc_lo, 24, v11
	s_cbranch_vccz .LBB21_1575
; %bb.1564:
	global_load_u8 v10, v[7:8], off
	s_mov_b32 s11, exec_lo
                                        ; implicit-def: $sgpr10
	s_waitcnt vmcnt(0)
	v_cmpx_lt_i16_e32 0x7f, v10
	s_xor_b32 s11, exec_lo, s11
	s_cbranch_execz .LBB21_1587
; %bb.1565:
	s_mov_b32 s1, -1
	s_mov_b32 s12, exec_lo
                                        ; implicit-def: $sgpr10
	v_cmpx_eq_u16_e32 0x80, v10
; %bb.1566:
	s_mov_b32 s10, 0x7f800001
	s_xor_b32 s1, exec_lo, -1
; %bb.1567:
	s_or_b32 exec_lo, exec_lo, s12
	s_delay_alu instid0(SALU_CYCLE_1)
	s_and_b32 s1, s1, exec_lo
	s_or_saveexec_b32 s11, s11
	v_mov_b32_e32 v9, s10
	s_xor_b32 exec_lo, exec_lo, s11
	s_cbranch_execnz .LBB21_1588
.LBB21_1568:
	s_or_b32 exec_lo, exec_lo, s11
	s_and_saveexec_b32 s10, s1
	s_cbranch_execz .LBB21_1570
.LBB21_1569:
	v_and_b32_e32 v9, 0xffff, v10
	v_lshlrev_b32_e32 v10, 24, v10
	s_delay_alu instid0(VALU_DEP_2) | instskip(NEXT) | instid1(VALU_DEP_2)
	v_and_b32_e32 v12, 3, v9
	v_and_b32_e32 v10, 0x80000000, v10
	s_delay_alu instid0(VALU_DEP_2) | instskip(NEXT) | instid1(VALU_DEP_1)
	v_clz_i32_u32_e32 v13, v12
	v_min_u32_e32 v13, 32, v13
	s_delay_alu instid0(VALU_DEP_1) | instskip(SKIP_1) | instid1(VALU_DEP_2)
	v_subrev_nc_u32_e32 v14, 29, v13
	v_sub_nc_u32_e32 v13, 30, v13
	v_lshlrev_b32_e32 v14, v14, v9
	v_bfe_u32 v9, v9, 2, 5
	s_delay_alu instid0(VALU_DEP_1) | instskip(NEXT) | instid1(VALU_DEP_3)
	v_cmp_eq_u32_e32 vcc_lo, 0, v9
	v_dual_cndmask_b32 v9, v9, v13 :: v_dual_and_b32 v14, 3, v14
	s_delay_alu instid0(VALU_DEP_1) | instskip(NEXT) | instid1(VALU_DEP_2)
	v_cndmask_b32_e32 v12, v12, v14, vcc_lo
	v_lshl_add_u32 v9, v9, 23, 0x37800000
	s_delay_alu instid0(VALU_DEP_2) | instskip(NEXT) | instid1(VALU_DEP_1)
	v_lshlrev_b32_e32 v12, 21, v12
	v_or3_b32 v9, v10, v9, v12
.LBB21_1570:
	s_or_b32 exec_lo, exec_lo, s10
	s_mov_b32 s1, 0
	s_branch .LBB21_1576
.LBB21_1571:
	s_mov_b32 s1, -1
                                        ; implicit-def: $vgpr9
	s_branch .LBB21_1582
.LBB21_1572:
	s_or_saveexec_b32 s12, s12
	v_mov_b32_e32 v9, s11
	s_xor_b32 exec_lo, exec_lo, s12
	s_cbranch_execz .LBB21_1555
.LBB21_1573:
	v_cmp_ne_u16_e32 vcc_lo, 0, v10
	v_mov_b32_e32 v9, 0
	s_and_not1_b32 s10, s10, exec_lo
	s_and_b32 s11, vcc_lo, exec_lo
	s_delay_alu instid0(SALU_CYCLE_1)
	s_or_b32 s10, s10, s11
	s_or_b32 exec_lo, exec_lo, s12
	s_and_saveexec_b32 s11, s10
	s_cbranch_execnz .LBB21_1556
	s_branch .LBB21_1557
.LBB21_1574:
	s_mov_b32 s1, -1
                                        ; implicit-def: $vgpr9
	s_branch .LBB21_1579
.LBB21_1575:
	s_mov_b32 s1, -1
                                        ; implicit-def: $vgpr9
.LBB21_1576:
	s_delay_alu instid0(SALU_CYCLE_1)
	s_and_b32 vcc_lo, exec_lo, s1
	s_cbranch_vccz .LBB21_1578
; %bb.1577:
	global_load_u8 v9, v[7:8], off
	s_waitcnt vmcnt(0)
	v_lshlrev_b32_e32 v9, 24, v9
	s_delay_alu instid0(VALU_DEP_1) | instskip(NEXT) | instid1(VALU_DEP_1)
	v_and_b32_e32 v10, 0x7f000000, v9
	v_clz_i32_u32_e32 v12, v10
	v_add_nc_u32_e32 v14, 0x1000000, v10
	v_cmp_ne_u32_e32 vcc_lo, 0, v10
	s_delay_alu instid0(VALU_DEP_3) | instskip(NEXT) | instid1(VALU_DEP_1)
	v_min_u32_e32 v12, 32, v12
	v_sub_nc_u32_e64 v12, v12, 4 clamp
	s_delay_alu instid0(VALU_DEP_1) | instskip(SKIP_1) | instid1(VALU_DEP_2)
	v_lshlrev_b32_e32 v13, v12, v10
	v_lshlrev_b32_e32 v12, 23, v12
	v_lshrrev_b32_e32 v13, 4, v13
	s_delay_alu instid0(VALU_DEP_1) | instskip(SKIP_1) | instid1(VALU_DEP_2)
	v_sub_nc_u32_e32 v12, v13, v12
	v_ashrrev_i32_e32 v13, 8, v14
	v_add_nc_u32_e32 v12, 0x3c000000, v12
	s_delay_alu instid0(VALU_DEP_1) | instskip(NEXT) | instid1(VALU_DEP_1)
	v_and_or_b32 v12, 0x7f800000, v13, v12
	v_cndmask_b32_e32 v10, 0, v12, vcc_lo
	s_delay_alu instid0(VALU_DEP_1)
	v_and_or_b32 v9, 0x80000000, v9, v10
.LBB21_1578:
	s_mov_b32 s1, 0
.LBB21_1579:
	s_delay_alu instid0(SALU_CYCLE_1)
	s_and_not1_b32 vcc_lo, exec_lo, s1
	s_cbranch_vccnz .LBB21_1581
; %bb.1580:
	global_load_u8 v9, v[7:8], off
	s_waitcnt vmcnt(0)
	v_lshlrev_b32_e32 v10, 25, v9
	v_lshlrev_b16 v9, 8, v9
	s_delay_alu instid0(VALU_DEP_2) | instskip(NEXT) | instid1(VALU_DEP_2)
	v_lshrrev_b32_e32 v12, 4, v10
	v_and_or_b32 v13, 0x7f00, v9, 0.5
	v_cmp_gt_u32_e32 vcc_lo, 0x8000000, v10
	v_bfe_i32 v9, v9, 0, 16
	s_delay_alu instid0(VALU_DEP_4) | instskip(NEXT) | instid1(VALU_DEP_1)
	v_or_b32_e32 v12, 0x70000000, v12
	v_dual_add_f32 v13, -0.5, v13 :: v_dual_mul_f32 v12, 0x7800000, v12
	s_delay_alu instid0(VALU_DEP_1) | instskip(NEXT) | instid1(VALU_DEP_1)
	v_cndmask_b32_e32 v10, v12, v13, vcc_lo
	v_and_or_b32 v9, 0x80000000, v9, v10
.LBB21_1581:
	s_mov_b32 s1, 0
	s_mov_b32 s10, -1
.LBB21_1582:
	s_and_not1_b32 vcc_lo, exec_lo, s1
	s_mov_b32 s1, 0
	s_cbranch_vccnz .LBB21_1593
; %bb.1583:
	v_cmp_lt_i16_e32 vcc_lo, 14, v11
	s_cbranch_vccz .LBB21_1586
; %bb.1584:
	v_cmp_eq_u16_e32 vcc_lo, 15, v11
	s_cbranch_vccz .LBB21_1589
; %bb.1585:
	global_load_u16 v9, v[7:8], off
	s_mov_b32 s0, 0
	s_mov_b32 s10, -1
	s_waitcnt vmcnt(0)
	v_lshlrev_b32_e32 v9, 16, v9
	s_branch .LBB21_1591
.LBB21_1586:
	s_mov_b32 s1, -1
	s_branch .LBB21_1590
.LBB21_1587:
	s_or_saveexec_b32 s11, s11
	v_mov_b32_e32 v9, s10
	s_xor_b32 exec_lo, exec_lo, s11
	s_cbranch_execz .LBB21_1568
.LBB21_1588:
	v_cmp_ne_u16_e32 vcc_lo, 0, v10
	v_mov_b32_e32 v9, 0
	s_and_not1_b32 s1, s1, exec_lo
	s_and_b32 s10, vcc_lo, exec_lo
	s_delay_alu instid0(SALU_CYCLE_1)
	s_or_b32 s1, s1, s10
	s_or_b32 exec_lo, exec_lo, s11
	s_and_saveexec_b32 s10, s1
	s_cbranch_execnz .LBB21_1569
	s_branch .LBB21_1570
.LBB21_1589:
	s_mov_b32 s0, -1
.LBB21_1590:
                                        ; implicit-def: $vgpr9
.LBB21_1591:
	s_and_b32 vcc_lo, exec_lo, s1
	s_mov_b32 s1, 0
	s_cbranch_vccz .LBB21_1593
; %bb.1592:
	v_cmp_ne_u16_e64 s0, 11, v11
	s_mov_b32 s1, -1
                                        ; implicit-def: $vgpr9
.LBB21_1593:
	s_delay_alu instid0(VALU_DEP_1)
	s_and_b32 vcc_lo, exec_lo, s0
	s_cbranch_vccnz .LBB21_1621
; %bb.1594:
	s_and_not1_b32 vcc_lo, exec_lo, s1
	s_cbranch_vccnz .LBB21_1596
.LBB21_1595:
	global_load_u8 v9, v[7:8], off
	s_mov_b32 s10, -1
	s_waitcnt vmcnt(0)
	v_cmp_ne_u16_e32 vcc_lo, 0, v9
	v_cndmask_b32_e64 v9, 0, 1.0, vcc_lo
.LBB21_1596:
.LBB21_1597:
	s_and_not1_b32 vcc_lo, exec_lo, s10
	s_cbranch_vccnz .LBB21_2186
.LBB21_1598:
	v_mov_b32_e32 v8, 0x7f800000
	s_mov_b32 s10, exec_lo
	s_waitcnt vmcnt(0)
	s_delay_alu instid0(VALU_DEP_2)
	v_cmpx_neq_f32_e32 0, v9
	s_cbranch_execz .LBB21_1610
; %bb.1599:
	v_mov_b32_e32 v8, 0x7fc00000
	s_mov_b32 s11, exec_lo
	v_cmpx_ngt_f32_e32 0, v9
	s_cbranch_execz .LBB21_1609
; %bb.1600:
                                        ; implicit-def: $vgpr8
	s_mov_b32 s0, exec_lo
	v_cmpx_ge_f32_e32 2.0, v9
	s_xor_b32 s12, exec_lo, s0
	s_cbranch_execz .LBB21_1606
; %bb.1601:
	v_mul_f32_e32 v7, 0.5, v9
	s_mov_b32 s0, exec_lo
                                        ; implicit-def: $vgpr10
                                        ; implicit-def: $vgpr8
	v_cmpx_ge_f32_e32 0x41000000, v9
	s_xor_b32 s0, exec_lo, s0
	s_cbranch_execz .LBB21_1603
; %bb.1602:
	v_dual_add_f32 v8, -2.0, v7 :: v_dual_mul_f32 v13, 0x3fb8aa3b, v9
	s_mov_b32 s1, 0x224cf950
	v_cmp_ngt_f32_e32 vcc_lo, 0xc2ce8ed0, v9
	s_delay_alu instid0(VALU_DEP_2) | instskip(NEXT) | instid1(VALU_DEP_3)
	v_rndne_f32_e32 v14, v13
	v_fmaak_f32 v10, s1, v8, 0xa3c2be86
	v_fma_f32 v15, 0x3fb8aa3b, v9, -v13
	s_delay_alu instid0(VALU_DEP_3) | instskip(NEXT) | instid1(VALU_DEP_2)
	v_sub_f32_e32 v13, v13, v14
	v_fmamk_f32 v15, v9, 0x32a5705f, v15
	s_delay_alu instid0(VALU_DEP_1) | instskip(NEXT) | instid1(VALU_DEP_1)
	v_dual_fmaak_f32 v12, v8, v10, 0xa24cf950 :: v_dual_add_f32 v13, v13, v15
	v_add_f32_e32 v12, 0x25331f1f, v12
	s_delay_alu instid0(VALU_DEP_1) | instskip(NEXT) | instid1(VALU_DEP_1)
	v_fma_f32 v10, v8, v12, -v10
	v_add_f32_e32 v10, 0xa69f5554, v10
	s_delay_alu instid0(VALU_DEP_1) | instskip(NEXT) | instid1(VALU_DEP_1)
	v_fma_f32 v12, v8, v10, -v12
	;; [unrolled: 3-line block ×25, first 2 shown]
	v_add_f32_e32 v10, 0xbe34a688, v10
	s_delay_alu instid0(VALU_DEP_1) | instskip(SKIP_2) | instid1(VALU_DEP_2)
	v_fma_f32 v8, v8, v10, -v12
	v_exp_f32_e32 v10, v13
	v_cvt_i32_f32_e32 v13, v14
	v_add_f32_e32 v8, 0x3e81531c, v8
	s_delay_alu instid0(VALU_DEP_1) | instskip(SKIP_3) | instid1(VALU_DEP_2)
	v_sub_f32_e32 v8, v8, v12
	s_waitcnt_depctr 0xfff
	v_ldexp_f32 v10, v10, v13
	v_mul_f32_e32 v8, 0.5, v8
	v_cndmask_b32_e32 v10, 0, v10, vcc_lo
	v_cmp_nlt_f32_e32 vcc_lo, 0x42b17218, v9
	s_delay_alu instid0(VALU_DEP_3) | instskip(NEXT) | instid1(VALU_DEP_3)
	v_mul_f32_e32 v12, v9, v8
	v_cndmask_b32_e32 v8, 0x7f800000, v10, vcc_lo
	s_delay_alu instid0(VALU_DEP_1)
	v_mul_f32_e32 v10, v8, v12
.LBB21_1603:
	s_and_not1_saveexec_b32 s1, s0
	s_cbranch_execz .LBB21_1605
; %bb.1604:
	v_div_scale_f32 v8, null, v9, v9, 0x42000000
	v_div_scale_f32 v13, vcc_lo, 0x42000000, v9, 0x42000000
	s_mov_b32 s0, 0x230aab6e
	s_delay_alu instid0(VALU_DEP_2) | instskip(SKIP_2) | instid1(VALU_DEP_1)
	v_rcp_f32_e32 v10, v8
	s_waitcnt_depctr 0xfff
	v_fma_f32 v12, -v8, v10, 1.0
	v_fmac_f32_e32 v10, v12, v10
	s_delay_alu instid0(VALU_DEP_1) | instskip(NEXT) | instid1(VALU_DEP_1)
	v_mul_f32_e32 v12, v13, v10
	v_fma_f32 v14, -v8, v12, v13
	s_delay_alu instid0(VALU_DEP_1) | instskip(SKIP_1) | instid1(VALU_DEP_2)
	v_fmac_f32_e32 v12, v14, v10
	v_mul_f32_e32 v14, 0x3fb8aa3b, v9
	v_fma_f32 v8, -v8, v12, v13
	v_mul_f32_e32 v13, 0x4f800000, v9
	s_delay_alu instid0(VALU_DEP_3) | instskip(SKIP_1) | instid1(VALU_DEP_4)
	v_rndne_f32_e32 v15, v14
	v_fma_f32 v16, 0x3fb8aa3b, v9, -v14
	v_div_fmas_f32 v8, v8, v10, v12
	v_cmp_gt_f32_e32 vcc_lo, 0xf800000, v9
	s_delay_alu instid0(VALU_DEP_4) | instskip(NEXT) | instid1(VALU_DEP_4)
	v_sub_f32_e32 v14, v14, v15
	v_fmamk_f32 v16, v9, 0x32a5705f, v16
	v_cvt_i32_f32_e32 v15, v15
	v_div_fixup_f32 v8, v8, v9, 0x42000000
	s_delay_alu instid0(VALU_DEP_3) | instskip(NEXT) | instid1(VALU_DEP_2)
	v_dual_cndmask_b32 v13, v9, v13 :: v_dual_add_f32 v14, v14, v16
	v_add_f32_e32 v8, -2.0, v8
	s_delay_alu instid0(VALU_DEP_2) | instskip(NEXT) | instid1(VALU_DEP_2)
	v_sqrt_f32_e32 v17, v13
	v_exp_f32_e32 v14, v14
	s_delay_alu instid0(VALU_DEP_1) | instskip(NEXT) | instid1(VALU_DEP_1)
	v_fmaak_f32 v10, s0, v8, 0x22a2dc57
	v_fmaak_f32 v12, v8, v10, 0xa30aab6e
	s_waitcnt_depctr 0xfff
	v_add_nc_u32_e32 v16, -1, v17
	v_add_nc_u32_e32 v18, 1, v17
	v_add_f32_e32 v12, 0xa456751e, v12
	s_delay_alu instid0(VALU_DEP_3) | instskip(NEXT) | instid1(VALU_DEP_3)
	v_fma_f32 v19, -v16, v17, v13
	v_fma_f32 v20, -v18, v17, v13
	s_delay_alu instid0(VALU_DEP_3) | instskip(NEXT) | instid1(VALU_DEP_3)
	v_fma_f32 v10, v8, v12, -v10
	v_cmp_ge_f32_e64 s0, 0, v19
	s_delay_alu instid0(VALU_DEP_2) | instskip(NEXT) | instid1(VALU_DEP_2)
	v_add_f32_e32 v10, 0xa4140365, v10
	v_cndmask_b32_e64 v16, v17, v16, s0
	v_cmp_lt_f32_e64 s0, 0, v20
	s_delay_alu instid0(VALU_DEP_3) | instskip(NEXT) | instid1(VALU_DEP_1)
	v_fma_f32 v12, v8, v10, -v12
	v_add_f32_e32 v12, 0x25aac8b0, v12
	s_delay_alu instid0(VALU_DEP_1) | instskip(NEXT) | instid1(VALU_DEP_1)
	v_fma_f32 v10, v8, v12, -v10
	v_add_f32_e32 v10, 0x25beb473, v10
	s_delay_alu instid0(VALU_DEP_1) | instskip(NEXT) | instid1(VALU_DEP_1)
	;; [unrolled: 3-line block ×19, first 2 shown]
	v_fma_f32 v10, v8, v12, -v10
	v_add_f32_e32 v10, 0xbc1fed03, v10
	s_delay_alu instid0(VALU_DEP_1) | instskip(SKIP_3) | instid1(VALU_DEP_4)
	v_fma_f32 v8, v8, v10, -v12
	v_ldexp_f32 v10, v14, v15
	v_cndmask_b32_e64 v14, v16, v18, s0
	v_cmp_ngt_f32_e64 s0, 0xc2ce8ed0, v9
	v_add_f32_e32 v8, 0x3f4750c6, v8
	s_delay_alu instid0(VALU_DEP_3) | instskip(NEXT) | instid1(VALU_DEP_3)
	v_mul_f32_e32 v15, 0x37800000, v14
	v_cndmask_b32_e64 v10, 0, v10, s0
	v_cmp_nlt_f32_e64 s0, 0x42b17218, v9
	s_delay_alu instid0(VALU_DEP_4) | instskip(NEXT) | instid1(VALU_DEP_2)
	v_sub_f32_e32 v12, v8, v12
	v_cndmask_b32_e64 v8, 0x7f800000, v10, s0
	v_cndmask_b32_e32 v10, v14, v15, vcc_lo
	s_delay_alu instid0(VALU_DEP_3) | instskip(SKIP_1) | instid1(VALU_DEP_2)
	v_mul_f32_e32 v12, 0.5, v12
	v_cmp_class_f32_e64 vcc_lo, v13, 0x260
	v_mul_f32_e32 v12, v8, v12
	s_delay_alu instid0(VALU_DEP_4) | instskip(NEXT) | instid1(VALU_DEP_1)
	v_cndmask_b32_e32 v10, v10, v13, vcc_lo
	v_div_scale_f32 v13, null, v10, v10, v12
	s_delay_alu instid0(VALU_DEP_1) | instskip(SKIP_2) | instid1(VALU_DEP_1)
	v_rcp_f32_e32 v14, v13
	s_waitcnt_depctr 0xfff
	v_fma_f32 v15, -v13, v14, 1.0
	v_fmac_f32_e32 v14, v15, v14
	v_div_scale_f32 v15, vcc_lo, v12, v10, v12
	s_delay_alu instid0(VALU_DEP_1) | instskip(NEXT) | instid1(VALU_DEP_1)
	v_mul_f32_e32 v16, v15, v14
	v_fma_f32 v17, -v13, v16, v15
	s_delay_alu instid0(VALU_DEP_1) | instskip(NEXT) | instid1(VALU_DEP_1)
	v_fmac_f32_e32 v16, v17, v14
	v_fma_f32 v13, -v13, v16, v15
	s_delay_alu instid0(VALU_DEP_1) | instskip(NEXT) | instid1(VALU_DEP_1)
	v_div_fmas_f32 v13, v13, v14, v16
	v_div_fixup_f32 v10, v13, v10, v12
.LBB21_1605:
	s_or_b32 exec_lo, exec_lo, s1
	v_fma_f32 v12, v9, v9, -2.0
	s_mov_b32 s0, 0xa3019142
	v_cmp_gt_f32_e32 vcc_lo, 0x800000, v7
	s_delay_alu instid0(VALU_DEP_2) | instskip(NEXT) | instid1(VALU_DEP_1)
	v_fmaak_f32 v13, s0, v12, 0xa72eea8c
	v_fmaak_f32 v14, v12, v13, 0x23019142
	s_delay_alu instid0(VALU_DEP_1) | instskip(NEXT) | instid1(VALU_DEP_1)
	v_add_f32_e32 v14, 0xab3ba817, v14
	v_fma_f32 v13, v12, v14, -v13
	s_delay_alu instid0(VALU_DEP_1) | instskip(NEXT) | instid1(VALU_DEP_1)
	v_add_f32_e32 v13, 0xaf1b31de, v13
	v_fma_f32 v14, v12, v13, -v14
	;; [unrolled: 3-line block ×8, first 2 shown]
	s_delay_alu instid0(VALU_DEP_1) | instskip(NEXT) | instid1(VALU_DEP_1)
	v_add_f32_e32 v12, 0x3fc33d0a, v12
	v_sub_f32_e32 v12, v12, v14
	v_cndmask_b32_e64 v14, 1.0, 0x4f800000, vcc_lo
	s_delay_alu instid0(VALU_DEP_1) | instskip(NEXT) | instid1(VALU_DEP_1)
	v_dual_mul_f32 v12, 0.5, v12 :: v_dual_mul_f32 v7, v7, v14
	v_div_scale_f32 v13, null, v9, v9, v12
	s_delay_alu instid0(VALU_DEP_2) | instskip(SKIP_1) | instid1(VALU_DEP_2)
	v_log_f32_e32 v7, v7
	v_div_scale_f32 v16, s0, v12, v9, v12
	v_rcp_f32_e32 v15, v13
	s_waitcnt_depctr 0xfff
	v_cmp_gt_f32_e64 s1, 0x7f800000, |v7|
	v_fma_f32 v14, -v13, v15, 1.0
	s_delay_alu instid0(VALU_DEP_1) | instskip(SKIP_1) | instid1(VALU_DEP_1)
	v_fmac_f32_e32 v15, v14, v15
	v_mul_f32_e32 v14, 0x3f317217, v7
	v_fma_f32 v18, 0x3f317217, v7, -v14
	s_delay_alu instid0(VALU_DEP_1) | instskip(NEXT) | instid1(VALU_DEP_1)
	v_dual_fmamk_f32 v18, v7, 0x3377d1cf, v18 :: v_dual_mul_f32 v17, v16, v15
	v_add_f32_e32 v14, v14, v18
	s_delay_alu instid0(VALU_DEP_2) | instskip(NEXT) | instid1(VALU_DEP_2)
	v_fma_f32 v19, -v13, v17, v16
	v_cndmask_b32_e64 v7, v7, v14, s1
	s_delay_alu instid0(VALU_DEP_2) | instskip(SKIP_2) | instid1(VALU_DEP_2)
	v_fmac_f32_e32 v17, v19, v15
	v_cndmask_b32_e64 v14, 0, 0x41b17218, vcc_lo
	s_mov_b32 vcc_lo, s0
	v_fma_f32 v13, -v13, v17, v16
	s_delay_alu instid0(VALU_DEP_2) | instskip(NEXT) | instid1(VALU_DEP_2)
	v_sub_f32_e32 v7, v7, v14
	v_div_fmas_f32 v13, v13, v15, v17
	s_delay_alu instid0(VALU_DEP_1) | instskip(NEXT) | instid1(VALU_DEP_1)
	v_div_fixup_f32 v9, v13, v9, v12
	v_fmac_f32_e32 v9, v7, v10
	s_delay_alu instid0(VALU_DEP_1)
	v_mul_f32_e32 v8, v8, v9
                                        ; implicit-def: $vgpr9
.LBB21_1606:
	s_and_not1_saveexec_b32 s1, s12
	s_cbranch_execz .LBB21_1608
; %bb.1607:
	v_div_scale_f32 v7, null, v9, v9, 0x41000000
	v_div_scale_f32 v12, vcc_lo, 0x41000000, v9, 0x41000000
	s_mov_b32 s0, 0xa2d462ea
	s_delay_alu instid0(VALU_DEP_2) | instskip(SKIP_2) | instid1(VALU_DEP_1)
	v_rcp_f32_e32 v8, v7
	s_waitcnt_depctr 0xfff
	v_fma_f32 v10, -v7, v8, 1.0
	v_fmac_f32_e32 v8, v10, v8
	s_delay_alu instid0(VALU_DEP_1) | instskip(NEXT) | instid1(VALU_DEP_1)
	v_mul_f32_e32 v10, v12, v8
	v_fma_f32 v13, -v7, v10, v12
	s_delay_alu instid0(VALU_DEP_1) | instskip(NEXT) | instid1(VALU_DEP_1)
	v_fmac_f32_e32 v10, v13, v8
	v_fma_f32 v7, -v7, v10, v12
	v_mul_f32_e32 v12, 0x4f800000, v9
	s_delay_alu instid0(VALU_DEP_2) | instskip(SKIP_1) | instid1(VALU_DEP_2)
	v_div_fmas_f32 v7, v7, v8, v10
	v_cmp_gt_f32_e32 vcc_lo, 0xf800000, v9
	v_div_fixup_f32 v7, v7, v9, 0x41000000
	s_delay_alu instid0(VALU_DEP_4) | instskip(NEXT) | instid1(VALU_DEP_2)
	v_cndmask_b32_e32 v9, v9, v12, vcc_lo
	v_add_f32_e32 v7, -2.0, v7
	s_delay_alu instid0(VALU_DEP_2) | instskip(SKIP_2) | instid1(VALU_DEP_1)
	v_sqrt_f32_e32 v12, v9
	s_waitcnt_depctr 0xfff
	v_dual_fmaak_f32 v8, s0, v7, 0x23a578d4 :: v_dual_add_nc_u32 v13, -1, v12
	v_fmaak_f32 v10, v7, v8, 0x22d462ea
	v_add_nc_u32_e32 v14, 1, v12
	s_delay_alu instid0(VALU_DEP_2) | instskip(NEXT) | instid1(VALU_DEP_1)
	v_add_f32_e32 v10, 0xa48330a9, v10
	v_fma_f32 v8, v7, v10, -v8
	s_delay_alu instid0(VALU_DEP_1) | instskip(NEXT) | instid1(VALU_DEP_1)
	v_add_f32_e32 v8, 0x2553eaf2, v8
	v_fma_f32 v10, v7, v8, -v10
	s_delay_alu instid0(VALU_DEP_1) | instskip(NEXT) | instid1(VALU_DEP_1)
	;; [unrolled: 3-line block ×19, first 2 shown]
	v_add_f32_e32 v8, 0x394cb2c4, v8
	v_fma_f32 v10, v7, v8, -v10
	s_delay_alu instid0(VALU_DEP_1) | instskip(SKIP_2) | instid1(VALU_DEP_3)
	v_add_f32_e32 v10, 0xbb3b4a36, v10
	v_fma_f32 v15, -v13, v12, v9
	v_fma_f32 v16, -v14, v12, v9
	v_fma_f32 v8, v7, v10, -v8
	s_delay_alu instid0(VALU_DEP_3) | instskip(NEXT) | instid1(VALU_DEP_2)
	v_cmp_ge_f32_e64 s0, 0, v15
	v_add_f32_e32 v8, 0x3dd4d5f8, v8
	s_delay_alu instid0(VALU_DEP_2) | instskip(SKIP_1) | instid1(VALU_DEP_3)
	v_cndmask_b32_e64 v12, v12, v13, s0
	v_cmp_lt_f32_e64 s0, 0, v16
	v_fma_f32 v7, v7, v8, -v10
	s_delay_alu instid0(VALU_DEP_2) | instskip(NEXT) | instid1(VALU_DEP_2)
	v_cndmask_b32_e64 v12, v12, v14, s0
	v_add_f32_e32 v7, 0x402e1ebd, v7
	s_delay_alu instid0(VALU_DEP_1) | instskip(NEXT) | instid1(VALU_DEP_1)
	v_dual_mul_f32 v8, 0x37800000, v12 :: v_dual_sub_f32 v7, v7, v10
	v_cndmask_b32_e32 v8, v12, v8, vcc_lo
	v_cmp_class_f32_e64 vcc_lo, v9, 0x260
	s_delay_alu instid0(VALU_DEP_2) | instskip(NEXT) | instid1(VALU_DEP_1)
	v_dual_mul_f32 v7, 0.5, v7 :: v_dual_cndmask_b32 v8, v8, v9
	v_div_scale_f32 v9, null, v8, v8, v7
	s_delay_alu instid0(VALU_DEP_1) | instskip(SKIP_2) | instid1(VALU_DEP_1)
	v_rcp_f32_e32 v10, v9
	s_waitcnt_depctr 0xfff
	v_fma_f32 v12, -v9, v10, 1.0
	v_fmac_f32_e32 v10, v12, v10
	v_div_scale_f32 v12, vcc_lo, v7, v8, v7
	s_delay_alu instid0(VALU_DEP_1) | instskip(NEXT) | instid1(VALU_DEP_1)
	v_mul_f32_e32 v13, v12, v10
	v_fma_f32 v14, -v9, v13, v12
	s_delay_alu instid0(VALU_DEP_1) | instskip(NEXT) | instid1(VALU_DEP_1)
	v_fmac_f32_e32 v13, v14, v10
	v_fma_f32 v9, -v9, v13, v12
	s_delay_alu instid0(VALU_DEP_1) | instskip(NEXT) | instid1(VALU_DEP_1)
	v_div_fmas_f32 v9, v9, v10, v13
	v_div_fixup_f32 v8, v9, v8, v7
.LBB21_1608:
	s_or_b32 exec_lo, exec_lo, s1
.LBB21_1609:
	s_delay_alu instid0(SALU_CYCLE_1)
	s_or_b32 exec_lo, exec_lo, s11
.LBB21_1610:
	s_delay_alu instid0(SALU_CYCLE_1) | instskip(SKIP_2) | instid1(VALU_DEP_1)
	s_or_b32 exec_lo, exec_lo, s10
	v_cmp_gt_i16_e32 vcc_lo, 11, v11
	v_add_co_u32 v9, s0, s6, v5
	v_add_co_ci_u32_e64 v10, null, s7, 0, s0
	s_mov_b32 s6, 0
	s_cbranch_vccnz .LBB21_1617
; %bb.1611:
	v_cmp_lt_i16_e32 vcc_lo, 25, v11
	s_mov_b32 s1, 0
	s_cbranch_vccz .LBB21_1618
; %bb.1612:
	v_cmp_lt_i16_e32 vcc_lo, 28, v11
	s_cbranch_vccz .LBB21_1619
; %bb.1613:
	v_cmp_lt_i16_e32 vcc_lo, 43, v11
	;; [unrolled: 3-line block ×3, first 2 shown]
	s_cbranch_vccz .LBB21_1623
; %bb.1615:
	v_cmp_eq_u16_e32 vcc_lo, 46, v11
	s_mov_b32 s7, 0
	s_cbranch_vccz .LBB21_1626
; %bb.1616:
	global_load_b32 v5, v[9:10], off
	s_mov_b32 s0, 0
	s_mov_b32 s6, -1
	s_waitcnt vmcnt(0)
	v_lshlrev_b32_e32 v5, 16, v5
	s_branch .LBB21_1628
.LBB21_1617:
	s_mov_b32 s0, -1
                                        ; implicit-def: $vgpr5
	s_branch .LBB21_1694
.LBB21_1618:
	s_mov_b32 s7, -1
	s_mov_b32 s0, 0
                                        ; implicit-def: $vgpr5
	s_branch .LBB21_1657
.LBB21_1619:
	s_mov_b32 s7, -1
	s_mov_b32 s0, 0
                                        ; implicit-def: $vgpr5
	s_branch .LBB21_1638
.LBB21_1620:
	s_mov_b32 s7, -1
	s_mov_b32 s0, 0
                                        ; implicit-def: $vgpr5
	s_branch .LBB21_1633
.LBB21_1621:
	s_cbranch_execnz .LBB21_1624
; %bb.1622:
	s_or_b32 s2, s2, exec_lo
                                        ; implicit-def: $vgpr9
	s_cbranch_execz .LBB21_1595
	s_branch .LBB21_1596
.LBB21_1623:
	s_mov_b32 s7, -1
	s_mov_b32 s0, 0
	s_branch .LBB21_1627
.LBB21_1624:
	s_trap 2
	s_sendmsg_rtn_b32 s0, sendmsg(MSG_RTN_GET_DOORBELL)
	s_mov_b32 ttmp2, m0
	s_waitcnt lgkmcnt(0)
	s_and_b32 s0, s0, 0x3ff
	s_delay_alu instid0(SALU_CYCLE_1) | instskip(NEXT) | instid1(SALU_CYCLE_1)
	s_bitset1_b32 s0, 10
	s_mov_b32 m0, s0
	s_sendmsg sendmsg(MSG_INTERRUPT)
	s_mov_b32 m0, ttmp2
.LBB21_1625:                            ; =>This Inner Loop Header: Depth=1
	s_sethalt 5
	s_branch .LBB21_1625
.LBB21_1626:
	s_mov_b32 s0, -1
.LBB21_1627:
                                        ; implicit-def: $vgpr5
.LBB21_1628:
	s_and_b32 vcc_lo, exec_lo, s7
	s_cbranch_vccz .LBB21_1632
; %bb.1629:
	v_cmp_eq_u16_e32 vcc_lo, 44, v11
	s_cbranch_vccz .LBB21_1631
; %bb.1630:
	global_load_u8 v5, v[9:10], off
	s_mov_b32 s0, 0
	s_mov_b32 s6, -1
	s_waitcnt vmcnt(0)
	v_lshlrev_b32_e32 v7, 23, v5
	v_cmp_ne_u32_e32 vcc_lo, 0xff, v5
	s_delay_alu instid0(VALU_DEP_2) | instskip(SKIP_1) | instid1(VALU_DEP_2)
	v_cndmask_b32_e32 v7, 0x7f800001, v7, vcc_lo
	v_cmp_ne_u32_e32 vcc_lo, 0, v5
	v_cndmask_b32_e32 v5, 0x400000, v7, vcc_lo
	s_branch .LBB21_1632
.LBB21_1631:
	s_mov_b32 s0, -1
                                        ; implicit-def: $vgpr5
.LBB21_1632:
	s_mov_b32 s7, 0
.LBB21_1633:
	s_delay_alu instid0(SALU_CYCLE_1)
	s_and_b32 vcc_lo, exec_lo, s7
	s_cbranch_vccz .LBB21_1637
; %bb.1634:
	v_cmp_eq_u16_e32 vcc_lo, 29, v11
	s_cbranch_vccz .LBB21_1636
; %bb.1635:
	global_load_b64 v[12:13], v[9:10], off
	s_mov_b32 s0, 0
	s_mov_b32 s6, -1
	s_mov_b32 s7, 0
	s_waitcnt vmcnt(0)
	v_clz_i32_u32_e32 v5, v13
	s_delay_alu instid0(VALU_DEP_1) | instskip(NEXT) | instid1(VALU_DEP_1)
	v_min_u32_e32 v5, 32, v5
	v_lshlrev_b64 v[12:13], v5, v[12:13]
	v_sub_nc_u32_e32 v5, 32, v5
	s_delay_alu instid0(VALU_DEP_2) | instskip(NEXT) | instid1(VALU_DEP_1)
	v_min_u32_e32 v7, 1, v12
	v_or_b32_e32 v7, v13, v7
	s_delay_alu instid0(VALU_DEP_1) | instskip(NEXT) | instid1(VALU_DEP_1)
	v_cvt_f32_u32_e32 v7, v7
	v_ldexp_f32 v5, v7, v5
	s_branch .LBB21_1638
.LBB21_1636:
	s_mov_b32 s0, -1
                                        ; implicit-def: $vgpr5
.LBB21_1637:
	s_mov_b32 s7, 0
.LBB21_1638:
	s_delay_alu instid0(SALU_CYCLE_1)
	s_and_b32 vcc_lo, exec_lo, s7
	s_cbranch_vccz .LBB21_1656
; %bb.1639:
	v_cmp_gt_i16_e32 vcc_lo, 27, v11
	s_cbranch_vccnz .LBB21_1642
; %bb.1640:
	v_cmp_lt_i16_e32 vcc_lo, 27, v11
	s_cbranch_vccz .LBB21_1643
; %bb.1641:
	global_load_b32 v5, v[9:10], off
	s_mov_b32 s6, 0
	s_waitcnt vmcnt(0)
	v_cvt_f32_u32_e32 v5, v5
	s_branch .LBB21_1644
.LBB21_1642:
	s_mov_b32 s6, -1
                                        ; implicit-def: $vgpr5
	s_branch .LBB21_1647
.LBB21_1643:
	s_mov_b32 s6, -1
                                        ; implicit-def: $vgpr5
.LBB21_1644:
	s_delay_alu instid0(SALU_CYCLE_1)
	s_and_not1_b32 vcc_lo, exec_lo, s6
	s_cbranch_vccnz .LBB21_1646
; %bb.1645:
	global_load_u16 v5, v[9:10], off
	s_waitcnt vmcnt(0)
	v_cvt_f32_u32_e32 v5, v5
.LBB21_1646:
	s_mov_b32 s6, 0
.LBB21_1647:
	s_delay_alu instid0(SALU_CYCLE_1)
	s_and_not1_b32 vcc_lo, exec_lo, s6
	s_cbranch_vccnz .LBB21_1655
; %bb.1648:
	global_load_u8 v7, v[9:10], off
	s_mov_b32 s6, 0
	s_mov_b32 s10, exec_lo
                                        ; implicit-def: $sgpr7
	s_waitcnt vmcnt(0)
	v_cmpx_lt_i16_e32 0x7f, v7
	s_xor_b32 s10, exec_lo, s10
	s_cbranch_execz .LBB21_1669
; %bb.1649:
	s_mov_b32 s6, -1
	s_mov_b32 s11, exec_lo
                                        ; implicit-def: $sgpr7
	v_cmpx_eq_u16_e32 0x80, v7
; %bb.1650:
	s_mov_b32 s7, 0x7f800001
	s_xor_b32 s6, exec_lo, -1
; %bb.1651:
	s_or_b32 exec_lo, exec_lo, s11
	s_delay_alu instid0(SALU_CYCLE_1)
	s_and_b32 s6, s6, exec_lo
	s_or_saveexec_b32 s10, s10
	v_mov_b32_e32 v5, s7
	s_xor_b32 exec_lo, exec_lo, s10
	s_cbranch_execnz .LBB21_1670
.LBB21_1652:
	s_or_b32 exec_lo, exec_lo, s10
	s_and_saveexec_b32 s7, s6
	s_cbranch_execz .LBB21_1654
.LBB21_1653:
	v_and_b32_e32 v5, 0xffff, v7
	v_lshlrev_b32_e32 v7, 24, v7
	s_delay_alu instid0(VALU_DEP_2) | instskip(NEXT) | instid1(VALU_DEP_2)
	v_and_b32_e32 v12, 7, v5
	v_and_b32_e32 v7, 0x80000000, v7
	s_delay_alu instid0(VALU_DEP_2) | instskip(NEXT) | instid1(VALU_DEP_1)
	v_clz_i32_u32_e32 v13, v12
	v_min_u32_e32 v13, 32, v13
	s_delay_alu instid0(VALU_DEP_1) | instskip(SKIP_1) | instid1(VALU_DEP_2)
	v_subrev_nc_u32_e32 v14, 28, v13
	v_sub_nc_u32_e32 v13, 29, v13
	v_lshlrev_b32_e32 v14, v14, v5
	v_bfe_u32 v5, v5, 3, 4
	s_delay_alu instid0(VALU_DEP_1) | instskip(NEXT) | instid1(VALU_DEP_3)
	v_cmp_eq_u32_e32 vcc_lo, 0, v5
	v_dual_cndmask_b32 v5, v5, v13 :: v_dual_and_b32 v14, 7, v14
	s_delay_alu instid0(VALU_DEP_1) | instskip(NEXT) | instid1(VALU_DEP_2)
	v_cndmask_b32_e32 v12, v12, v14, vcc_lo
	v_lshl_add_u32 v5, v5, 23, 0x3b800000
	s_delay_alu instid0(VALU_DEP_2) | instskip(NEXT) | instid1(VALU_DEP_1)
	v_lshlrev_b32_e32 v12, 20, v12
	v_or3_b32 v5, v7, v5, v12
.LBB21_1654:
	s_or_b32 exec_lo, exec_lo, s7
.LBB21_1655:
	s_mov_b32 s6, -1
.LBB21_1656:
	s_mov_b32 s7, 0
.LBB21_1657:
	s_delay_alu instid0(SALU_CYCLE_1)
	s_and_b32 vcc_lo, exec_lo, s7
	s_cbranch_vccz .LBB21_1690
; %bb.1658:
	v_cmp_lt_i16_e32 vcc_lo, 22, v11
	s_cbranch_vccz .LBB21_1668
; %bb.1659:
	v_cmp_gt_i16_e32 vcc_lo, 24, v11
	s_cbranch_vccnz .LBB21_1671
; %bb.1660:
	v_cmp_lt_i16_e32 vcc_lo, 24, v11
	s_cbranch_vccz .LBB21_1672
; %bb.1661:
	global_load_u8 v7, v[9:10], off
	s_mov_b32 s7, exec_lo
                                        ; implicit-def: $sgpr6
	s_waitcnt vmcnt(0)
	v_cmpx_lt_i16_e32 0x7f, v7
	s_xor_b32 s7, exec_lo, s7
	s_cbranch_execz .LBB21_1684
; %bb.1662:
	s_mov_b32 s1, -1
	s_mov_b32 s10, exec_lo
                                        ; implicit-def: $sgpr6
	v_cmpx_eq_u16_e32 0x80, v7
; %bb.1663:
	s_mov_b32 s6, 0x7f800001
	s_xor_b32 s1, exec_lo, -1
; %bb.1664:
	s_or_b32 exec_lo, exec_lo, s10
	s_delay_alu instid0(SALU_CYCLE_1)
	s_and_b32 s1, s1, exec_lo
	s_or_saveexec_b32 s7, s7
	v_mov_b32_e32 v5, s6
	s_xor_b32 exec_lo, exec_lo, s7
	s_cbranch_execnz .LBB21_1685
.LBB21_1665:
	s_or_b32 exec_lo, exec_lo, s7
	s_and_saveexec_b32 s6, s1
	s_cbranch_execz .LBB21_1667
.LBB21_1666:
	v_and_b32_e32 v5, 0xffff, v7
	v_lshlrev_b32_e32 v7, 24, v7
	s_delay_alu instid0(VALU_DEP_2) | instskip(NEXT) | instid1(VALU_DEP_2)
	v_and_b32_e32 v12, 3, v5
	v_and_b32_e32 v7, 0x80000000, v7
	s_delay_alu instid0(VALU_DEP_2) | instskip(NEXT) | instid1(VALU_DEP_1)
	v_clz_i32_u32_e32 v13, v12
	v_min_u32_e32 v13, 32, v13
	s_delay_alu instid0(VALU_DEP_1) | instskip(SKIP_1) | instid1(VALU_DEP_2)
	v_subrev_nc_u32_e32 v14, 29, v13
	v_sub_nc_u32_e32 v13, 30, v13
	v_lshlrev_b32_e32 v14, v14, v5
	v_bfe_u32 v5, v5, 2, 5
	s_delay_alu instid0(VALU_DEP_1) | instskip(NEXT) | instid1(VALU_DEP_3)
	v_cmp_eq_u32_e32 vcc_lo, 0, v5
	v_dual_cndmask_b32 v5, v5, v13 :: v_dual_and_b32 v14, 3, v14
	s_delay_alu instid0(VALU_DEP_1) | instskip(NEXT) | instid1(VALU_DEP_2)
	v_cndmask_b32_e32 v12, v12, v14, vcc_lo
	v_lshl_add_u32 v5, v5, 23, 0x37800000
	s_delay_alu instid0(VALU_DEP_2) | instskip(NEXT) | instid1(VALU_DEP_1)
	v_lshlrev_b32_e32 v12, 21, v12
	v_or3_b32 v5, v7, v5, v12
.LBB21_1667:
	s_or_b32 exec_lo, exec_lo, s6
	s_mov_b32 s1, 0
	s_branch .LBB21_1673
.LBB21_1668:
	s_mov_b32 s1, -1
                                        ; implicit-def: $vgpr5
	s_branch .LBB21_1679
.LBB21_1669:
	s_or_saveexec_b32 s10, s10
	v_mov_b32_e32 v5, s7
	s_xor_b32 exec_lo, exec_lo, s10
	s_cbranch_execz .LBB21_1652
.LBB21_1670:
	v_cmp_ne_u16_e32 vcc_lo, 0, v7
	v_mov_b32_e32 v5, 0
	s_and_not1_b32 s6, s6, exec_lo
	s_and_b32 s7, vcc_lo, exec_lo
	s_delay_alu instid0(SALU_CYCLE_1)
	s_or_b32 s6, s6, s7
	s_or_b32 exec_lo, exec_lo, s10
	s_and_saveexec_b32 s7, s6
	s_cbranch_execnz .LBB21_1653
	s_branch .LBB21_1654
.LBB21_1671:
	s_mov_b32 s1, -1
                                        ; implicit-def: $vgpr5
	s_branch .LBB21_1676
.LBB21_1672:
	s_mov_b32 s1, -1
                                        ; implicit-def: $vgpr5
.LBB21_1673:
	s_delay_alu instid0(SALU_CYCLE_1)
	s_and_b32 vcc_lo, exec_lo, s1
	s_cbranch_vccz .LBB21_1675
; %bb.1674:
	global_load_u8 v5, v[9:10], off
	s_waitcnt vmcnt(0)
	v_lshlrev_b32_e32 v5, 24, v5
	s_delay_alu instid0(VALU_DEP_1) | instskip(NEXT) | instid1(VALU_DEP_1)
	v_and_b32_e32 v7, 0x7f000000, v5
	v_clz_i32_u32_e32 v12, v7
	v_cmp_ne_u32_e32 vcc_lo, 0, v7
	v_add_nc_u32_e32 v14, 0x1000000, v7
	s_delay_alu instid0(VALU_DEP_3) | instskip(NEXT) | instid1(VALU_DEP_1)
	v_min_u32_e32 v12, 32, v12
	v_sub_nc_u32_e64 v12, v12, 4 clamp
	s_delay_alu instid0(VALU_DEP_1) | instskip(SKIP_1) | instid1(VALU_DEP_2)
	v_lshlrev_b32_e32 v13, v12, v7
	v_lshlrev_b32_e32 v12, 23, v12
	v_lshrrev_b32_e32 v13, 4, v13
	s_delay_alu instid0(VALU_DEP_1) | instskip(SKIP_1) | instid1(VALU_DEP_2)
	v_sub_nc_u32_e32 v12, v13, v12
	v_ashrrev_i32_e32 v13, 8, v14
	v_add_nc_u32_e32 v12, 0x3c000000, v12
	s_delay_alu instid0(VALU_DEP_1) | instskip(NEXT) | instid1(VALU_DEP_1)
	v_and_or_b32 v12, 0x7f800000, v13, v12
	v_cndmask_b32_e32 v7, 0, v12, vcc_lo
	s_delay_alu instid0(VALU_DEP_1)
	v_and_or_b32 v5, 0x80000000, v5, v7
.LBB21_1675:
	s_mov_b32 s1, 0
.LBB21_1676:
	s_delay_alu instid0(SALU_CYCLE_1)
	s_and_not1_b32 vcc_lo, exec_lo, s1
	s_cbranch_vccnz .LBB21_1678
; %bb.1677:
	global_load_u8 v5, v[9:10], off
	s_waitcnt vmcnt(0)
	v_lshlrev_b32_e32 v7, 25, v5
	v_lshlrev_b16 v5, 8, v5
	s_delay_alu instid0(VALU_DEP_2) | instskip(NEXT) | instid1(VALU_DEP_2)
	v_lshrrev_b32_e32 v12, 4, v7
	v_and_or_b32 v13, 0x7f00, v5, 0.5
	v_bfe_i32 v5, v5, 0, 16
	s_delay_alu instid0(VALU_DEP_3) | instskip(NEXT) | instid1(VALU_DEP_1)
	v_or_b32_e32 v12, 0x70000000, v12
	v_dual_add_f32 v13, -0.5, v13 :: v_dual_mul_f32 v12, 0x7800000, v12
	v_cmp_gt_u32_e32 vcc_lo, 0x8000000, v7
	s_delay_alu instid0(VALU_DEP_2) | instskip(NEXT) | instid1(VALU_DEP_1)
	v_cndmask_b32_e32 v7, v12, v13, vcc_lo
	v_and_or_b32 v5, 0x80000000, v5, v7
.LBB21_1678:
	s_mov_b32 s1, 0
	s_mov_b32 s6, -1
.LBB21_1679:
	s_and_not1_b32 vcc_lo, exec_lo, s1
	s_mov_b32 s1, 0
	s_cbranch_vccnz .LBB21_1690
; %bb.1680:
	v_cmp_lt_i16_e32 vcc_lo, 14, v11
	s_cbranch_vccz .LBB21_1683
; %bb.1681:
	v_cmp_eq_u16_e32 vcc_lo, 15, v11
	s_cbranch_vccz .LBB21_1686
; %bb.1682:
	global_load_u16 v5, v[9:10], off
	s_mov_b32 s0, 0
	s_mov_b32 s6, -1
	s_waitcnt vmcnt(0)
	v_lshlrev_b32_e32 v5, 16, v5
	s_branch .LBB21_1688
.LBB21_1683:
	s_mov_b32 s1, -1
	s_branch .LBB21_1687
.LBB21_1684:
	s_or_saveexec_b32 s7, s7
	v_mov_b32_e32 v5, s6
	s_xor_b32 exec_lo, exec_lo, s7
	s_cbranch_execz .LBB21_1665
.LBB21_1685:
	v_cmp_ne_u16_e32 vcc_lo, 0, v7
	v_mov_b32_e32 v5, 0
	s_and_not1_b32 s1, s1, exec_lo
	s_and_b32 s6, vcc_lo, exec_lo
	s_delay_alu instid0(SALU_CYCLE_1)
	s_or_b32 s1, s1, s6
	s_or_b32 exec_lo, exec_lo, s7
	s_and_saveexec_b32 s6, s1
	s_cbranch_execnz .LBB21_1666
	s_branch .LBB21_1667
.LBB21_1686:
	s_mov_b32 s0, -1
.LBB21_1687:
                                        ; implicit-def: $vgpr5
.LBB21_1688:
	s_and_b32 vcc_lo, exec_lo, s1
	s_mov_b32 s1, 0
	s_cbranch_vccz .LBB21_1690
; %bb.1689:
	v_cmp_ne_u16_e64 s0, 11, v11
	s_mov_b32 s1, -1
                                        ; implicit-def: $vgpr5
.LBB21_1690:
	s_delay_alu instid0(VALU_DEP_1)
	s_and_b32 vcc_lo, exec_lo, s0
	s_cbranch_vccnz .LBB21_2232
; %bb.1691:
	s_and_not1_b32 vcc_lo, exec_lo, s1
	s_cbranch_vccnz .LBB21_1693
.LBB21_1692:
	global_load_u8 v5, v[9:10], off
	s_mov_b32 s6, -1
	s_waitcnt vmcnt(0)
	v_cmp_ne_u16_e32 vcc_lo, 0, v5
	v_cndmask_b32_e64 v5, 0, 1.0, vcc_lo
.LBB21_1693:
	s_mov_b32 s0, 0
.LBB21_1694:
	s_delay_alu instid0(SALU_CYCLE_1)
	s_and_b32 vcc_lo, exec_lo, s0
	s_cbranch_vccz .LBB21_1743
; %bb.1695:
	v_cmp_gt_i16_e32 vcc_lo, 5, v11
	s_cbranch_vccnz .LBB21_1700
; %bb.1696:
	v_cmp_gt_i16_e32 vcc_lo, 8, v11
	s_cbranch_vccnz .LBB21_1701
	;; [unrolled: 3-line block ×3, first 2 shown]
; %bb.1698:
	v_cmp_lt_i16_e32 vcc_lo, 9, v11
	s_cbranch_vccz .LBB21_1703
; %bb.1699:
	global_load_b64 v[12:13], v[9:10], off
	s_mov_b32 s0, 0
	s_waitcnt vmcnt(0)
	v_cvt_f32_f64_e32 v5, v[12:13]
	s_branch .LBB21_1704
.LBB21_1700:
	s_mov_b32 s0, -1
                                        ; implicit-def: $vgpr5
	s_branch .LBB21_1722
.LBB21_1701:
	s_mov_b32 s0, -1
                                        ; implicit-def: $vgpr5
	s_branch .LBB21_1710
.LBB21_1702:
	s_mov_b32 s0, -1
                                        ; implicit-def: $vgpr5
	s_branch .LBB21_1707
.LBB21_1703:
	s_mov_b32 s0, -1
                                        ; implicit-def: $vgpr5
.LBB21_1704:
	s_delay_alu instid0(SALU_CYCLE_1)
	s_and_not1_b32 vcc_lo, exec_lo, s0
	s_cbranch_vccnz .LBB21_1706
; %bb.1705:
	global_load_b32 v5, v[9:10], off
.LBB21_1706:
	s_mov_b32 s0, 0
.LBB21_1707:
	s_delay_alu instid0(SALU_CYCLE_1)
	s_and_not1_b32 vcc_lo, exec_lo, s0
	s_cbranch_vccnz .LBB21_1709
; %bb.1708:
	global_load_b32 v5, v[9:10], off
	s_waitcnt vmcnt(0)
	v_cvt_f32_f16_e32 v5, v5
.LBB21_1709:
	s_mov_b32 s0, 0
.LBB21_1710:
	s_delay_alu instid0(SALU_CYCLE_1)
	s_and_not1_b32 vcc_lo, exec_lo, s0
	s_cbranch_vccnz .LBB21_1721
; %bb.1711:
	v_cmp_gt_i16_e32 vcc_lo, 6, v11
	s_cbranch_vccnz .LBB21_1714
; %bb.1712:
	v_cmp_lt_i16_e32 vcc_lo, 6, v11
	s_cbranch_vccz .LBB21_1715
; %bb.1713:
	global_load_b64 v[12:13], v[9:10], off
	s_mov_b32 s0, 0
	s_waitcnt vmcnt(0)
	v_cvt_f32_f64_e32 v5, v[12:13]
	s_branch .LBB21_1716
.LBB21_1714:
	s_mov_b32 s0, -1
                                        ; implicit-def: $vgpr5
	s_branch .LBB21_1719
.LBB21_1715:
	s_mov_b32 s0, -1
                                        ; implicit-def: $vgpr5
.LBB21_1716:
	s_delay_alu instid0(SALU_CYCLE_1)
	s_and_not1_b32 vcc_lo, exec_lo, s0
	s_cbranch_vccnz .LBB21_1718
; %bb.1717:
	global_load_b32 v5, v[9:10], off
.LBB21_1718:
	s_mov_b32 s0, 0
.LBB21_1719:
	s_delay_alu instid0(SALU_CYCLE_1)
	s_and_not1_b32 vcc_lo, exec_lo, s0
	s_cbranch_vccnz .LBB21_1721
; %bb.1720:
	global_load_u16 v5, v[9:10], off
	s_waitcnt vmcnt(0)
	v_cvt_f32_f16_e32 v5, v5
.LBB21_1721:
	s_mov_b32 s0, 0
.LBB21_1722:
	s_delay_alu instid0(SALU_CYCLE_1)
	s_and_not1_b32 vcc_lo, exec_lo, s0
	s_cbranch_vccnz .LBB21_1742
; %bb.1723:
	v_cmp_gt_i16_e32 vcc_lo, 2, v11
	s_cbranch_vccnz .LBB21_1727
; %bb.1724:
	v_cmp_gt_i16_e32 vcc_lo, 3, v11
	s_cbranch_vccnz .LBB21_1728
; %bb.1725:
	v_cmp_lt_i16_e32 vcc_lo, 3, v11
	s_cbranch_vccz .LBB21_1729
; %bb.1726:
	global_load_b64 v[12:13], v[9:10], off
	s_mov_b32 s0, 0
	s_waitcnt vmcnt(0)
	v_xor_b32_e32 v5, v12, v13
	v_cls_i32_e32 v7, v13
	s_delay_alu instid0(VALU_DEP_2) | instskip(NEXT) | instid1(VALU_DEP_2)
	v_ashrrev_i32_e32 v5, 31, v5
	v_add_nc_u32_e32 v7, -1, v7
	s_delay_alu instid0(VALU_DEP_2) | instskip(NEXT) | instid1(VALU_DEP_1)
	v_add_nc_u32_e32 v5, 32, v5
	v_min_u32_e32 v5, v7, v5
	s_delay_alu instid0(VALU_DEP_1) | instskip(SKIP_1) | instid1(VALU_DEP_2)
	v_lshlrev_b64 v[12:13], v5, v[12:13]
	v_sub_nc_u32_e32 v5, 32, v5
	v_min_u32_e32 v7, 1, v12
	s_delay_alu instid0(VALU_DEP_1) | instskip(NEXT) | instid1(VALU_DEP_1)
	v_or_b32_e32 v7, v13, v7
	v_cvt_f32_i32_e32 v7, v7
	s_delay_alu instid0(VALU_DEP_1)
	v_ldexp_f32 v5, v7, v5
	s_branch .LBB21_1730
.LBB21_1727:
	s_mov_b32 s0, -1
                                        ; implicit-def: $vgpr5
	s_branch .LBB21_1736
.LBB21_1728:
	s_mov_b32 s0, -1
                                        ; implicit-def: $vgpr5
	s_branch .LBB21_1733
.LBB21_1729:
	s_mov_b32 s0, -1
                                        ; implicit-def: $vgpr5
.LBB21_1730:
	s_delay_alu instid0(SALU_CYCLE_1)
	s_and_not1_b32 vcc_lo, exec_lo, s0
	s_cbranch_vccnz .LBB21_1732
; %bb.1731:
	global_load_b32 v5, v[9:10], off
	s_waitcnt vmcnt(0)
	v_cvt_f32_i32_e32 v5, v5
.LBB21_1732:
	s_mov_b32 s0, 0
.LBB21_1733:
	s_delay_alu instid0(SALU_CYCLE_1)
	s_and_not1_b32 vcc_lo, exec_lo, s0
	s_cbranch_vccnz .LBB21_1735
; %bb.1734:
	global_load_i16 v5, v[9:10], off
	s_waitcnt vmcnt(0)
	v_cvt_f32_i32_e32 v5, v5
.LBB21_1735:
	s_mov_b32 s0, 0
.LBB21_1736:
	s_delay_alu instid0(SALU_CYCLE_1)
	s_and_not1_b32 vcc_lo, exec_lo, s0
	s_cbranch_vccnz .LBB21_1742
; %bb.1737:
	v_cmp_lt_i16_e32 vcc_lo, 0, v11
	s_mov_b32 s0, 0
	s_cbranch_vccz .LBB21_1739
; %bb.1738:
	global_load_i8 v5, v[9:10], off
	s_waitcnt vmcnt(0)
	v_cvt_f32_i32_e32 v5, v5
	s_branch .LBB21_1740
.LBB21_1739:
	s_mov_b32 s0, -1
                                        ; implicit-def: $vgpr5
.LBB21_1740:
	s_delay_alu instid0(SALU_CYCLE_1)
	s_and_not1_b32 vcc_lo, exec_lo, s0
	s_cbranch_vccnz .LBB21_1742
; %bb.1741:
	global_load_u8 v5, v[9:10], off
	s_waitcnt vmcnt(0)
	v_cvt_f32_ubyte0_e32 v5, v5
.LBB21_1742:
	s_mov_b32 s6, -1
.LBB21_1743:
	s_delay_alu instid0(SALU_CYCLE_1)
	s_and_not1_b32 vcc_lo, exec_lo, s6
	s_cbranch_vccnz .LBB21_2186
; %bb.1744:
	v_mov_b32_e32 v10, 0x7f800000
	s_mov_b32 s6, exec_lo
	s_waitcnt vmcnt(0)
	s_delay_alu instid0(VALU_DEP_2)
	v_cmpx_neq_f32_e32 0, v5
	s_cbranch_execz .LBB21_1756
; %bb.1745:
	v_mov_b32_e32 v10, 0x7fc00000
	s_mov_b32 s7, exec_lo
	v_cmpx_ngt_f32_e32 0, v5
	s_cbranch_execz .LBB21_1755
; %bb.1746:
                                        ; implicit-def: $vgpr10
	s_mov_b32 s0, exec_lo
	v_cmpx_ge_f32_e32 2.0, v5
	s_xor_b32 s10, exec_lo, s0
	s_cbranch_execz .LBB21_1752
; %bb.1747:
	v_mul_f32_e32 v7, 0.5, v5
	s_mov_b32 s0, exec_lo
                                        ; implicit-def: $vgpr10
                                        ; implicit-def: $vgpr9
	v_cmpx_ge_f32_e32 0x41000000, v5
	s_xor_b32 s0, exec_lo, s0
	s_cbranch_execz .LBB21_1749
; %bb.1748:
	v_add_f32_e32 v9, -2.0, v7
	s_mov_b32 s1, 0x224cf950
	v_mul_f32_e32 v12, 0x3fb8aa3b, v5
	v_cmp_ngt_f32_e32 vcc_lo, 0xc2ce8ed0, v5
	s_delay_alu instid0(VALU_DEP_3) | instskip(NEXT) | instid1(VALU_DEP_3)
	v_fmaak_f32 v10, s1, v9, 0xa3c2be86
	v_rndne_f32_e32 v13, v12
	v_fma_f32 v14, 0x3fb8aa3b, v5, -v12
	s_delay_alu instid0(VALU_DEP_2) | instskip(NEXT) | instid1(VALU_DEP_2)
	v_dual_fmaak_f32 v11, v9, v10, 0xa24cf950 :: v_dual_sub_f32 v12, v12, v13
	v_fmamk_f32 v14, v5, 0x32a5705f, v14
	s_delay_alu instid0(VALU_DEP_1) | instskip(NEXT) | instid1(VALU_DEP_1)
	v_dual_add_f32 v11, 0x25331f1f, v11 :: v_dual_add_f32 v12, v12, v14
	v_fma_f32 v10, v9, v11, -v10
	s_delay_alu instid0(VALU_DEP_1) | instskip(NEXT) | instid1(VALU_DEP_1)
	v_add_f32_e32 v10, 0xa69f5554, v10
	v_fma_f32 v11, v9, v10, -v11
	s_delay_alu instid0(VALU_DEP_1) | instskip(NEXT) | instid1(VALU_DEP_1)
	v_add_f32_e32 v11, 0x2808ebf8, v11
	;; [unrolled: 3-line block ×25, first 2 shown]
	v_fma_f32 v9, v9, v10, -v11
	v_exp_f32_e32 v10, v12
	v_cvt_i32_f32_e32 v12, v13
	s_delay_alu instid0(VALU_DEP_2) | instskip(NEXT) | instid1(VALU_DEP_1)
	v_add_f32_e32 v9, 0x3e81531c, v9
	v_sub_f32_e32 v9, v9, v11
	s_waitcnt_depctr 0xfff
	v_ldexp_f32 v10, v10, v12
	s_delay_alu instid0(VALU_DEP_1) | instskip(SKIP_1) | instid1(VALU_DEP_2)
	v_dual_mul_f32 v9, 0.5, v9 :: v_dual_cndmask_b32 v10, 0, v10
	v_cmp_nlt_f32_e32 vcc_lo, 0x42b17218, v5
	v_mul_f32_e32 v11, v5, v9
	s_delay_alu instid0(VALU_DEP_3) | instskip(NEXT) | instid1(VALU_DEP_1)
	v_cndmask_b32_e32 v9, 0x7f800000, v10, vcc_lo
	v_mul_f32_e32 v10, v9, v11
.LBB21_1749:
	s_and_not1_saveexec_b32 s1, s0
	s_cbranch_execz .LBB21_1751
; %bb.1750:
	v_div_scale_f32 v9, null, v5, v5, 0x42000000
	v_div_scale_f32 v12, vcc_lo, 0x42000000, v5, 0x42000000
	s_mov_b32 s0, 0x230aab6e
	s_delay_alu instid0(VALU_DEP_2) | instskip(SKIP_2) | instid1(VALU_DEP_1)
	v_rcp_f32_e32 v10, v9
	s_waitcnt_depctr 0xfff
	v_fma_f32 v11, -v9, v10, 1.0
	v_fmac_f32_e32 v10, v11, v10
	s_delay_alu instid0(VALU_DEP_1) | instskip(NEXT) | instid1(VALU_DEP_1)
	v_mul_f32_e32 v11, v12, v10
	v_fma_f32 v13, -v9, v11, v12
	s_delay_alu instid0(VALU_DEP_1) | instskip(NEXT) | instid1(VALU_DEP_1)
	v_fmac_f32_e32 v11, v13, v10
	v_fma_f32 v9, -v9, v11, v12
	v_mul_f32_e32 v12, 0x4f800000, v5
	s_delay_alu instid0(VALU_DEP_2) | instskip(SKIP_2) | instid1(VALU_DEP_3)
	v_div_fmas_f32 v9, v9, v10, v11
	v_cmp_gt_f32_e32 vcc_lo, 0xf800000, v5
	v_mul_f32_e32 v13, 0x3fb8aa3b, v5
	v_div_fixup_f32 v9, v9, v5, 0x42000000
	v_cndmask_b32_e32 v12, v5, v12, vcc_lo
	s_delay_alu instid0(VALU_DEP_3) | instskip(SKIP_1) | instid1(VALU_DEP_4)
	v_rndne_f32_e32 v14, v13
	v_fma_f32 v15, 0x3fb8aa3b, v5, -v13
	v_add_f32_e32 v9, -2.0, v9
	s_delay_alu instid0(VALU_DEP_4) | instskip(NEXT) | instid1(VALU_DEP_3)
	v_sqrt_f32_e32 v16, v12
	v_sub_f32_e32 v13, v13, v14
	s_delay_alu instid0(VALU_DEP_3) | instskip(SKIP_1) | instid1(VALU_DEP_2)
	v_fmamk_f32 v15, v5, 0x32a5705f, v15
	v_cvt_i32_f32_e32 v14, v14
	v_dual_fmaak_f32 v10, s0, v9, 0x22a2dc57 :: v_dual_add_f32 v13, v13, v15
	s_delay_alu instid0(VALU_DEP_1)
	v_fmaak_f32 v11, v9, v10, 0xa30aab6e
	s_waitcnt_depctr 0xfff
	v_add_nc_u32_e32 v15, -1, v16
	v_add_nc_u32_e32 v17, 1, v16
	v_exp_f32_e32 v13, v13
	v_add_f32_e32 v11, 0xa456751e, v11
	s_delay_alu instid0(VALU_DEP_3) | instskip(NEXT) | instid1(VALU_DEP_3)
	v_fma_f32 v18, -v15, v16, v12
	v_fma_f32 v19, -v17, v16, v12
	s_delay_alu instid0(VALU_DEP_3) | instskip(NEXT) | instid1(VALU_DEP_3)
	v_fma_f32 v10, v9, v11, -v10
	v_cmp_ge_f32_e64 s0, 0, v18
	s_delay_alu instid0(VALU_DEP_2) | instskip(NEXT) | instid1(VALU_DEP_2)
	v_add_f32_e32 v10, 0xa4140365, v10
	v_cndmask_b32_e64 v15, v16, v15, s0
	v_cmp_lt_f32_e64 s0, 0, v19
	s_delay_alu instid0(VALU_DEP_3) | instskip(NEXT) | instid1(VALU_DEP_1)
	v_fma_f32 v11, v9, v10, -v11
	v_add_f32_e32 v11, 0x25aac8b0, v11
	s_delay_alu instid0(VALU_DEP_1) | instskip(NEXT) | instid1(VALU_DEP_1)
	v_fma_f32 v10, v9, v11, -v10
	v_add_f32_e32 v10, 0x25beb473, v10
	s_delay_alu instid0(VALU_DEP_1) | instskip(NEXT) | instid1(VALU_DEP_1)
	;; [unrolled: 3-line block ×19, first 2 shown]
	v_fma_f32 v10, v9, v11, -v10
	v_add_f32_e32 v10, 0xbc1fed03, v10
	s_delay_alu instid0(VALU_DEP_1) | instskip(SKIP_3) | instid1(VALU_DEP_4)
	v_fma_f32 v9, v9, v10, -v11
	v_ldexp_f32 v10, v13, v14
	v_cndmask_b32_e64 v13, v15, v17, s0
	v_cmp_ngt_f32_e64 s0, 0xc2ce8ed0, v5
	v_add_f32_e32 v9, 0x3f4750c6, v9
	s_delay_alu instid0(VALU_DEP_3) | instskip(NEXT) | instid1(VALU_DEP_3)
	v_mul_f32_e32 v14, 0x37800000, v13
	v_cndmask_b32_e64 v10, 0, v10, s0
	v_cmp_nlt_f32_e64 s0, 0x42b17218, v5
	s_delay_alu instid0(VALU_DEP_4) | instskip(NEXT) | instid1(VALU_DEP_2)
	v_sub_f32_e32 v11, v9, v11
	v_cndmask_b32_e64 v9, 0x7f800000, v10, s0
	s_delay_alu instid0(VALU_DEP_2) | instskip(SKIP_1) | instid1(VALU_DEP_2)
	v_dual_cndmask_b32 v10, v13, v14 :: v_dual_mul_f32 v11, 0.5, v11
	v_cmp_class_f32_e64 vcc_lo, v12, 0x260
	v_dual_mul_f32 v11, v9, v11 :: v_dual_cndmask_b32 v10, v10, v12
	s_delay_alu instid0(VALU_DEP_1) | instskip(NEXT) | instid1(VALU_DEP_1)
	v_div_scale_f32 v12, null, v10, v10, v11
	v_rcp_f32_e32 v13, v12
	s_waitcnt_depctr 0xfff
	v_fma_f32 v14, -v12, v13, 1.0
	s_delay_alu instid0(VALU_DEP_1) | instskip(SKIP_1) | instid1(VALU_DEP_1)
	v_fmac_f32_e32 v13, v14, v13
	v_div_scale_f32 v14, vcc_lo, v11, v10, v11
	v_mul_f32_e32 v15, v14, v13
	s_delay_alu instid0(VALU_DEP_1) | instskip(NEXT) | instid1(VALU_DEP_1)
	v_fma_f32 v16, -v12, v15, v14
	v_fmac_f32_e32 v15, v16, v13
	s_delay_alu instid0(VALU_DEP_1) | instskip(NEXT) | instid1(VALU_DEP_1)
	v_fma_f32 v12, -v12, v15, v14
	v_div_fmas_f32 v12, v12, v13, v15
	s_delay_alu instid0(VALU_DEP_1)
	v_div_fixup_f32 v10, v12, v10, v11
.LBB21_1751:
	s_or_b32 exec_lo, exec_lo, s1
	v_fma_f32 v11, v5, v5, -2.0
	s_mov_b32 s0, 0xa3019142
	v_cmp_gt_f32_e32 vcc_lo, 0x800000, v7
	s_delay_alu instid0(VALU_DEP_2) | instskip(NEXT) | instid1(VALU_DEP_1)
	v_fmaak_f32 v12, s0, v11, 0xa72eea8c
	v_fmaak_f32 v13, v11, v12, 0x23019142
	s_delay_alu instid0(VALU_DEP_1) | instskip(NEXT) | instid1(VALU_DEP_1)
	v_add_f32_e32 v13, 0xab3ba817, v13
	v_fma_f32 v12, v11, v13, -v12
	s_delay_alu instid0(VALU_DEP_1) | instskip(NEXT) | instid1(VALU_DEP_1)
	v_add_f32_e32 v12, 0xaf1b31de, v12
	v_fma_f32 v13, v11, v12, -v13
	;; [unrolled: 3-line block ×8, first 2 shown]
	s_delay_alu instid0(VALU_DEP_1) | instskip(NEXT) | instid1(VALU_DEP_1)
	v_add_f32_e32 v11, 0x3fc33d0a, v11
	v_sub_f32_e32 v11, v11, v13
	v_cndmask_b32_e64 v13, 1.0, 0x4f800000, vcc_lo
	s_delay_alu instid0(VALU_DEP_2) | instskip(NEXT) | instid1(VALU_DEP_2)
	v_mul_f32_e32 v11, 0.5, v11
	v_mul_f32_e32 v7, v7, v13
	s_delay_alu instid0(VALU_DEP_2) | instskip(NEXT) | instid1(VALU_DEP_2)
	v_div_scale_f32 v12, null, v5, v5, v11
	v_log_f32_e32 v7, v7
	v_div_scale_f32 v15, s0, v11, v5, v11
	s_delay_alu instid0(VALU_DEP_2) | instskip(SKIP_3) | instid1(VALU_DEP_1)
	v_rcp_f32_e32 v14, v12
	s_waitcnt_depctr 0xfff
	v_cmp_gt_f32_e64 s1, 0x7f800000, |v7|
	v_fma_f32 v13, -v12, v14, 1.0
	v_dual_fmac_f32 v14, v13, v14 :: v_dual_mul_f32 v13, 0x3f317217, v7
	s_delay_alu instid0(VALU_DEP_1) | instskip(NEXT) | instid1(VALU_DEP_2)
	v_mul_f32_e32 v16, v15, v14
	v_fma_f32 v17, 0x3f317217, v7, -v13
	s_delay_alu instid0(VALU_DEP_2) | instskip(NEXT) | instid1(VALU_DEP_1)
	v_fma_f32 v18, -v12, v16, v15
	v_dual_fmamk_f32 v17, v7, 0x3377d1cf, v17 :: v_dual_fmac_f32 v16, v18, v14
	s_delay_alu instid0(VALU_DEP_1) | instskip(NEXT) | instid1(VALU_DEP_2)
	v_add_f32_e32 v13, v13, v17
	v_fma_f32 v12, -v12, v16, v15
	s_delay_alu instid0(VALU_DEP_2) | instskip(SKIP_2) | instid1(VALU_DEP_3)
	v_cndmask_b32_e64 v7, v7, v13, s1
	v_cndmask_b32_e64 v13, 0, 0x41b17218, vcc_lo
	s_mov_b32 vcc_lo, s0
	v_div_fmas_f32 v12, v12, v14, v16
	s_delay_alu instid0(VALU_DEP_2) | instskip(NEXT) | instid1(VALU_DEP_2)
	v_sub_f32_e32 v7, v7, v13
	v_div_fixup_f32 v5, v12, v5, v11
	s_delay_alu instid0(VALU_DEP_1) | instskip(NEXT) | instid1(VALU_DEP_1)
	v_fmac_f32_e32 v5, v7, v10
	v_mul_f32_e32 v10, v9, v5
                                        ; implicit-def: $vgpr5
.LBB21_1752:
	s_and_not1_saveexec_b32 s1, s10
	s_cbranch_execz .LBB21_1754
; %bb.1753:
	v_div_scale_f32 v7, null, v5, v5, 0x41000000
	v_div_scale_f32 v11, vcc_lo, 0x41000000, v5, 0x41000000
	s_mov_b32 s0, 0xa2d462ea
	s_delay_alu instid0(VALU_DEP_2) | instskip(SKIP_2) | instid1(VALU_DEP_1)
	v_rcp_f32_e32 v9, v7
	s_waitcnt_depctr 0xfff
	v_fma_f32 v10, -v7, v9, 1.0
	v_fmac_f32_e32 v9, v10, v9
	s_delay_alu instid0(VALU_DEP_1) | instskip(NEXT) | instid1(VALU_DEP_1)
	v_mul_f32_e32 v10, v11, v9
	v_fma_f32 v12, -v7, v10, v11
	s_delay_alu instid0(VALU_DEP_1) | instskip(NEXT) | instid1(VALU_DEP_1)
	v_fmac_f32_e32 v10, v12, v9
	v_fma_f32 v7, -v7, v10, v11
	v_mul_f32_e32 v11, 0x4f800000, v5
	s_delay_alu instid0(VALU_DEP_2) | instskip(SKIP_1) | instid1(VALU_DEP_2)
	v_div_fmas_f32 v7, v7, v9, v10
	v_cmp_gt_f32_e32 vcc_lo, 0xf800000, v5
	v_div_fixup_f32 v7, v7, v5, 0x41000000
	s_delay_alu instid0(VALU_DEP_4) | instskip(NEXT) | instid1(VALU_DEP_2)
	v_cndmask_b32_e32 v5, v5, v11, vcc_lo
	v_add_f32_e32 v7, -2.0, v7
	s_delay_alu instid0(VALU_DEP_2) | instskip(NEXT) | instid1(VALU_DEP_1)
	v_sqrt_f32_e32 v11, v5
	v_fmaak_f32 v9, s0, v7, 0x23a578d4
	s_delay_alu instid0(VALU_DEP_1) | instskip(SKIP_3) | instid1(VALU_DEP_2)
	v_fmaak_f32 v10, v7, v9, 0x22d462ea
	s_waitcnt_depctr 0xfff
	v_add_nc_u32_e32 v12, -1, v11
	v_dual_add_f32 v10, 0xa48330a9, v10 :: v_dual_add_nc_u32 v13, 1, v11
	v_fma_f32 v14, -v12, v11, v5
	s_delay_alu instid0(VALU_DEP_2) | instskip(NEXT) | instid1(VALU_DEP_3)
	v_fma_f32 v15, -v13, v11, v5
	v_fma_f32 v9, v7, v10, -v9
	s_delay_alu instid0(VALU_DEP_3) | instskip(NEXT) | instid1(VALU_DEP_2)
	v_cmp_ge_f32_e64 s0, 0, v14
	v_add_f32_e32 v9, 0x2553eaf2, v9
	s_delay_alu instid0(VALU_DEP_2) | instskip(SKIP_1) | instid1(VALU_DEP_3)
	v_cndmask_b32_e64 v11, v11, v12, s0
	v_cmp_lt_f32_e64 s0, 0, v15
	v_fma_f32 v10, v7, v9, -v10
	s_delay_alu instid0(VALU_DEP_2) | instskip(NEXT) | instid1(VALU_DEP_2)
	v_cndmask_b32_e64 v11, v11, v13, s0
	v_add_f32_e32 v10, 0xa62e951f, v10
	s_delay_alu instid0(VALU_DEP_1) | instskip(NEXT) | instid1(VALU_DEP_1)
	v_fma_f32 v9, v7, v10, -v9
	v_add_f32_e32 v9, 0x2712e76f, v9
	s_delay_alu instid0(VALU_DEP_1) | instskip(NEXT) | instid1(VALU_DEP_1)
	v_fma_f32 v10, v7, v9, -v10
	;; [unrolled: 3-line block ×19, first 2 shown]
	v_add_f32_e32 v9, 0x3dd4d5f8, v9
	s_delay_alu instid0(VALU_DEP_1) | instskip(SKIP_1) | instid1(VALU_DEP_2)
	v_fma_f32 v7, v7, v9, -v10
	v_mul_f32_e32 v9, 0x37800000, v11
	v_add_f32_e32 v7, 0x402e1ebd, v7
	s_delay_alu instid0(VALU_DEP_2) | instskip(SKIP_1) | instid1(VALU_DEP_3)
	v_cndmask_b32_e32 v9, v11, v9, vcc_lo
	v_cmp_class_f32_e64 vcc_lo, v5, 0x260
	v_sub_f32_e32 v7, v7, v10
	s_delay_alu instid0(VALU_DEP_3) | instskip(NEXT) | instid1(VALU_DEP_2)
	v_cndmask_b32_e32 v5, v9, v5, vcc_lo
	v_mul_f32_e32 v7, 0.5, v7
	s_delay_alu instid0(VALU_DEP_1) | instskip(NEXT) | instid1(VALU_DEP_1)
	v_div_scale_f32 v9, null, v5, v5, v7
	v_rcp_f32_e32 v10, v9
	s_waitcnt_depctr 0xfff
	v_fma_f32 v11, -v9, v10, 1.0
	s_delay_alu instid0(VALU_DEP_1) | instskip(SKIP_1) | instid1(VALU_DEP_1)
	v_fmac_f32_e32 v10, v11, v10
	v_div_scale_f32 v11, vcc_lo, v7, v5, v7
	v_mul_f32_e32 v12, v11, v10
	s_delay_alu instid0(VALU_DEP_1) | instskip(NEXT) | instid1(VALU_DEP_1)
	v_fma_f32 v13, -v9, v12, v11
	v_fmac_f32_e32 v12, v13, v10
	s_delay_alu instid0(VALU_DEP_1) | instskip(NEXT) | instid1(VALU_DEP_1)
	v_fma_f32 v9, -v9, v12, v11
	v_div_fmas_f32 v9, v9, v10, v12
	s_delay_alu instid0(VALU_DEP_1)
	v_div_fixup_f32 v10, v9, v5, v7
.LBB21_1754:
	s_or_b32 exec_lo, exec_lo, s1
.LBB21_1755:
	s_delay_alu instid0(SALU_CYCLE_1)
	s_or_b32 exec_lo, exec_lo, s7
.LBB21_1756:
	s_delay_alu instid0(SALU_CYCLE_1) | instskip(SKIP_4) | instid1(VALU_DEP_1)
	s_or_b32 exec_lo, exec_lo, s6
	s_lshr_b32 s0, s3, 8
	s_mov_b32 s3, 0
	v_and_b32_e64 v13, 0xff, s0
	v_add_co_u32 v11, s0, s4, v3
	v_add_co_ci_u32_e64 v12, null, s5, 0, s0
	s_delay_alu instid0(VALU_DEP_3)
	v_cmp_gt_i16_e32 vcc_lo, 11, v13
	s_mov_b32 s0, -1
	s_cbranch_vccnz .LBB21_1834
; %bb.1757:
	v_cmp_lt_i16_e32 vcc_lo, 25, v13
	s_mov_b32 s6, -1
	s_mov_b32 s1, 0
	s_mov_b32 s0, 0
	s_cbranch_vccz .LBB21_1790
; %bb.1758:
	v_cmp_lt_i16_e32 vcc_lo, 28, v13
	s_cbranch_vccz .LBB21_1773
; %bb.1759:
	v_cmp_lt_i16_e32 vcc_lo, 43, v13
	;; [unrolled: 3-line block ×3, first 2 shown]
	s_cbranch_vccz .LBB21_1763
; %bb.1761:
	v_cmp_eq_u16_e32 vcc_lo, 46, v13
	s_mov_b32 s0, -1
	s_mov_b32 s6, 0
	s_cbranch_vccz .LBB21_1763
; %bb.1762:
	v_bfe_u32 v3, v4, 16, 1
	v_cmp_o_f32_e32 vcc_lo, v4, v4
	s_mov_b32 s0, 0
	s_mov_b32 s3, -1
	s_delay_alu instid0(VALU_DEP_2) | instskip(NEXT) | instid1(VALU_DEP_1)
	v_add3_u32 v3, v4, v3, 0x7fff
	v_lshrrev_b32_e32 v3, 16, v3
	s_delay_alu instid0(VALU_DEP_1)
	v_cndmask_b32_e32 v3, 0x7fc0, v3, vcc_lo
	global_store_b32 v[11:12], v3, off
.LBB21_1763:
	s_and_b32 vcc_lo, exec_lo, s6
	s_cbranch_vccz .LBB21_1768
; %bb.1764:
	v_cmp_eq_u16_e32 vcc_lo, 44, v13
	s_mov_b32 s0, -1
	s_cbranch_vccz .LBB21_1768
; %bb.1765:
	v_bfe_u32 v5, v4, 23, 8
	v_mov_b32_e32 v3, 0xff
	s_mov_b32 s3, exec_lo
	s_delay_alu instid0(VALU_DEP_2)
	v_cmpx_ne_u32_e32 0xff, v5
; %bb.1766:
	v_and_b32_e32 v3, 0x400000, v4
	v_and_or_b32 v5, 0x3fffff, v4, v5
	s_delay_alu instid0(VALU_DEP_2) | instskip(NEXT) | instid1(VALU_DEP_2)
	v_cmp_ne_u32_e32 vcc_lo, 0, v3
	v_cmp_ne_u32_e64 s0, 0, v5
	v_lshrrev_b32_e32 v3, 23, v4
	s_delay_alu instid0(VALU_DEP_2) | instskip(NEXT) | instid1(SALU_CYCLE_1)
	s_and_b32 s0, vcc_lo, s0
	v_cndmask_b32_e64 v5, 0, 1, s0
	s_delay_alu instid0(VALU_DEP_1)
	v_add_nc_u32_e32 v3, v3, v5
; %bb.1767:
	s_or_b32 exec_lo, exec_lo, s3
	s_mov_b32 s0, 0
	s_mov_b32 s3, -1
	global_store_b8 v[11:12], v3, off
.LBB21_1768:
	s_mov_b32 s6, 0
.LBB21_1769:
	s_delay_alu instid0(SALU_CYCLE_1)
	s_and_b32 vcc_lo, exec_lo, s6
	s_cbranch_vccz .LBB21_1772
; %bb.1770:
	v_cmp_eq_u16_e32 vcc_lo, 29, v13
	s_mov_b32 s0, -1
	s_cbranch_vccz .LBB21_1772
; %bb.1771:
	v_trunc_f32_e32 v3, v4
	s_mov_b32 s0, 0
	s_mov_b32 s3, -1
	s_delay_alu instid0(VALU_DEP_1) | instskip(NEXT) | instid1(VALU_DEP_1)
	v_mul_f32_e32 v5, 0x2f800000, v3
	v_floor_f32_e32 v5, v5
	s_delay_alu instid0(VALU_DEP_1) | instskip(SKIP_1) | instid1(VALU_DEP_2)
	v_fmamk_f32 v3, v5, 0xcf800000, v3
	v_cvt_u32_f32_e32 v15, v5
	v_cvt_u32_f32_e32 v14, v3
	global_store_b64 v[11:12], v[14:15], off
.LBB21_1772:
	s_mov_b32 s6, 0
.LBB21_1773:
	s_delay_alu instid0(SALU_CYCLE_1)
	s_and_b32 vcc_lo, exec_lo, s6
	s_cbranch_vccz .LBB21_1789
; %bb.1774:
	v_cmp_gt_i16_e32 vcc_lo, 27, v13
	s_mov_b32 s3, -1
	s_cbranch_vccnz .LBB21_1780
; %bb.1775:
	v_cmp_lt_i16_e32 vcc_lo, 27, v13
	v_cvt_u32_f32_e32 v3, v4
	s_cbranch_vccz .LBB21_1777
; %bb.1776:
	s_mov_b32 s3, 0
	global_store_b32 v[11:12], v3, off
.LBB21_1777:
	s_and_not1_b32 vcc_lo, exec_lo, s3
	s_cbranch_vccnz .LBB21_1779
; %bb.1778:
	global_store_b16 v[11:12], v3, off
.LBB21_1779:
	s_mov_b32 s3, 0
.LBB21_1780:
	s_delay_alu instid0(SALU_CYCLE_1)
	s_and_not1_b32 vcc_lo, exec_lo, s3
	s_cbranch_vccnz .LBB21_1788
; %bb.1781:
	v_and_b32_e32 v3, 0x7fffffff, v4
	v_mov_b32_e32 v5, 0x80
	s_mov_b32 s3, exec_lo
	s_delay_alu instid0(VALU_DEP_2)
	v_cmpx_gt_u32_e32 0x43800000, v3
	s_cbranch_execz .LBB21_1787
; %bb.1782:
	v_cmp_lt_u32_e32 vcc_lo, 0x3bffffff, v3
	s_mov_b32 s6, 0
                                        ; implicit-def: $vgpr3
	s_and_saveexec_b32 s7, vcc_lo
	s_delay_alu instid0(SALU_CYCLE_1)
	s_xor_b32 s7, exec_lo, s7
	s_cbranch_execz .LBB21_2234
; %bb.1783:
	v_bfe_u32 v3, v4, 20, 1
	s_mov_b32 s6, exec_lo
	s_delay_alu instid0(VALU_DEP_1) | instskip(NEXT) | instid1(VALU_DEP_1)
	v_add3_u32 v3, v4, v3, 0x487ffff
	v_lshrrev_b32_e32 v3, 20, v3
	s_or_saveexec_b32 s7, s7
                                        ; implicit-def: $sgpr10
	s_delay_alu instid0(SALU_CYCLE_1)
	s_xor_b32 exec_lo, exec_lo, s7
	s_cbranch_execnz .LBB21_2235
.LBB21_1784:
	s_or_b32 exec_lo, exec_lo, s7
	v_mov_b32_e32 v5, s10
	s_and_saveexec_b32 s7, s6
.LBB21_1785:
	v_lshrrev_b32_e32 v5, 24, v4
	s_delay_alu instid0(VALU_DEP_1)
	v_and_or_b32 v5, 0x80, v5, v3
.LBB21_1786:
	s_or_b32 exec_lo, exec_lo, s7
.LBB21_1787:
	s_delay_alu instid0(SALU_CYCLE_1)
	s_or_b32 exec_lo, exec_lo, s3
	global_store_b8 v[11:12], v5, off
.LBB21_1788:
	s_mov_b32 s3, -1
.LBB21_1789:
	s_mov_b32 s6, 0
.LBB21_1790:
	s_delay_alu instid0(SALU_CYCLE_1)
	s_and_b32 vcc_lo, exec_lo, s6
	s_cbranch_vccz .LBB21_1830
; %bb.1791:
	v_cmp_lt_i16_e32 vcc_lo, 22, v13
	s_mov_b32 s1, -1
	s_cbranch_vccz .LBB21_1823
; %bb.1792:
	v_cmp_gt_i16_e32 vcc_lo, 24, v13
	s_cbranch_vccnz .LBB21_1812
; %bb.1793:
	v_cmp_lt_i16_e32 vcc_lo, 24, v13
	s_cbranch_vccz .LBB21_1801
; %bb.1794:
	v_and_b32_e32 v3, 0x7fffffff, v4
	v_mov_b32_e32 v5, 0x80
	s_mov_b32 s1, exec_lo
	s_delay_alu instid0(VALU_DEP_2)
	v_cmpx_gt_u32_e32 0x47800000, v3
	s_cbranch_execz .LBB21_1800
; %bb.1795:
	v_cmp_lt_u32_e32 vcc_lo, 0x37ffffff, v3
	s_mov_b32 s3, 0
                                        ; implicit-def: $vgpr3
	s_and_saveexec_b32 s6, vcc_lo
	s_delay_alu instid0(SALU_CYCLE_1)
	s_xor_b32 s6, exec_lo, s6
	s_cbranch_execz .LBB21_2240
; %bb.1796:
	v_bfe_u32 v3, v4, 21, 1
	s_mov_b32 s3, exec_lo
	s_delay_alu instid0(VALU_DEP_1) | instskip(NEXT) | instid1(VALU_DEP_1)
	v_add3_u32 v3, v4, v3, 0x88fffff
	v_lshrrev_b32_e32 v3, 21, v3
	s_or_saveexec_b32 s6, s6
                                        ; implicit-def: $sgpr7
	s_delay_alu instid0(SALU_CYCLE_1)
	s_xor_b32 exec_lo, exec_lo, s6
	s_cbranch_execnz .LBB21_2241
.LBB21_1797:
	s_or_b32 exec_lo, exec_lo, s6
	v_mov_b32_e32 v5, s7
	s_and_saveexec_b32 s6, s3
.LBB21_1798:
	v_lshrrev_b32_e32 v5, 24, v4
	s_delay_alu instid0(VALU_DEP_1)
	v_and_or_b32 v5, 0x80, v5, v3
.LBB21_1799:
	s_or_b32 exec_lo, exec_lo, s6
.LBB21_1800:
	s_delay_alu instid0(SALU_CYCLE_1)
	s_or_b32 exec_lo, exec_lo, s1
	s_mov_b32 s1, 0
	global_store_b8 v[11:12], v5, off
.LBB21_1801:
	s_and_b32 vcc_lo, exec_lo, s1
	s_cbranch_vccz .LBB21_1811
; %bb.1802:
	v_and_b32_e32 v5, 0x7fffffff, v4
	s_mov_b32 s1, exec_lo
                                        ; implicit-def: $vgpr3
	s_delay_alu instid0(VALU_DEP_1)
	v_cmpx_gt_u32_e32 0x43f00000, v5
	s_xor_b32 s1, exec_lo, s1
	s_cbranch_execz .LBB21_1808
; %bb.1803:
	s_mov_b32 s3, exec_lo
                                        ; implicit-def: $vgpr3
	v_cmpx_lt_u32_e32 0x3c7fffff, v5
	s_xor_b32 s3, exec_lo, s3
; %bb.1804:
	v_bfe_u32 v3, v4, 20, 1
	s_delay_alu instid0(VALU_DEP_1) | instskip(NEXT) | instid1(VALU_DEP_1)
	v_add3_u32 v3, v4, v3, 0x407ffff
	v_and_b32_e32 v5, 0xff00000, v3
	v_lshrrev_b32_e32 v3, 20, v3
	s_delay_alu instid0(VALU_DEP_2) | instskip(NEXT) | instid1(VALU_DEP_2)
	v_cmp_ne_u32_e32 vcc_lo, 0x7f00000, v5
	v_cndmask_b32_e32 v3, 0x7e, v3, vcc_lo
; %bb.1805:
	s_and_not1_saveexec_b32 s3, s3
; %bb.1806:
	v_add_f32_e64 v3, 0x46800000, |v4|
; %bb.1807:
	s_or_b32 exec_lo, exec_lo, s3
                                        ; implicit-def: $vgpr5
.LBB21_1808:
	s_and_not1_saveexec_b32 s1, s1
; %bb.1809:
	v_mov_b32_e32 v3, 0x7f
	v_cmp_lt_u32_e32 vcc_lo, 0x7f800000, v5
	s_delay_alu instid0(VALU_DEP_2)
	v_cndmask_b32_e32 v3, 0x7e, v3, vcc_lo
; %bb.1810:
	s_or_b32 exec_lo, exec_lo, s1
	v_lshrrev_b32_e32 v5, 24, v4
	s_delay_alu instid0(VALU_DEP_1)
	v_and_or_b32 v3, 0x80, v5, v3
	global_store_b8 v[11:12], v3, off
.LBB21_1811:
	s_mov_b32 s1, 0
.LBB21_1812:
	s_delay_alu instid0(SALU_CYCLE_1)
	s_and_not1_b32 vcc_lo, exec_lo, s1
	s_cbranch_vccnz .LBB21_1822
; %bb.1813:
	v_and_b32_e32 v5, 0x7fffffff, v4
	s_mov_b32 s1, exec_lo
                                        ; implicit-def: $vgpr3
	s_delay_alu instid0(VALU_DEP_1)
	v_cmpx_gt_u32_e32 0x47800000, v5
	s_xor_b32 s1, exec_lo, s1
	s_cbranch_execz .LBB21_1819
; %bb.1814:
	s_mov_b32 s3, exec_lo
                                        ; implicit-def: $vgpr3
	v_cmpx_lt_u32_e32 0x387fffff, v5
	s_xor_b32 s3, exec_lo, s3
; %bb.1815:
	v_bfe_u32 v3, v4, 21, 1
	s_delay_alu instid0(VALU_DEP_1) | instskip(NEXT) | instid1(VALU_DEP_1)
	v_add3_u32 v3, v4, v3, 0x80fffff
	v_lshrrev_b32_e32 v3, 21, v3
; %bb.1816:
	s_and_not1_saveexec_b32 s3, s3
; %bb.1817:
	v_add_f32_e64 v3, 0x43000000, |v4|
; %bb.1818:
	s_or_b32 exec_lo, exec_lo, s3
                                        ; implicit-def: $vgpr5
.LBB21_1819:
	s_and_not1_saveexec_b32 s1, s1
; %bb.1820:
	v_mov_b32_e32 v3, 0x7f
	v_cmp_lt_u32_e32 vcc_lo, 0x7f800000, v5
	s_delay_alu instid0(VALU_DEP_2)
	v_cndmask_b32_e32 v3, 0x7c, v3, vcc_lo
; %bb.1821:
	s_or_b32 exec_lo, exec_lo, s1
	v_lshrrev_b32_e32 v5, 24, v4
	s_delay_alu instid0(VALU_DEP_1)
	v_and_or_b32 v3, 0x80, v5, v3
	global_store_b8 v[11:12], v3, off
.LBB21_1822:
	s_mov_b32 s1, 0
	s_mov_b32 s3, -1
.LBB21_1823:
	s_and_not1_b32 vcc_lo, exec_lo, s1
	s_mov_b32 s1, 0
	s_cbranch_vccnz .LBB21_1830
; %bb.1824:
	v_cmp_lt_i16_e32 vcc_lo, 14, v13
	s_mov_b32 s1, -1
	s_cbranch_vccz .LBB21_1828
; %bb.1825:
	v_cmp_eq_u16_e32 vcc_lo, 15, v13
	s_mov_b32 s0, -1
	s_cbranch_vccz .LBB21_1827
; %bb.1826:
	v_bfe_u32 v3, v4, 16, 1
	v_cmp_o_f32_e32 vcc_lo, v4, v4
	s_mov_b32 s0, 0
	s_mov_b32 s3, -1
	s_delay_alu instid0(VALU_DEP_2) | instskip(NEXT) | instid1(VALU_DEP_1)
	v_add3_u32 v3, v4, v3, 0x7fff
	v_lshrrev_b32_e32 v3, 16, v3
	s_delay_alu instid0(VALU_DEP_1)
	v_cndmask_b32_e32 v3, 0x7fc0, v3, vcc_lo
	global_store_b16 v[11:12], v3, off
.LBB21_1827:
	s_mov_b32 s1, 0
.LBB21_1828:
	s_delay_alu instid0(SALU_CYCLE_1)
	s_and_b32 vcc_lo, exec_lo, s1
	s_mov_b32 s1, 0
	s_cbranch_vccz .LBB21_1830
; %bb.1829:
	v_cmp_ne_u16_e64 s0, 11, v13
	s_mov_b32 s1, -1
.LBB21_1830:
	s_delay_alu instid0(VALU_DEP_1)
	s_and_b32 vcc_lo, exec_lo, s0
	s_cbranch_vccnz .LBB21_2238
; %bb.1831:
	s_and_not1_b32 vcc_lo, exec_lo, s1
	s_cbranch_vccnz .LBB21_1833
.LBB21_1832:
	v_cmp_neq_f32_e32 vcc_lo, 0, v4
	s_mov_b32 s3, -1
	v_cndmask_b32_e64 v3, 0, 1, vcc_lo
	global_store_b8 v[11:12], v3, off
.LBB21_1833:
	s_mov_b32 s0, 0
.LBB21_1834:
	s_delay_alu instid0(SALU_CYCLE_1)
	s_and_b32 vcc_lo, exec_lo, s0
	s_cbranch_vccz .LBB21_1873
; %bb.1835:
	v_cmp_gt_i16_e32 vcc_lo, 5, v13
	s_mov_b32 s0, -1
	s_cbranch_vccnz .LBB21_1856
; %bb.1836:
	v_cmp_gt_i16_e32 vcc_lo, 8, v13
	s_cbranch_vccnz .LBB21_1846
; %bb.1837:
	v_cmp_gt_i16_e32 vcc_lo, 9, v13
	s_cbranch_vccnz .LBB21_1843
; %bb.1838:
	v_cmp_lt_i16_e32 vcc_lo, 9, v13
	s_cbranch_vccz .LBB21_1840
; %bb.1839:
	v_cvt_f64_f32_e32 v[14:15], v4
	v_mov_b32_e32 v16, 0
	s_mov_b32 s0, 0
	s_delay_alu instid0(VALU_DEP_1)
	v_mov_b32_e32 v17, v16
	global_store_b128 v[11:12], v[14:17], off
.LBB21_1840:
	s_and_not1_b32 vcc_lo, exec_lo, s0
	s_cbranch_vccnz .LBB21_1842
; %bb.1841:
	v_mov_b32_e32 v5, 0
	global_store_b64 v[11:12], v[4:5], off
.LBB21_1842:
	s_mov_b32 s0, 0
.LBB21_1843:
	s_delay_alu instid0(SALU_CYCLE_1)
	s_and_not1_b32 vcc_lo, exec_lo, s0
	s_cbranch_vccnz .LBB21_1845
; %bb.1844:
	v_cvt_f16_f32_e32 v3, v4
	s_delay_alu instid0(VALU_DEP_1)
	v_and_b32_e32 v3, 0xffff, v3
	global_store_b32 v[11:12], v3, off
.LBB21_1845:
	s_mov_b32 s0, 0
.LBB21_1846:
	s_delay_alu instid0(SALU_CYCLE_1)
	s_and_not1_b32 vcc_lo, exec_lo, s0
	s_cbranch_vccnz .LBB21_1855
; %bb.1847:
	v_cmp_gt_i16_e32 vcc_lo, 6, v13
	s_mov_b32 s0, -1
	s_cbranch_vccnz .LBB21_1853
; %bb.1848:
	v_cmp_lt_i16_e32 vcc_lo, 6, v13
	s_cbranch_vccz .LBB21_1850
; %bb.1849:
	v_cvt_f64_f32_e32 v[14:15], v4
	s_mov_b32 s0, 0
	global_store_b64 v[11:12], v[14:15], off
.LBB21_1850:
	s_and_not1_b32 vcc_lo, exec_lo, s0
	s_cbranch_vccnz .LBB21_1852
; %bb.1851:
	global_store_b32 v[11:12], v4, off
.LBB21_1852:
	s_mov_b32 s0, 0
.LBB21_1853:
	s_delay_alu instid0(SALU_CYCLE_1)
	s_and_not1_b32 vcc_lo, exec_lo, s0
	s_cbranch_vccnz .LBB21_1855
; %bb.1854:
	v_cvt_f16_f32_e32 v3, v4
	global_store_b16 v[11:12], v3, off
.LBB21_1855:
	s_mov_b32 s0, 0
.LBB21_1856:
	s_delay_alu instid0(SALU_CYCLE_1)
	s_and_not1_b32 vcc_lo, exec_lo, s0
	s_cbranch_vccnz .LBB21_1872
; %bb.1857:
	v_cmp_gt_i16_e32 vcc_lo, 2, v13
	s_mov_b32 s0, -1
	s_cbranch_vccnz .LBB21_1867
; %bb.1858:
	v_cmp_gt_i16_e32 vcc_lo, 3, v13
	s_cbranch_vccnz .LBB21_1864
; %bb.1859:
	v_cmp_lt_i16_e32 vcc_lo, 3, v13
	s_cbranch_vccz .LBB21_1861
; %bb.1860:
	v_trunc_f32_e32 v3, v4
	s_mov_b32 s0, 0
	s_delay_alu instid0(VALU_DEP_1) | instskip(NEXT) | instid1(VALU_DEP_1)
	v_mul_f32_e64 v5, 0x2f800000, |v3|
	v_floor_f32_e32 v5, v5
	s_delay_alu instid0(VALU_DEP_1) | instskip(SKIP_2) | instid1(VALU_DEP_3)
	v_fma_f32 v7, 0xcf800000, v5, |v3|
	v_ashrrev_i32_e32 v3, 31, v3
	v_cvt_u32_f32_e32 v5, v5
	v_cvt_u32_f32_e32 v7, v7
	s_delay_alu instid0(VALU_DEP_2) | instskip(NEXT) | instid1(VALU_DEP_2)
	v_xor_b32_e32 v5, v5, v3
	v_xor_b32_e32 v7, v7, v3
	s_delay_alu instid0(VALU_DEP_1) | instskip(NEXT) | instid1(VALU_DEP_3)
	v_sub_co_u32 v14, vcc_lo, v7, v3
	v_sub_co_ci_u32_e32 v15, vcc_lo, v5, v3, vcc_lo
	global_store_b64 v[11:12], v[14:15], off
.LBB21_1861:
	s_and_not1_b32 vcc_lo, exec_lo, s0
	s_cbranch_vccnz .LBB21_1863
; %bb.1862:
	v_cvt_i32_f32_e32 v3, v4
	global_store_b32 v[11:12], v3, off
.LBB21_1863:
	s_mov_b32 s0, 0
.LBB21_1864:
	s_delay_alu instid0(SALU_CYCLE_1)
	s_and_not1_b32 vcc_lo, exec_lo, s0
	s_cbranch_vccnz .LBB21_1866
; %bb.1865:
	v_cvt_i32_f32_e32 v3, v4
	global_store_b16 v[11:12], v3, off
.LBB21_1866:
	s_mov_b32 s0, 0
.LBB21_1867:
	s_delay_alu instid0(SALU_CYCLE_1)
	s_and_not1_b32 vcc_lo, exec_lo, s0
	s_cbranch_vccnz .LBB21_1872
; %bb.1868:
	v_cmp_lt_i16_e32 vcc_lo, 0, v13
	s_mov_b32 s0, -1
	s_cbranch_vccz .LBB21_1870
; %bb.1869:
	v_cvt_i32_f32_e32 v3, v4
	s_mov_b32 s0, 0
	global_store_b8 v[11:12], v3, off
.LBB21_1870:
	s_and_not1_b32 vcc_lo, exec_lo, s0
	s_cbranch_vccnz .LBB21_1872
; %bb.1871:
	v_trunc_f32_e32 v3, v4
	s_delay_alu instid0(VALU_DEP_1) | instskip(NEXT) | instid1(VALU_DEP_1)
	v_mul_f32_e64 v4, 0x2f800000, |v3|
	v_floor_f32_e32 v4, v4
	s_delay_alu instid0(VALU_DEP_1) | instskip(SKIP_1) | instid1(VALU_DEP_2)
	v_fma_f32 v4, 0xcf800000, v4, |v3|
	v_ashrrev_i32_e32 v3, 31, v3
	v_cvt_u32_f32_e32 v4, v4
	s_delay_alu instid0(VALU_DEP_1) | instskip(NEXT) | instid1(VALU_DEP_1)
	v_xor_b32_e32 v4, v4, v3
	v_sub_nc_u32_e32 v3, v4, v3
	global_store_b8 v[11:12], v3, off
.LBB21_1872:
	s_mov_b32 s3, -1
.LBB21_1873:
	s_delay_alu instid0(SALU_CYCLE_1)
	s_and_not1_b32 vcc_lo, exec_lo, s3
	s_cbranch_vccnz .LBB21_2231
; %bb.1874:
	v_cmp_gt_i16_e32 vcc_lo, 11, v13
	v_add_co_u32 v2, s0, s4, v2
	s_delay_alu instid0(VALU_DEP_1)
	v_add_co_ci_u32_e64 v3, null, s5, 0, s0
	s_mov_b32 s3, 0
	s_mov_b32 s0, -1
	s_cbranch_vccnz .LBB21_1952
; %bb.1875:
	v_cmp_lt_i16_e32 vcc_lo, 25, v13
	s_mov_b32 s6, -1
	s_mov_b32 s1, 0
	s_mov_b32 s0, 0
	s_cbranch_vccz .LBB21_1908
; %bb.1876:
	v_cmp_lt_i16_e32 vcc_lo, 28, v13
	s_cbranch_vccz .LBB21_1891
; %bb.1877:
	v_cmp_lt_i16_e32 vcc_lo, 43, v13
	;; [unrolled: 3-line block ×3, first 2 shown]
	s_cbranch_vccz .LBB21_1881
; %bb.1879:
	v_cmp_eq_u16_e32 vcc_lo, 46, v13
	s_mov_b32 s0, -1
	s_mov_b32 s6, 0
	s_cbranch_vccz .LBB21_1881
; %bb.1880:
	v_bfe_u32 v4, v6, 16, 1
	v_cmp_o_f32_e32 vcc_lo, v6, v6
	s_mov_b32 s0, 0
	s_mov_b32 s3, -1
	s_delay_alu instid0(VALU_DEP_2) | instskip(NEXT) | instid1(VALU_DEP_1)
	v_add3_u32 v4, v6, v4, 0x7fff
	v_lshrrev_b32_e32 v4, 16, v4
	s_delay_alu instid0(VALU_DEP_1)
	v_cndmask_b32_e32 v4, 0x7fc0, v4, vcc_lo
	global_store_b32 v[2:3], v4, off
.LBB21_1881:
	s_and_b32 vcc_lo, exec_lo, s6
	s_cbranch_vccz .LBB21_1886
; %bb.1882:
	v_cmp_eq_u16_e32 vcc_lo, 44, v13
	s_mov_b32 s0, -1
	s_cbranch_vccz .LBB21_1886
; %bb.1883:
	v_bfe_u32 v5, v6, 23, 8
	v_mov_b32_e32 v4, 0xff
	s_mov_b32 s3, exec_lo
	s_delay_alu instid0(VALU_DEP_2)
	v_cmpx_ne_u32_e32 0xff, v5
; %bb.1884:
	v_and_b32_e32 v4, 0x400000, v6
	v_and_or_b32 v5, 0x3fffff, v6, v5
	s_delay_alu instid0(VALU_DEP_2) | instskip(NEXT) | instid1(VALU_DEP_2)
	v_cmp_ne_u32_e32 vcc_lo, 0, v4
	v_cmp_ne_u32_e64 s0, 0, v5
	v_lshrrev_b32_e32 v4, 23, v6
	s_delay_alu instid0(VALU_DEP_2) | instskip(NEXT) | instid1(SALU_CYCLE_1)
	s_and_b32 s0, vcc_lo, s0
	v_cndmask_b32_e64 v5, 0, 1, s0
	s_delay_alu instid0(VALU_DEP_1)
	v_add_nc_u32_e32 v4, v4, v5
; %bb.1885:
	s_or_b32 exec_lo, exec_lo, s3
	s_mov_b32 s0, 0
	s_mov_b32 s3, -1
	global_store_b8 v[2:3], v4, off
.LBB21_1886:
	s_mov_b32 s6, 0
.LBB21_1887:
	s_delay_alu instid0(SALU_CYCLE_1)
	s_and_b32 vcc_lo, exec_lo, s6
	s_cbranch_vccz .LBB21_1890
; %bb.1888:
	v_cmp_eq_u16_e32 vcc_lo, 29, v13
	s_mov_b32 s0, -1
	s_cbranch_vccz .LBB21_1890
; %bb.1889:
	v_trunc_f32_e32 v4, v6
	s_mov_b32 s0, 0
	s_mov_b32 s3, -1
	s_delay_alu instid0(VALU_DEP_1) | instskip(NEXT) | instid1(VALU_DEP_1)
	v_mul_f32_e32 v5, 0x2f800000, v4
	v_floor_f32_e32 v5, v5
	s_delay_alu instid0(VALU_DEP_1) | instskip(SKIP_1) | instid1(VALU_DEP_2)
	v_fmamk_f32 v4, v5, 0xcf800000, v4
	v_cvt_u32_f32_e32 v5, v5
	v_cvt_u32_f32_e32 v4, v4
	global_store_b64 v[2:3], v[4:5], off
.LBB21_1890:
	s_mov_b32 s6, 0
.LBB21_1891:
	s_delay_alu instid0(SALU_CYCLE_1)
	s_and_b32 vcc_lo, exec_lo, s6
	s_cbranch_vccz .LBB21_1907
; %bb.1892:
	v_cmp_gt_i16_e32 vcc_lo, 27, v13
	s_mov_b32 s3, -1
	s_cbranch_vccnz .LBB21_1898
; %bb.1893:
	v_cmp_lt_i16_e32 vcc_lo, 27, v13
	v_cvt_u32_f32_e32 v4, v6
	s_cbranch_vccz .LBB21_1895
; %bb.1894:
	s_mov_b32 s3, 0
	global_store_b32 v[2:3], v4, off
.LBB21_1895:
	s_and_not1_b32 vcc_lo, exec_lo, s3
	s_cbranch_vccnz .LBB21_1897
; %bb.1896:
	global_store_b16 v[2:3], v4, off
.LBB21_1897:
	s_mov_b32 s3, 0
.LBB21_1898:
	s_delay_alu instid0(SALU_CYCLE_1)
	s_and_not1_b32 vcc_lo, exec_lo, s3
	s_cbranch_vccnz .LBB21_1906
; %bb.1899:
	v_and_b32_e32 v4, 0x7fffffff, v6
	v_mov_b32_e32 v5, 0x80
	s_mov_b32 s3, exec_lo
	s_delay_alu instid0(VALU_DEP_2)
	v_cmpx_gt_u32_e32 0x43800000, v4
	s_cbranch_execz .LBB21_1905
; %bb.1900:
	v_cmp_lt_u32_e32 vcc_lo, 0x3bffffff, v4
	s_mov_b32 s6, 0
                                        ; implicit-def: $vgpr4
	s_and_saveexec_b32 s7, vcc_lo
	s_delay_alu instid0(SALU_CYCLE_1)
	s_xor_b32 s7, exec_lo, s7
	s_cbranch_execz .LBB21_2242
; %bb.1901:
	v_bfe_u32 v4, v6, 20, 1
	s_mov_b32 s6, exec_lo
	s_delay_alu instid0(VALU_DEP_1) | instskip(NEXT) | instid1(VALU_DEP_1)
	v_add3_u32 v4, v6, v4, 0x487ffff
	v_lshrrev_b32_e32 v4, 20, v4
	s_or_saveexec_b32 s7, s7
                                        ; implicit-def: $sgpr10
	s_delay_alu instid0(SALU_CYCLE_1)
	s_xor_b32 exec_lo, exec_lo, s7
	s_cbranch_execnz .LBB21_2243
.LBB21_1902:
	s_or_b32 exec_lo, exec_lo, s7
	v_mov_b32_e32 v5, s10
	s_and_saveexec_b32 s7, s6
.LBB21_1903:
	v_lshrrev_b32_e32 v5, 24, v6
	s_delay_alu instid0(VALU_DEP_1)
	v_and_or_b32 v5, 0x80, v5, v4
.LBB21_1904:
	s_or_b32 exec_lo, exec_lo, s7
.LBB21_1905:
	s_delay_alu instid0(SALU_CYCLE_1)
	s_or_b32 exec_lo, exec_lo, s3
	global_store_b8 v[2:3], v5, off
.LBB21_1906:
	s_mov_b32 s3, -1
.LBB21_1907:
	s_mov_b32 s6, 0
.LBB21_1908:
	s_delay_alu instid0(SALU_CYCLE_1)
	s_and_b32 vcc_lo, exec_lo, s6
	s_cbranch_vccz .LBB21_1948
; %bb.1909:
	v_cmp_lt_i16_e32 vcc_lo, 22, v13
	s_mov_b32 s1, -1
	s_cbranch_vccz .LBB21_1941
; %bb.1910:
	v_cmp_gt_i16_e32 vcc_lo, 24, v13
	s_cbranch_vccnz .LBB21_1930
; %bb.1911:
	v_cmp_lt_i16_e32 vcc_lo, 24, v13
	s_cbranch_vccz .LBB21_1919
; %bb.1912:
	v_and_b32_e32 v4, 0x7fffffff, v6
	v_mov_b32_e32 v5, 0x80
	s_mov_b32 s1, exec_lo
	s_delay_alu instid0(VALU_DEP_2)
	v_cmpx_gt_u32_e32 0x47800000, v4
	s_cbranch_execz .LBB21_1918
; %bb.1913:
	v_cmp_lt_u32_e32 vcc_lo, 0x37ffffff, v4
	s_mov_b32 s3, 0
                                        ; implicit-def: $vgpr4
	s_and_saveexec_b32 s6, vcc_lo
	s_delay_alu instid0(SALU_CYCLE_1)
	s_xor_b32 s6, exec_lo, s6
	s_cbranch_execz .LBB21_2248
; %bb.1914:
	v_bfe_u32 v4, v6, 21, 1
	s_mov_b32 s3, exec_lo
	s_delay_alu instid0(VALU_DEP_1) | instskip(NEXT) | instid1(VALU_DEP_1)
	v_add3_u32 v4, v6, v4, 0x88fffff
	v_lshrrev_b32_e32 v4, 21, v4
	s_or_saveexec_b32 s6, s6
                                        ; implicit-def: $sgpr7
	s_delay_alu instid0(SALU_CYCLE_1)
	s_xor_b32 exec_lo, exec_lo, s6
	s_cbranch_execnz .LBB21_2249
.LBB21_1915:
	s_or_b32 exec_lo, exec_lo, s6
	v_mov_b32_e32 v5, s7
	s_and_saveexec_b32 s6, s3
.LBB21_1916:
	v_lshrrev_b32_e32 v5, 24, v6
	s_delay_alu instid0(VALU_DEP_1)
	v_and_or_b32 v5, 0x80, v5, v4
.LBB21_1917:
	s_or_b32 exec_lo, exec_lo, s6
.LBB21_1918:
	s_delay_alu instid0(SALU_CYCLE_1)
	s_or_b32 exec_lo, exec_lo, s1
	s_mov_b32 s1, 0
	global_store_b8 v[2:3], v5, off
.LBB21_1919:
	s_and_b32 vcc_lo, exec_lo, s1
	s_cbranch_vccz .LBB21_1929
; %bb.1920:
	v_and_b32_e32 v5, 0x7fffffff, v6
	s_mov_b32 s1, exec_lo
                                        ; implicit-def: $vgpr4
	s_delay_alu instid0(VALU_DEP_1)
	v_cmpx_gt_u32_e32 0x43f00000, v5
	s_xor_b32 s1, exec_lo, s1
	s_cbranch_execz .LBB21_1926
; %bb.1921:
	s_mov_b32 s3, exec_lo
                                        ; implicit-def: $vgpr4
	v_cmpx_lt_u32_e32 0x3c7fffff, v5
	s_xor_b32 s3, exec_lo, s3
; %bb.1922:
	v_bfe_u32 v4, v6, 20, 1
	s_delay_alu instid0(VALU_DEP_1) | instskip(NEXT) | instid1(VALU_DEP_1)
	v_add3_u32 v4, v6, v4, 0x407ffff
	v_and_b32_e32 v5, 0xff00000, v4
	v_lshrrev_b32_e32 v4, 20, v4
	s_delay_alu instid0(VALU_DEP_2) | instskip(NEXT) | instid1(VALU_DEP_2)
	v_cmp_ne_u32_e32 vcc_lo, 0x7f00000, v5
	v_cndmask_b32_e32 v4, 0x7e, v4, vcc_lo
; %bb.1923:
	s_and_not1_saveexec_b32 s3, s3
; %bb.1924:
	v_add_f32_e64 v4, 0x46800000, |v6|
; %bb.1925:
	s_or_b32 exec_lo, exec_lo, s3
                                        ; implicit-def: $vgpr5
.LBB21_1926:
	s_and_not1_saveexec_b32 s1, s1
; %bb.1927:
	v_mov_b32_e32 v4, 0x7f
	v_cmp_lt_u32_e32 vcc_lo, 0x7f800000, v5
	s_delay_alu instid0(VALU_DEP_2)
	v_cndmask_b32_e32 v4, 0x7e, v4, vcc_lo
; %bb.1928:
	s_or_b32 exec_lo, exec_lo, s1
	v_lshrrev_b32_e32 v5, 24, v6
	s_delay_alu instid0(VALU_DEP_1)
	v_and_or_b32 v4, 0x80, v5, v4
	global_store_b8 v[2:3], v4, off
.LBB21_1929:
	s_mov_b32 s1, 0
.LBB21_1930:
	s_delay_alu instid0(SALU_CYCLE_1)
	s_and_not1_b32 vcc_lo, exec_lo, s1
	s_cbranch_vccnz .LBB21_1940
; %bb.1931:
	v_and_b32_e32 v5, 0x7fffffff, v6
	s_mov_b32 s1, exec_lo
                                        ; implicit-def: $vgpr4
	s_delay_alu instid0(VALU_DEP_1)
	v_cmpx_gt_u32_e32 0x47800000, v5
	s_xor_b32 s1, exec_lo, s1
	s_cbranch_execz .LBB21_1937
; %bb.1932:
	s_mov_b32 s3, exec_lo
                                        ; implicit-def: $vgpr4
	v_cmpx_lt_u32_e32 0x387fffff, v5
	s_xor_b32 s3, exec_lo, s3
; %bb.1933:
	v_bfe_u32 v4, v6, 21, 1
	s_delay_alu instid0(VALU_DEP_1) | instskip(NEXT) | instid1(VALU_DEP_1)
	v_add3_u32 v4, v6, v4, 0x80fffff
	v_lshrrev_b32_e32 v4, 21, v4
; %bb.1934:
	s_and_not1_saveexec_b32 s3, s3
; %bb.1935:
	v_add_f32_e64 v4, 0x43000000, |v6|
; %bb.1936:
	s_or_b32 exec_lo, exec_lo, s3
                                        ; implicit-def: $vgpr5
.LBB21_1937:
	s_and_not1_saveexec_b32 s1, s1
; %bb.1938:
	v_mov_b32_e32 v4, 0x7f
	v_cmp_lt_u32_e32 vcc_lo, 0x7f800000, v5
	s_delay_alu instid0(VALU_DEP_2)
	v_cndmask_b32_e32 v4, 0x7c, v4, vcc_lo
; %bb.1939:
	s_or_b32 exec_lo, exec_lo, s1
	v_lshrrev_b32_e32 v5, 24, v6
	s_delay_alu instid0(VALU_DEP_1)
	v_and_or_b32 v4, 0x80, v5, v4
	global_store_b8 v[2:3], v4, off
.LBB21_1940:
	s_mov_b32 s1, 0
	s_mov_b32 s3, -1
.LBB21_1941:
	s_and_not1_b32 vcc_lo, exec_lo, s1
	s_mov_b32 s1, 0
	s_cbranch_vccnz .LBB21_1948
; %bb.1942:
	v_cmp_lt_i16_e32 vcc_lo, 14, v13
	s_mov_b32 s1, -1
	s_cbranch_vccz .LBB21_1946
; %bb.1943:
	v_cmp_eq_u16_e32 vcc_lo, 15, v13
	s_mov_b32 s0, -1
	s_cbranch_vccz .LBB21_1945
; %bb.1944:
	v_bfe_u32 v4, v6, 16, 1
	v_cmp_o_f32_e32 vcc_lo, v6, v6
	s_mov_b32 s0, 0
	s_mov_b32 s3, -1
	s_delay_alu instid0(VALU_DEP_2) | instskip(NEXT) | instid1(VALU_DEP_1)
	v_add3_u32 v4, v6, v4, 0x7fff
	v_lshrrev_b32_e32 v4, 16, v4
	s_delay_alu instid0(VALU_DEP_1)
	v_cndmask_b32_e32 v4, 0x7fc0, v4, vcc_lo
	global_store_b16 v[2:3], v4, off
.LBB21_1945:
	s_mov_b32 s1, 0
.LBB21_1946:
	s_delay_alu instid0(SALU_CYCLE_1)
	s_and_b32 vcc_lo, exec_lo, s1
	s_mov_b32 s1, 0
	s_cbranch_vccz .LBB21_1948
; %bb.1947:
	v_cmp_ne_u16_e64 s0, 11, v13
	s_mov_b32 s1, -1
.LBB21_1948:
	s_delay_alu instid0(VALU_DEP_1)
	s_and_b32 vcc_lo, exec_lo, s0
	s_cbranch_vccnz .LBB21_2246
; %bb.1949:
	s_and_not1_b32 vcc_lo, exec_lo, s1
	s_cbranch_vccnz .LBB21_1951
.LBB21_1950:
	v_cmp_neq_f32_e32 vcc_lo, 0, v6
	s_mov_b32 s3, -1
	v_cndmask_b32_e64 v4, 0, 1, vcc_lo
	global_store_b8 v[2:3], v4, off
.LBB21_1951:
	s_mov_b32 s0, 0
.LBB21_1952:
	s_delay_alu instid0(SALU_CYCLE_1)
	s_and_b32 vcc_lo, exec_lo, s0
	s_cbranch_vccz .LBB21_1991
; %bb.1953:
	v_cmp_gt_i16_e32 vcc_lo, 5, v13
	s_mov_b32 s0, -1
	s_cbranch_vccnz .LBB21_1974
; %bb.1954:
	v_cmp_gt_i16_e32 vcc_lo, 8, v13
	s_cbranch_vccnz .LBB21_1964
; %bb.1955:
	v_cmp_gt_i16_e32 vcc_lo, 9, v13
	s_cbranch_vccnz .LBB21_1961
; %bb.1956:
	v_cmp_lt_i16_e32 vcc_lo, 9, v13
	s_cbranch_vccz .LBB21_1958
; %bb.1957:
	v_cvt_f64_f32_e32 v[14:15], v6
	v_mov_b32_e32 v16, 0
	s_mov_b32 s0, 0
	s_delay_alu instid0(VALU_DEP_1)
	v_mov_b32_e32 v17, v16
	global_store_b128 v[2:3], v[14:17], off
.LBB21_1958:
	s_and_not1_b32 vcc_lo, exec_lo, s0
	s_cbranch_vccnz .LBB21_1960
; %bb.1959:
	v_mov_b32_e32 v7, 0
	global_store_b64 v[2:3], v[6:7], off
.LBB21_1960:
	s_mov_b32 s0, 0
.LBB21_1961:
	s_delay_alu instid0(SALU_CYCLE_1)
	s_and_not1_b32 vcc_lo, exec_lo, s0
	s_cbranch_vccnz .LBB21_1963
; %bb.1962:
	v_cvt_f16_f32_e32 v4, v6
	s_delay_alu instid0(VALU_DEP_1)
	v_and_b32_e32 v4, 0xffff, v4
	global_store_b32 v[2:3], v4, off
.LBB21_1963:
	s_mov_b32 s0, 0
.LBB21_1964:
	s_delay_alu instid0(SALU_CYCLE_1)
	s_and_not1_b32 vcc_lo, exec_lo, s0
	s_cbranch_vccnz .LBB21_1973
; %bb.1965:
	v_cmp_gt_i16_e32 vcc_lo, 6, v13
	s_mov_b32 s0, -1
	s_cbranch_vccnz .LBB21_1971
; %bb.1966:
	v_cmp_lt_i16_e32 vcc_lo, 6, v13
	s_cbranch_vccz .LBB21_1968
; %bb.1967:
	v_cvt_f64_f32_e32 v[4:5], v6
	s_mov_b32 s0, 0
	global_store_b64 v[2:3], v[4:5], off
.LBB21_1968:
	s_and_not1_b32 vcc_lo, exec_lo, s0
	s_cbranch_vccnz .LBB21_1970
; %bb.1969:
	global_store_b32 v[2:3], v6, off
.LBB21_1970:
	s_mov_b32 s0, 0
.LBB21_1971:
	s_delay_alu instid0(SALU_CYCLE_1)
	s_and_not1_b32 vcc_lo, exec_lo, s0
	s_cbranch_vccnz .LBB21_1973
; %bb.1972:
	v_cvt_f16_f32_e32 v4, v6
	global_store_b16 v[2:3], v4, off
.LBB21_1973:
	s_mov_b32 s0, 0
.LBB21_1974:
	s_delay_alu instid0(SALU_CYCLE_1)
	s_and_not1_b32 vcc_lo, exec_lo, s0
	s_cbranch_vccnz .LBB21_1990
; %bb.1975:
	v_cmp_gt_i16_e32 vcc_lo, 2, v13
	s_mov_b32 s0, -1
	s_cbranch_vccnz .LBB21_1985
; %bb.1976:
	v_cmp_gt_i16_e32 vcc_lo, 3, v13
	s_cbranch_vccnz .LBB21_1982
; %bb.1977:
	v_cmp_lt_i16_e32 vcc_lo, 3, v13
	s_cbranch_vccz .LBB21_1979
; %bb.1978:
	v_trunc_f32_e32 v4, v6
	s_mov_b32 s0, 0
	s_delay_alu instid0(VALU_DEP_1) | instskip(SKIP_1) | instid1(VALU_DEP_2)
	v_mul_f32_e64 v5, 0x2f800000, |v4|
	v_ashrrev_i32_e32 v9, 31, v4
	v_floor_f32_e32 v5, v5
	s_delay_alu instid0(VALU_DEP_1) | instskip(SKIP_1) | instid1(VALU_DEP_2)
	v_fma_f32 v7, 0xcf800000, v5, |v4|
	v_cvt_u32_f32_e32 v5, v5
	v_cvt_u32_f32_e32 v4, v7
	s_delay_alu instid0(VALU_DEP_2) | instskip(NEXT) | instid1(VALU_DEP_2)
	v_xor_b32_e32 v5, v5, v9
	v_xor_b32_e32 v4, v4, v9
	s_delay_alu instid0(VALU_DEP_1) | instskip(NEXT) | instid1(VALU_DEP_3)
	v_sub_co_u32 v4, vcc_lo, v4, v9
	v_sub_co_ci_u32_e32 v5, vcc_lo, v5, v9, vcc_lo
	global_store_b64 v[2:3], v[4:5], off
.LBB21_1979:
	s_and_not1_b32 vcc_lo, exec_lo, s0
	s_cbranch_vccnz .LBB21_1981
; %bb.1980:
	v_cvt_i32_f32_e32 v4, v6
	global_store_b32 v[2:3], v4, off
.LBB21_1981:
	s_mov_b32 s0, 0
.LBB21_1982:
	s_delay_alu instid0(SALU_CYCLE_1)
	s_and_not1_b32 vcc_lo, exec_lo, s0
	s_cbranch_vccnz .LBB21_1984
; %bb.1983:
	v_cvt_i32_f32_e32 v4, v6
	global_store_b16 v[2:3], v4, off
.LBB21_1984:
	s_mov_b32 s0, 0
.LBB21_1985:
	s_delay_alu instid0(SALU_CYCLE_1)
	s_and_not1_b32 vcc_lo, exec_lo, s0
	s_cbranch_vccnz .LBB21_1990
; %bb.1986:
	v_cmp_lt_i16_e32 vcc_lo, 0, v13
	s_mov_b32 s0, -1
	s_cbranch_vccz .LBB21_1988
; %bb.1987:
	v_cvt_i32_f32_e32 v4, v6
	s_mov_b32 s0, 0
	global_store_b8 v[2:3], v4, off
.LBB21_1988:
	s_and_not1_b32 vcc_lo, exec_lo, s0
	s_cbranch_vccnz .LBB21_1990
; %bb.1989:
	v_trunc_f32_e32 v4, v6
	s_delay_alu instid0(VALU_DEP_1) | instskip(NEXT) | instid1(VALU_DEP_1)
	v_mul_f32_e64 v5, 0x2f800000, |v4|
	v_floor_f32_e32 v5, v5
	s_delay_alu instid0(VALU_DEP_1) | instskip(SKIP_1) | instid1(VALU_DEP_2)
	v_fma_f32 v5, 0xcf800000, v5, |v4|
	v_ashrrev_i32_e32 v4, 31, v4
	v_cvt_u32_f32_e32 v5, v5
	s_delay_alu instid0(VALU_DEP_1) | instskip(NEXT) | instid1(VALU_DEP_1)
	v_xor_b32_e32 v5, v5, v4
	v_sub_nc_u32_e32 v4, v5, v4
	global_store_b8 v[2:3], v4, off
.LBB21_1990:
	s_mov_b32 s3, -1
.LBB21_1991:
	s_delay_alu instid0(SALU_CYCLE_1)
	s_and_not1_b32 vcc_lo, exec_lo, s3
	s_cbranch_vccnz .LBB21_2231
; %bb.1992:
	v_cmp_gt_i16_e32 vcc_lo, 11, v13
	v_add_co_u32 v1, s0, s4, v1
	s_delay_alu instid0(VALU_DEP_1)
	v_add_co_ci_u32_e64 v2, null, s5, 0, s0
	s_mov_b32 s3, 0
	s_mov_b32 s0, -1
	s_cbranch_vccnz .LBB21_2070
; %bb.1993:
	v_cmp_lt_i16_e32 vcc_lo, 25, v13
	s_mov_b32 s6, -1
	s_mov_b32 s1, 0
	s_mov_b32 s0, 0
	s_cbranch_vccz .LBB21_2026
; %bb.1994:
	v_cmp_lt_i16_e32 vcc_lo, 28, v13
	s_cbranch_vccz .LBB21_2009
; %bb.1995:
	v_cmp_lt_i16_e32 vcc_lo, 43, v13
	;; [unrolled: 3-line block ×3, first 2 shown]
	s_cbranch_vccz .LBB21_1999
; %bb.1997:
	v_cmp_eq_u16_e32 vcc_lo, 46, v13
	s_mov_b32 s0, -1
	s_mov_b32 s6, 0
	s_cbranch_vccz .LBB21_1999
; %bb.1998:
	v_bfe_u32 v3, v8, 16, 1
	v_cmp_o_f32_e32 vcc_lo, v8, v8
	s_mov_b32 s0, 0
	s_mov_b32 s3, -1
	s_delay_alu instid0(VALU_DEP_2) | instskip(NEXT) | instid1(VALU_DEP_1)
	v_add3_u32 v3, v8, v3, 0x7fff
	v_lshrrev_b32_e32 v3, 16, v3
	s_delay_alu instid0(VALU_DEP_1)
	v_cndmask_b32_e32 v3, 0x7fc0, v3, vcc_lo
	global_store_b32 v[1:2], v3, off
.LBB21_1999:
	s_and_b32 vcc_lo, exec_lo, s6
	s_cbranch_vccz .LBB21_2004
; %bb.2000:
	v_cmp_eq_u16_e32 vcc_lo, 44, v13
	s_mov_b32 s0, -1
	s_cbranch_vccz .LBB21_2004
; %bb.2001:
	v_bfe_u32 v4, v8, 23, 8
	v_mov_b32_e32 v3, 0xff
	s_mov_b32 s3, exec_lo
	s_delay_alu instid0(VALU_DEP_2)
	v_cmpx_ne_u32_e32 0xff, v4
; %bb.2002:
	v_and_b32_e32 v3, 0x400000, v8
	v_and_or_b32 v4, 0x3fffff, v8, v4
	s_delay_alu instid0(VALU_DEP_2) | instskip(NEXT) | instid1(VALU_DEP_2)
	v_cmp_ne_u32_e32 vcc_lo, 0, v3
	v_cmp_ne_u32_e64 s0, 0, v4
	v_lshrrev_b32_e32 v3, 23, v8
	s_delay_alu instid0(VALU_DEP_2) | instskip(NEXT) | instid1(SALU_CYCLE_1)
	s_and_b32 s0, vcc_lo, s0
	v_cndmask_b32_e64 v4, 0, 1, s0
	s_delay_alu instid0(VALU_DEP_1)
	v_add_nc_u32_e32 v3, v3, v4
; %bb.2003:
	s_or_b32 exec_lo, exec_lo, s3
	s_mov_b32 s0, 0
	s_mov_b32 s3, -1
	global_store_b8 v[1:2], v3, off
.LBB21_2004:
	s_mov_b32 s6, 0
.LBB21_2005:
	s_delay_alu instid0(SALU_CYCLE_1)
	s_and_b32 vcc_lo, exec_lo, s6
	s_cbranch_vccz .LBB21_2008
; %bb.2006:
	v_cmp_eq_u16_e32 vcc_lo, 29, v13
	s_mov_b32 s0, -1
	s_cbranch_vccz .LBB21_2008
; %bb.2007:
	v_trunc_f32_e32 v3, v8
	s_mov_b32 s0, 0
	s_mov_b32 s3, -1
	s_delay_alu instid0(VALU_DEP_1) | instskip(NEXT) | instid1(VALU_DEP_1)
	v_mul_f32_e32 v4, 0x2f800000, v3
	v_floor_f32_e32 v4, v4
	s_delay_alu instid0(VALU_DEP_1) | instskip(SKIP_1) | instid1(VALU_DEP_2)
	v_fmamk_f32 v3, v4, 0xcf800000, v3
	v_cvt_u32_f32_e32 v4, v4
	v_cvt_u32_f32_e32 v3, v3
	global_store_b64 v[1:2], v[3:4], off
.LBB21_2008:
	s_mov_b32 s6, 0
.LBB21_2009:
	s_delay_alu instid0(SALU_CYCLE_1)
	s_and_b32 vcc_lo, exec_lo, s6
	s_cbranch_vccz .LBB21_2025
; %bb.2010:
	v_cmp_gt_i16_e32 vcc_lo, 27, v13
	s_mov_b32 s3, -1
	s_cbranch_vccnz .LBB21_2016
; %bb.2011:
	v_cmp_lt_i16_e32 vcc_lo, 27, v13
	v_cvt_u32_f32_e32 v3, v8
	s_cbranch_vccz .LBB21_2013
; %bb.2012:
	s_mov_b32 s3, 0
	global_store_b32 v[1:2], v3, off
.LBB21_2013:
	s_and_not1_b32 vcc_lo, exec_lo, s3
	s_cbranch_vccnz .LBB21_2015
; %bb.2014:
	global_store_b16 v[1:2], v3, off
.LBB21_2015:
	s_mov_b32 s3, 0
.LBB21_2016:
	s_delay_alu instid0(SALU_CYCLE_1)
	s_and_not1_b32 vcc_lo, exec_lo, s3
	s_cbranch_vccnz .LBB21_2024
; %bb.2017:
	v_and_b32_e32 v3, 0x7fffffff, v8
	v_mov_b32_e32 v4, 0x80
	s_mov_b32 s3, exec_lo
	s_delay_alu instid0(VALU_DEP_2)
	v_cmpx_gt_u32_e32 0x43800000, v3
	s_cbranch_execz .LBB21_2023
; %bb.2018:
	v_cmp_lt_u32_e32 vcc_lo, 0x3bffffff, v3
	s_mov_b32 s6, 0
                                        ; implicit-def: $vgpr3
	s_and_saveexec_b32 s7, vcc_lo
	s_delay_alu instid0(SALU_CYCLE_1)
	s_xor_b32 s7, exec_lo, s7
	s_cbranch_execz .LBB21_2250
; %bb.2019:
	v_bfe_u32 v3, v8, 20, 1
	s_mov_b32 s6, exec_lo
	s_delay_alu instid0(VALU_DEP_1) | instskip(NEXT) | instid1(VALU_DEP_1)
	v_add3_u32 v3, v8, v3, 0x487ffff
	v_lshrrev_b32_e32 v3, 20, v3
	s_or_saveexec_b32 s7, s7
                                        ; implicit-def: $sgpr10
	s_delay_alu instid0(SALU_CYCLE_1)
	s_xor_b32 exec_lo, exec_lo, s7
	s_cbranch_execnz .LBB21_2251
.LBB21_2020:
	s_or_b32 exec_lo, exec_lo, s7
	v_mov_b32_e32 v4, s10
	s_and_saveexec_b32 s7, s6
.LBB21_2021:
	v_lshrrev_b32_e32 v4, 24, v8
	s_delay_alu instid0(VALU_DEP_1)
	v_and_or_b32 v4, 0x80, v4, v3
.LBB21_2022:
	s_or_b32 exec_lo, exec_lo, s7
.LBB21_2023:
	s_delay_alu instid0(SALU_CYCLE_1)
	s_or_b32 exec_lo, exec_lo, s3
	global_store_b8 v[1:2], v4, off
.LBB21_2024:
	s_mov_b32 s3, -1
.LBB21_2025:
	s_mov_b32 s6, 0
.LBB21_2026:
	s_delay_alu instid0(SALU_CYCLE_1)
	s_and_b32 vcc_lo, exec_lo, s6
	s_cbranch_vccz .LBB21_2066
; %bb.2027:
	v_cmp_lt_i16_e32 vcc_lo, 22, v13
	s_mov_b32 s1, -1
	s_cbranch_vccz .LBB21_2059
; %bb.2028:
	v_cmp_gt_i16_e32 vcc_lo, 24, v13
	s_cbranch_vccnz .LBB21_2048
; %bb.2029:
	v_cmp_lt_i16_e32 vcc_lo, 24, v13
	s_cbranch_vccz .LBB21_2037
; %bb.2030:
	v_and_b32_e32 v3, 0x7fffffff, v8
	v_mov_b32_e32 v4, 0x80
	s_mov_b32 s1, exec_lo
	s_delay_alu instid0(VALU_DEP_2)
	v_cmpx_gt_u32_e32 0x47800000, v3
	s_cbranch_execz .LBB21_2036
; %bb.2031:
	v_cmp_lt_u32_e32 vcc_lo, 0x37ffffff, v3
	s_mov_b32 s3, 0
                                        ; implicit-def: $vgpr3
	s_and_saveexec_b32 s6, vcc_lo
	s_delay_alu instid0(SALU_CYCLE_1)
	s_xor_b32 s6, exec_lo, s6
	s_cbranch_execz .LBB21_2256
; %bb.2032:
	v_bfe_u32 v3, v8, 21, 1
	s_mov_b32 s3, exec_lo
	s_delay_alu instid0(VALU_DEP_1) | instskip(NEXT) | instid1(VALU_DEP_1)
	v_add3_u32 v3, v8, v3, 0x88fffff
	v_lshrrev_b32_e32 v3, 21, v3
	s_or_saveexec_b32 s6, s6
                                        ; implicit-def: $sgpr7
	s_delay_alu instid0(SALU_CYCLE_1)
	s_xor_b32 exec_lo, exec_lo, s6
	s_cbranch_execnz .LBB21_2257
.LBB21_2033:
	s_or_b32 exec_lo, exec_lo, s6
	v_mov_b32_e32 v4, s7
	s_and_saveexec_b32 s6, s3
.LBB21_2034:
	v_lshrrev_b32_e32 v4, 24, v8
	s_delay_alu instid0(VALU_DEP_1)
	v_and_or_b32 v4, 0x80, v4, v3
.LBB21_2035:
	s_or_b32 exec_lo, exec_lo, s6
.LBB21_2036:
	s_delay_alu instid0(SALU_CYCLE_1)
	s_or_b32 exec_lo, exec_lo, s1
	s_mov_b32 s1, 0
	global_store_b8 v[1:2], v4, off
.LBB21_2037:
	s_and_b32 vcc_lo, exec_lo, s1
	s_cbranch_vccz .LBB21_2047
; %bb.2038:
	v_and_b32_e32 v4, 0x7fffffff, v8
	s_mov_b32 s1, exec_lo
                                        ; implicit-def: $vgpr3
	s_delay_alu instid0(VALU_DEP_1)
	v_cmpx_gt_u32_e32 0x43f00000, v4
	s_xor_b32 s1, exec_lo, s1
	s_cbranch_execz .LBB21_2044
; %bb.2039:
	s_mov_b32 s3, exec_lo
                                        ; implicit-def: $vgpr3
	v_cmpx_lt_u32_e32 0x3c7fffff, v4
	s_xor_b32 s3, exec_lo, s3
; %bb.2040:
	v_bfe_u32 v3, v8, 20, 1
	s_delay_alu instid0(VALU_DEP_1) | instskip(NEXT) | instid1(VALU_DEP_1)
	v_add3_u32 v3, v8, v3, 0x407ffff
	v_and_b32_e32 v4, 0xff00000, v3
	v_lshrrev_b32_e32 v3, 20, v3
	s_delay_alu instid0(VALU_DEP_2) | instskip(NEXT) | instid1(VALU_DEP_2)
	v_cmp_ne_u32_e32 vcc_lo, 0x7f00000, v4
	v_cndmask_b32_e32 v3, 0x7e, v3, vcc_lo
; %bb.2041:
	s_and_not1_saveexec_b32 s3, s3
; %bb.2042:
	v_add_f32_e64 v3, 0x46800000, |v8|
; %bb.2043:
	s_or_b32 exec_lo, exec_lo, s3
                                        ; implicit-def: $vgpr4
.LBB21_2044:
	s_and_not1_saveexec_b32 s1, s1
; %bb.2045:
	v_mov_b32_e32 v3, 0x7f
	v_cmp_lt_u32_e32 vcc_lo, 0x7f800000, v4
	s_delay_alu instid0(VALU_DEP_2)
	v_cndmask_b32_e32 v3, 0x7e, v3, vcc_lo
; %bb.2046:
	s_or_b32 exec_lo, exec_lo, s1
	v_lshrrev_b32_e32 v4, 24, v8
	s_delay_alu instid0(VALU_DEP_1)
	v_and_or_b32 v3, 0x80, v4, v3
	global_store_b8 v[1:2], v3, off
.LBB21_2047:
	s_mov_b32 s1, 0
.LBB21_2048:
	s_delay_alu instid0(SALU_CYCLE_1)
	s_and_not1_b32 vcc_lo, exec_lo, s1
	s_cbranch_vccnz .LBB21_2058
; %bb.2049:
	v_and_b32_e32 v4, 0x7fffffff, v8
	s_mov_b32 s1, exec_lo
                                        ; implicit-def: $vgpr3
	s_delay_alu instid0(VALU_DEP_1)
	v_cmpx_gt_u32_e32 0x47800000, v4
	s_xor_b32 s1, exec_lo, s1
	s_cbranch_execz .LBB21_2055
; %bb.2050:
	s_mov_b32 s3, exec_lo
                                        ; implicit-def: $vgpr3
	v_cmpx_lt_u32_e32 0x387fffff, v4
	s_xor_b32 s3, exec_lo, s3
; %bb.2051:
	v_bfe_u32 v3, v8, 21, 1
	s_delay_alu instid0(VALU_DEP_1) | instskip(NEXT) | instid1(VALU_DEP_1)
	v_add3_u32 v3, v8, v3, 0x80fffff
	v_lshrrev_b32_e32 v3, 21, v3
; %bb.2052:
	s_and_not1_saveexec_b32 s3, s3
; %bb.2053:
	v_add_f32_e64 v3, 0x43000000, |v8|
; %bb.2054:
	s_or_b32 exec_lo, exec_lo, s3
                                        ; implicit-def: $vgpr4
.LBB21_2055:
	s_and_not1_saveexec_b32 s1, s1
; %bb.2056:
	v_mov_b32_e32 v3, 0x7f
	v_cmp_lt_u32_e32 vcc_lo, 0x7f800000, v4
	s_delay_alu instid0(VALU_DEP_2)
	v_cndmask_b32_e32 v3, 0x7c, v3, vcc_lo
; %bb.2057:
	s_or_b32 exec_lo, exec_lo, s1
	v_lshrrev_b32_e32 v4, 24, v8
	s_delay_alu instid0(VALU_DEP_1)
	v_and_or_b32 v3, 0x80, v4, v3
	global_store_b8 v[1:2], v3, off
.LBB21_2058:
	s_mov_b32 s1, 0
	s_mov_b32 s3, -1
.LBB21_2059:
	s_and_not1_b32 vcc_lo, exec_lo, s1
	s_mov_b32 s1, 0
	s_cbranch_vccnz .LBB21_2066
; %bb.2060:
	v_cmp_lt_i16_e32 vcc_lo, 14, v13
	s_mov_b32 s1, -1
	s_cbranch_vccz .LBB21_2064
; %bb.2061:
	v_cmp_eq_u16_e32 vcc_lo, 15, v13
	s_mov_b32 s0, -1
	s_cbranch_vccz .LBB21_2063
; %bb.2062:
	v_bfe_u32 v3, v8, 16, 1
	v_cmp_o_f32_e32 vcc_lo, v8, v8
	s_mov_b32 s0, 0
	s_mov_b32 s3, -1
	s_delay_alu instid0(VALU_DEP_2) | instskip(NEXT) | instid1(VALU_DEP_1)
	v_add3_u32 v3, v8, v3, 0x7fff
	v_lshrrev_b32_e32 v3, 16, v3
	s_delay_alu instid0(VALU_DEP_1)
	v_cndmask_b32_e32 v3, 0x7fc0, v3, vcc_lo
	global_store_b16 v[1:2], v3, off
.LBB21_2063:
	s_mov_b32 s1, 0
.LBB21_2064:
	s_delay_alu instid0(SALU_CYCLE_1)
	s_and_b32 vcc_lo, exec_lo, s1
	s_mov_b32 s1, 0
	s_cbranch_vccz .LBB21_2066
; %bb.2065:
	v_cmp_ne_u16_e64 s0, 11, v13
	s_mov_b32 s1, -1
.LBB21_2066:
	s_delay_alu instid0(VALU_DEP_1)
	s_and_b32 vcc_lo, exec_lo, s0
	s_cbranch_vccnz .LBB21_2254
; %bb.2067:
	s_and_not1_b32 vcc_lo, exec_lo, s1
	s_cbranch_vccnz .LBB21_2069
.LBB21_2068:
	v_cmp_neq_f32_e32 vcc_lo, 0, v8
	s_mov_b32 s3, -1
	v_cndmask_b32_e64 v3, 0, 1, vcc_lo
	global_store_b8 v[1:2], v3, off
.LBB21_2069:
	s_mov_b32 s0, 0
.LBB21_2070:
	s_delay_alu instid0(SALU_CYCLE_1)
	s_and_b32 vcc_lo, exec_lo, s0
	s_cbranch_vccz .LBB21_2109
; %bb.2071:
	v_cmp_gt_i16_e32 vcc_lo, 5, v13
	s_mov_b32 s0, -1
	s_cbranch_vccnz .LBB21_2092
; %bb.2072:
	v_cmp_gt_i16_e32 vcc_lo, 8, v13
	s_cbranch_vccnz .LBB21_2082
; %bb.2073:
	v_cmp_gt_i16_e32 vcc_lo, 9, v13
	s_cbranch_vccnz .LBB21_2079
; %bb.2074:
	v_cmp_lt_i16_e32 vcc_lo, 9, v13
	s_cbranch_vccz .LBB21_2076
; %bb.2075:
	v_cvt_f64_f32_e32 v[3:4], v8
	v_mov_b32_e32 v5, 0
	s_mov_b32 s0, 0
	s_delay_alu instid0(VALU_DEP_1)
	v_mov_b32_e32 v6, v5
	global_store_b128 v[1:2], v[3:6], off
.LBB21_2076:
	s_and_not1_b32 vcc_lo, exec_lo, s0
	s_cbranch_vccnz .LBB21_2078
; %bb.2077:
	v_mov_b32_e32 v9, 0
	global_store_b64 v[1:2], v[8:9], off
.LBB21_2078:
	s_mov_b32 s0, 0
.LBB21_2079:
	s_delay_alu instid0(SALU_CYCLE_1)
	s_and_not1_b32 vcc_lo, exec_lo, s0
	s_cbranch_vccnz .LBB21_2081
; %bb.2080:
	v_cvt_f16_f32_e32 v3, v8
	s_delay_alu instid0(VALU_DEP_1)
	v_and_b32_e32 v3, 0xffff, v3
	global_store_b32 v[1:2], v3, off
.LBB21_2081:
	s_mov_b32 s0, 0
.LBB21_2082:
	s_delay_alu instid0(SALU_CYCLE_1)
	s_and_not1_b32 vcc_lo, exec_lo, s0
	s_cbranch_vccnz .LBB21_2091
; %bb.2083:
	v_cmp_gt_i16_e32 vcc_lo, 6, v13
	s_mov_b32 s0, -1
	s_cbranch_vccnz .LBB21_2089
; %bb.2084:
	v_cmp_lt_i16_e32 vcc_lo, 6, v13
	s_cbranch_vccz .LBB21_2086
; %bb.2085:
	v_cvt_f64_f32_e32 v[3:4], v8
	s_mov_b32 s0, 0
	global_store_b64 v[1:2], v[3:4], off
.LBB21_2086:
	s_and_not1_b32 vcc_lo, exec_lo, s0
	s_cbranch_vccnz .LBB21_2088
; %bb.2087:
	global_store_b32 v[1:2], v8, off
.LBB21_2088:
	s_mov_b32 s0, 0
.LBB21_2089:
	s_delay_alu instid0(SALU_CYCLE_1)
	s_and_not1_b32 vcc_lo, exec_lo, s0
	s_cbranch_vccnz .LBB21_2091
; %bb.2090:
	v_cvt_f16_f32_e32 v3, v8
	global_store_b16 v[1:2], v3, off
.LBB21_2091:
	s_mov_b32 s0, 0
.LBB21_2092:
	s_delay_alu instid0(SALU_CYCLE_1)
	s_and_not1_b32 vcc_lo, exec_lo, s0
	s_cbranch_vccnz .LBB21_2108
; %bb.2093:
	v_cmp_gt_i16_e32 vcc_lo, 2, v13
	s_mov_b32 s0, -1
	s_cbranch_vccnz .LBB21_2103
; %bb.2094:
	v_cmp_gt_i16_e32 vcc_lo, 3, v13
	s_cbranch_vccnz .LBB21_2100
; %bb.2095:
	v_cmp_lt_i16_e32 vcc_lo, 3, v13
	s_cbranch_vccz .LBB21_2097
; %bb.2096:
	v_trunc_f32_e32 v3, v8
	s_mov_b32 s0, 0
	s_delay_alu instid0(VALU_DEP_1) | instskip(SKIP_1) | instid1(VALU_DEP_2)
	v_mul_f32_e64 v4, 0x2f800000, |v3|
	v_ashrrev_i32_e32 v6, 31, v3
	v_floor_f32_e32 v4, v4
	s_delay_alu instid0(VALU_DEP_1) | instskip(SKIP_1) | instid1(VALU_DEP_2)
	v_fma_f32 v5, 0xcf800000, v4, |v3|
	v_cvt_u32_f32_e32 v4, v4
	v_cvt_u32_f32_e32 v3, v5
	s_delay_alu instid0(VALU_DEP_2) | instskip(NEXT) | instid1(VALU_DEP_2)
	v_xor_b32_e32 v4, v4, v6
	v_xor_b32_e32 v3, v3, v6
	s_delay_alu instid0(VALU_DEP_1) | instskip(NEXT) | instid1(VALU_DEP_3)
	v_sub_co_u32 v3, vcc_lo, v3, v6
	v_sub_co_ci_u32_e32 v4, vcc_lo, v4, v6, vcc_lo
	global_store_b64 v[1:2], v[3:4], off
.LBB21_2097:
	s_and_not1_b32 vcc_lo, exec_lo, s0
	s_cbranch_vccnz .LBB21_2099
; %bb.2098:
	v_cvt_i32_f32_e32 v3, v8
	global_store_b32 v[1:2], v3, off
.LBB21_2099:
	s_mov_b32 s0, 0
.LBB21_2100:
	s_delay_alu instid0(SALU_CYCLE_1)
	s_and_not1_b32 vcc_lo, exec_lo, s0
	s_cbranch_vccnz .LBB21_2102
; %bb.2101:
	v_cvt_i32_f32_e32 v3, v8
	global_store_b16 v[1:2], v3, off
.LBB21_2102:
	s_mov_b32 s0, 0
.LBB21_2103:
	s_delay_alu instid0(SALU_CYCLE_1)
	s_and_not1_b32 vcc_lo, exec_lo, s0
	s_cbranch_vccnz .LBB21_2108
; %bb.2104:
	v_cmp_lt_i16_e32 vcc_lo, 0, v13
	s_mov_b32 s0, -1
	s_cbranch_vccz .LBB21_2106
; %bb.2105:
	v_cvt_i32_f32_e32 v3, v8
	s_mov_b32 s0, 0
	global_store_b8 v[1:2], v3, off
.LBB21_2106:
	s_and_not1_b32 vcc_lo, exec_lo, s0
	s_cbranch_vccnz .LBB21_2108
; %bb.2107:
	v_trunc_f32_e32 v3, v8
	s_delay_alu instid0(VALU_DEP_1) | instskip(NEXT) | instid1(VALU_DEP_1)
	v_mul_f32_e64 v4, 0x2f800000, |v3|
	v_floor_f32_e32 v4, v4
	s_delay_alu instid0(VALU_DEP_1) | instskip(SKIP_1) | instid1(VALU_DEP_2)
	v_fma_f32 v4, 0xcf800000, v4, |v3|
	v_ashrrev_i32_e32 v3, 31, v3
	v_cvt_u32_f32_e32 v4, v4
	s_delay_alu instid0(VALU_DEP_1) | instskip(NEXT) | instid1(VALU_DEP_1)
	v_xor_b32_e32 v4, v4, v3
	v_sub_nc_u32_e32 v3, v4, v3
	global_store_b8 v[1:2], v3, off
.LBB21_2108:
	s_mov_b32 s3, -1
.LBB21_2109:
	s_delay_alu instid0(SALU_CYCLE_1)
	s_and_not1_b32 vcc_lo, exec_lo, s3
	s_cbranch_vccnz .LBB21_2231
; %bb.2110:
	v_cmp_gt_i16_e32 vcc_lo, 11, v13
	v_add_co_u32 v0, s0, s4, v0
	s_delay_alu instid0(VALU_DEP_1)
	v_add_co_ci_u32_e64 v1, null, s5, 0, s0
	s_mov_b32 s1, 0
	s_mov_b32 s0, -1
	s_cbranch_vccnz .LBB21_2187
; %bb.2111:
	v_cmp_lt_i16_e32 vcc_lo, 25, v13
	s_mov_b32 s3, -1
	s_mov_b32 s0, 0
	s_cbranch_vccz .LBB21_2144
; %bb.2112:
	v_cmp_lt_i16_e32 vcc_lo, 28, v13
	s_cbranch_vccz .LBB21_2128
; %bb.2113:
	v_cmp_lt_i16_e32 vcc_lo, 43, v13
	;; [unrolled: 3-line block ×3, first 2 shown]
	s_cbranch_vccz .LBB21_2118
; %bb.2115:
	v_cmp_eq_u16_e32 vcc_lo, 46, v13
	s_mov_b32 s0, -1
	s_cbranch_vccz .LBB21_2117
; %bb.2116:
	v_bfe_u32 v2, v10, 16, 1
	v_cmp_o_f32_e32 vcc_lo, v10, v10
	s_mov_b32 s0, 0
	s_delay_alu instid0(VALU_DEP_2) | instskip(NEXT) | instid1(VALU_DEP_1)
	v_add3_u32 v2, v10, v2, 0x7fff
	v_lshrrev_b32_e32 v2, 16, v2
	s_delay_alu instid0(VALU_DEP_1)
	v_cndmask_b32_e32 v2, 0x7fc0, v2, vcc_lo
	global_store_b32 v[0:1], v2, off
.LBB21_2117:
	s_mov_b32 s3, 0
.LBB21_2118:
	s_delay_alu instid0(SALU_CYCLE_1)
	s_and_b32 vcc_lo, exec_lo, s3
	s_cbranch_vccz .LBB21_2123
; %bb.2119:
	v_cmp_eq_u16_e32 vcc_lo, 44, v13
	s_mov_b32 s0, -1
	s_cbranch_vccz .LBB21_2123
; %bb.2120:
	v_bfe_u32 v3, v10, 23, 8
	v_mov_b32_e32 v2, 0xff
	s_mov_b32 s3, exec_lo
	s_delay_alu instid0(VALU_DEP_2)
	v_cmpx_ne_u32_e32 0xff, v3
; %bb.2121:
	v_and_b32_e32 v2, 0x400000, v10
	v_and_or_b32 v3, 0x3fffff, v10, v3
	s_delay_alu instid0(VALU_DEP_2) | instskip(NEXT) | instid1(VALU_DEP_2)
	v_cmp_ne_u32_e32 vcc_lo, 0, v2
	v_cmp_ne_u32_e64 s0, 0, v3
	v_lshrrev_b32_e32 v2, 23, v10
	s_delay_alu instid0(VALU_DEP_2) | instskip(NEXT) | instid1(SALU_CYCLE_1)
	s_and_b32 s0, vcc_lo, s0
	v_cndmask_b32_e64 v3, 0, 1, s0
	s_delay_alu instid0(VALU_DEP_1)
	v_add_nc_u32_e32 v2, v2, v3
; %bb.2122:
	s_or_b32 exec_lo, exec_lo, s3
	s_mov_b32 s0, 0
	global_store_b8 v[0:1], v2, off
.LBB21_2123:
	s_mov_b32 s3, 0
.LBB21_2124:
	s_delay_alu instid0(SALU_CYCLE_1)
	s_and_b32 vcc_lo, exec_lo, s3
	s_cbranch_vccz .LBB21_2127
; %bb.2125:
	v_cmp_eq_u16_e32 vcc_lo, 29, v13
	s_mov_b32 s0, -1
	s_cbranch_vccz .LBB21_2127
; %bb.2126:
	v_trunc_f32_e32 v2, v10
	s_mov_b32 s0, 0
	s_delay_alu instid0(VALU_DEP_1) | instskip(NEXT) | instid1(VALU_DEP_1)
	v_mul_f32_e32 v3, 0x2f800000, v2
	v_floor_f32_e32 v3, v3
	s_delay_alu instid0(VALU_DEP_1) | instskip(SKIP_1) | instid1(VALU_DEP_2)
	v_fmamk_f32 v2, v3, 0xcf800000, v2
	v_cvt_u32_f32_e32 v3, v3
	v_cvt_u32_f32_e32 v2, v2
	global_store_b64 v[0:1], v[2:3], off
.LBB21_2127:
	s_mov_b32 s3, 0
.LBB21_2128:
	s_delay_alu instid0(SALU_CYCLE_1)
	s_and_b32 vcc_lo, exec_lo, s3
	s_cbranch_vccz .LBB21_2143
; %bb.2129:
	v_cmp_gt_i16_e32 vcc_lo, 27, v13
	s_mov_b32 s3, -1
	s_cbranch_vccnz .LBB21_2135
; %bb.2130:
	v_cmp_lt_i16_e32 vcc_lo, 27, v13
	v_cvt_u32_f32_e32 v2, v10
	s_cbranch_vccz .LBB21_2132
; %bb.2131:
	s_mov_b32 s3, 0
	global_store_b32 v[0:1], v2, off
.LBB21_2132:
	s_and_not1_b32 vcc_lo, exec_lo, s3
	s_cbranch_vccnz .LBB21_2134
; %bb.2133:
	global_store_b16 v[0:1], v2, off
.LBB21_2134:
	s_mov_b32 s3, 0
.LBB21_2135:
	s_delay_alu instid0(SALU_CYCLE_1)
	s_and_not1_b32 vcc_lo, exec_lo, s3
	s_cbranch_vccnz .LBB21_2143
; %bb.2136:
	v_and_b32_e32 v2, 0x7fffffff, v10
	v_mov_b32_e32 v3, 0x80
	s_mov_b32 s3, exec_lo
	s_delay_alu instid0(VALU_DEP_2)
	v_cmpx_gt_u32_e32 0x43800000, v2
	s_cbranch_execz .LBB21_2142
; %bb.2137:
	v_cmp_lt_u32_e32 vcc_lo, 0x3bffffff, v2
	s_mov_b32 s4, 0
                                        ; implicit-def: $vgpr2
	s_and_saveexec_b32 s5, vcc_lo
	s_delay_alu instid0(SALU_CYCLE_1)
	s_xor_b32 s5, exec_lo, s5
	s_cbranch_execz .LBB21_2258
; %bb.2138:
	v_bfe_u32 v2, v10, 20, 1
	s_mov_b32 s4, exec_lo
	s_delay_alu instid0(VALU_DEP_1) | instskip(NEXT) | instid1(VALU_DEP_1)
	v_add3_u32 v2, v10, v2, 0x487ffff
	v_lshrrev_b32_e32 v2, 20, v2
	s_or_saveexec_b32 s5, s5
                                        ; implicit-def: $sgpr6
	s_delay_alu instid0(SALU_CYCLE_1)
	s_xor_b32 exec_lo, exec_lo, s5
	s_cbranch_execnz .LBB21_2259
.LBB21_2139:
	s_or_b32 exec_lo, exec_lo, s5
	v_mov_b32_e32 v3, s6
	s_and_saveexec_b32 s5, s4
.LBB21_2140:
	v_lshrrev_b32_e32 v3, 24, v10
	s_delay_alu instid0(VALU_DEP_1)
	v_and_or_b32 v3, 0x80, v3, v2
.LBB21_2141:
	s_or_b32 exec_lo, exec_lo, s5
.LBB21_2142:
	s_delay_alu instid0(SALU_CYCLE_1)
	s_or_b32 exec_lo, exec_lo, s3
	global_store_b8 v[0:1], v3, off
.LBB21_2143:
	s_mov_b32 s3, 0
.LBB21_2144:
	s_delay_alu instid0(SALU_CYCLE_1)
	s_and_b32 vcc_lo, exec_lo, s3
	s_cbranch_vccz .LBB21_2184
; %bb.2145:
	v_cmp_lt_i16_e32 vcc_lo, 22, v13
	s_mov_b32 s1, -1
	s_cbranch_vccz .LBB21_2177
; %bb.2146:
	v_cmp_gt_i16_e32 vcc_lo, 24, v13
	s_cbranch_vccnz .LBB21_2166
; %bb.2147:
	v_cmp_lt_i16_e32 vcc_lo, 24, v13
	s_cbranch_vccz .LBB21_2155
; %bb.2148:
	v_and_b32_e32 v2, 0x7fffffff, v10
	v_mov_b32_e32 v3, 0x80
	s_mov_b32 s1, exec_lo
	s_delay_alu instid0(VALU_DEP_2)
	v_cmpx_gt_u32_e32 0x47800000, v2
	s_cbranch_execz .LBB21_2154
; %bb.2149:
	v_cmp_lt_u32_e32 vcc_lo, 0x37ffffff, v2
	s_mov_b32 s3, 0
                                        ; implicit-def: $vgpr2
	s_and_saveexec_b32 s4, vcc_lo
	s_delay_alu instid0(SALU_CYCLE_1)
	s_xor_b32 s4, exec_lo, s4
	s_cbranch_execz .LBB21_2264
; %bb.2150:
	v_bfe_u32 v2, v10, 21, 1
	s_mov_b32 s3, exec_lo
	s_delay_alu instid0(VALU_DEP_1) | instskip(NEXT) | instid1(VALU_DEP_1)
	v_add3_u32 v2, v10, v2, 0x88fffff
	v_lshrrev_b32_e32 v2, 21, v2
	s_or_saveexec_b32 s4, s4
                                        ; implicit-def: $sgpr5
	s_delay_alu instid0(SALU_CYCLE_1)
	s_xor_b32 exec_lo, exec_lo, s4
	s_cbranch_execnz .LBB21_2265
.LBB21_2151:
	s_or_b32 exec_lo, exec_lo, s4
	v_mov_b32_e32 v3, s5
	s_and_saveexec_b32 s4, s3
.LBB21_2152:
	v_lshrrev_b32_e32 v3, 24, v10
	s_delay_alu instid0(VALU_DEP_1)
	v_and_or_b32 v3, 0x80, v3, v2
.LBB21_2153:
	s_or_b32 exec_lo, exec_lo, s4
.LBB21_2154:
	s_delay_alu instid0(SALU_CYCLE_1)
	s_or_b32 exec_lo, exec_lo, s1
	s_mov_b32 s1, 0
	global_store_b8 v[0:1], v3, off
.LBB21_2155:
	s_and_b32 vcc_lo, exec_lo, s1
	s_cbranch_vccz .LBB21_2165
; %bb.2156:
	v_and_b32_e32 v3, 0x7fffffff, v10
	s_mov_b32 s1, exec_lo
                                        ; implicit-def: $vgpr2
	s_delay_alu instid0(VALU_DEP_1)
	v_cmpx_gt_u32_e32 0x43f00000, v3
	s_xor_b32 s1, exec_lo, s1
	s_cbranch_execz .LBB21_2162
; %bb.2157:
	s_mov_b32 s3, exec_lo
                                        ; implicit-def: $vgpr2
	v_cmpx_lt_u32_e32 0x3c7fffff, v3
	s_xor_b32 s3, exec_lo, s3
; %bb.2158:
	v_bfe_u32 v2, v10, 20, 1
	s_delay_alu instid0(VALU_DEP_1) | instskip(NEXT) | instid1(VALU_DEP_1)
	v_add3_u32 v2, v10, v2, 0x407ffff
	v_and_b32_e32 v3, 0xff00000, v2
	v_lshrrev_b32_e32 v2, 20, v2
	s_delay_alu instid0(VALU_DEP_2) | instskip(NEXT) | instid1(VALU_DEP_2)
	v_cmp_ne_u32_e32 vcc_lo, 0x7f00000, v3
	v_cndmask_b32_e32 v2, 0x7e, v2, vcc_lo
; %bb.2159:
	s_and_not1_saveexec_b32 s3, s3
; %bb.2160:
	v_add_f32_e64 v2, 0x46800000, |v10|
; %bb.2161:
	s_or_b32 exec_lo, exec_lo, s3
                                        ; implicit-def: $vgpr3
.LBB21_2162:
	s_and_not1_saveexec_b32 s1, s1
; %bb.2163:
	v_mov_b32_e32 v2, 0x7f
	v_cmp_lt_u32_e32 vcc_lo, 0x7f800000, v3
	s_delay_alu instid0(VALU_DEP_2)
	v_cndmask_b32_e32 v2, 0x7e, v2, vcc_lo
; %bb.2164:
	s_or_b32 exec_lo, exec_lo, s1
	v_lshrrev_b32_e32 v3, 24, v10
	s_delay_alu instid0(VALU_DEP_1)
	v_and_or_b32 v2, 0x80, v3, v2
	global_store_b8 v[0:1], v2, off
.LBB21_2165:
	s_mov_b32 s1, 0
.LBB21_2166:
	s_delay_alu instid0(SALU_CYCLE_1)
	s_and_not1_b32 vcc_lo, exec_lo, s1
	s_cbranch_vccnz .LBB21_2176
; %bb.2167:
	v_and_b32_e32 v3, 0x7fffffff, v10
	s_mov_b32 s1, exec_lo
                                        ; implicit-def: $vgpr2
	s_delay_alu instid0(VALU_DEP_1)
	v_cmpx_gt_u32_e32 0x47800000, v3
	s_xor_b32 s1, exec_lo, s1
	s_cbranch_execz .LBB21_2173
; %bb.2168:
	s_mov_b32 s3, exec_lo
                                        ; implicit-def: $vgpr2
	v_cmpx_lt_u32_e32 0x387fffff, v3
	s_xor_b32 s3, exec_lo, s3
; %bb.2169:
	v_bfe_u32 v2, v10, 21, 1
	s_delay_alu instid0(VALU_DEP_1) | instskip(NEXT) | instid1(VALU_DEP_1)
	v_add3_u32 v2, v10, v2, 0x80fffff
	v_lshrrev_b32_e32 v2, 21, v2
; %bb.2170:
	s_and_not1_saveexec_b32 s3, s3
; %bb.2171:
	v_add_f32_e64 v2, 0x43000000, |v10|
; %bb.2172:
	s_or_b32 exec_lo, exec_lo, s3
                                        ; implicit-def: $vgpr3
.LBB21_2173:
	s_and_not1_saveexec_b32 s1, s1
; %bb.2174:
	v_mov_b32_e32 v2, 0x7f
	v_cmp_lt_u32_e32 vcc_lo, 0x7f800000, v3
	s_delay_alu instid0(VALU_DEP_2)
	v_cndmask_b32_e32 v2, 0x7c, v2, vcc_lo
; %bb.2175:
	s_or_b32 exec_lo, exec_lo, s1
	v_lshrrev_b32_e32 v3, 24, v10
	s_delay_alu instid0(VALU_DEP_1)
	v_and_or_b32 v2, 0x80, v3, v2
	global_store_b8 v[0:1], v2, off
.LBB21_2176:
	s_mov_b32 s1, 0
.LBB21_2177:
	s_delay_alu instid0(SALU_CYCLE_1)
	s_and_not1_b32 vcc_lo, exec_lo, s1
	s_mov_b32 s1, 0
	s_cbranch_vccnz .LBB21_2184
; %bb.2178:
	v_cmp_lt_i16_e32 vcc_lo, 14, v13
	s_mov_b32 s1, -1
	s_cbranch_vccz .LBB21_2182
; %bb.2179:
	v_cmp_eq_u16_e32 vcc_lo, 15, v13
	s_mov_b32 s0, -1
	s_cbranch_vccz .LBB21_2181
; %bb.2180:
	v_bfe_u32 v2, v10, 16, 1
	v_cmp_o_f32_e32 vcc_lo, v10, v10
	s_mov_b32 s0, 0
	s_delay_alu instid0(VALU_DEP_2) | instskip(NEXT) | instid1(VALU_DEP_1)
	v_add3_u32 v2, v10, v2, 0x7fff
	v_lshrrev_b32_e32 v2, 16, v2
	s_delay_alu instid0(VALU_DEP_1)
	v_cndmask_b32_e32 v2, 0x7fc0, v2, vcc_lo
	global_store_b16 v[0:1], v2, off
.LBB21_2181:
	s_mov_b32 s1, 0
.LBB21_2182:
	s_delay_alu instid0(SALU_CYCLE_1)
	s_and_b32 vcc_lo, exec_lo, s1
	s_mov_b32 s1, 0
	s_cbranch_vccz .LBB21_2184
; %bb.2183:
	v_cmp_ne_u16_e64 s0, 11, v13
	s_mov_b32 s1, -1
.LBB21_2184:
	s_delay_alu instid0(VALU_DEP_1)
	s_and_b32 vcc_lo, exec_lo, s0
	s_cbranch_vccnz .LBB21_2262
.LBB21_2185:
	s_mov_b32 s0, 0
	s_branch .LBB21_2187
.LBB21_2186:
	s_mov_b32 s0, 0
	s_mov_b32 s1, 0
                                        ; implicit-def: $vgpr0_vgpr1
                                        ; implicit-def: $vgpr13
                                        ; implicit-def: $vgpr10
.LBB21_2187:
	s_and_b32 s3, s0, exec_lo
	s_and_not1_b32 s0, s8, exec_lo
	s_and_b32 s2, s2, exec_lo
	s_and_b32 s26, s1, exec_lo
	s_or_b32 s8, s0, s2
.LBB21_2188:
	s_or_b32 exec_lo, exec_lo, s9
	s_and_saveexec_b32 s0, s8
	s_cbranch_execz .LBB21_2191
; %bb.2189:
	; divergent unreachable
	s_or_b32 exec_lo, exec_lo, s0
	s_and_saveexec_b32 s0, s26
	s_delay_alu instid0(SALU_CYCLE_1)
	s_xor_b32 s0, exec_lo, s0
	s_cbranch_execnz .LBB21_2192
.LBB21_2190:
	s_or_b32 exec_lo, exec_lo, s0
	s_and_saveexec_b32 s0, s3
	s_cbranch_execnz .LBB21_2193
	s_branch .LBB21_2230
.LBB21_2191:
	s_or_b32 exec_lo, exec_lo, s0
	s_and_saveexec_b32 s0, s26
	s_delay_alu instid0(SALU_CYCLE_1)
	s_xor_b32 s0, exec_lo, s0
	s_cbranch_execz .LBB21_2190
.LBB21_2192:
	s_waitcnt vmcnt(0)
	v_cmp_neq_f32_e32 vcc_lo, 0, v10
	v_cndmask_b32_e64 v2, 0, 1, vcc_lo
	global_store_b8 v[0:1], v2, off
	s_or_b32 exec_lo, exec_lo, s0
	s_and_saveexec_b32 s0, s3
	s_cbranch_execz .LBB21_2230
.LBB21_2193:
	v_cmp_gt_i16_e32 vcc_lo, 5, v13
	s_mov_b32 s0, -1
	s_cbranch_vccnz .LBB21_2214
; %bb.2194:
	v_cmp_gt_i16_e32 vcc_lo, 8, v13
	s_cbranch_vccnz .LBB21_2204
; %bb.2195:
	v_cmp_gt_i16_e32 vcc_lo, 9, v13
	s_cbranch_vccnz .LBB21_2201
; %bb.2196:
	v_cmp_lt_i16_e32 vcc_lo, 9, v13
	s_cbranch_vccz .LBB21_2198
; %bb.2197:
	s_waitcnt vmcnt(0)
	v_cvt_f64_f32_e32 v[2:3], v10
	v_mov_b32_e32 v4, 0
	s_mov_b32 s0, 0
	s_delay_alu instid0(VALU_DEP_1)
	v_mov_b32_e32 v5, v4
	global_store_b128 v[0:1], v[2:5], off
.LBB21_2198:
	s_and_not1_b32 vcc_lo, exec_lo, s0
	s_cbranch_vccnz .LBB21_2200
; %bb.2199:
	v_mov_b32_e32 v11, 0
	s_waitcnt vmcnt(0)
	global_store_b64 v[0:1], v[10:11], off
.LBB21_2200:
	s_mov_b32 s0, 0
.LBB21_2201:
	s_delay_alu instid0(SALU_CYCLE_1)
	s_and_not1_b32 vcc_lo, exec_lo, s0
	s_cbranch_vccnz .LBB21_2203
; %bb.2202:
	s_waitcnt vmcnt(0)
	v_cvt_f16_f32_e32 v2, v10
	s_delay_alu instid0(VALU_DEP_1)
	v_and_b32_e32 v2, 0xffff, v2
	global_store_b32 v[0:1], v2, off
.LBB21_2203:
	s_mov_b32 s0, 0
.LBB21_2204:
	s_delay_alu instid0(SALU_CYCLE_1)
	s_and_not1_b32 vcc_lo, exec_lo, s0
	s_cbranch_vccnz .LBB21_2213
; %bb.2205:
	v_cmp_gt_i16_e32 vcc_lo, 6, v13
	s_mov_b32 s0, -1
	s_cbranch_vccnz .LBB21_2211
; %bb.2206:
	v_cmp_lt_i16_e32 vcc_lo, 6, v13
	s_cbranch_vccz .LBB21_2208
; %bb.2207:
	s_waitcnt vmcnt(0)
	v_cvt_f64_f32_e32 v[2:3], v10
	s_mov_b32 s0, 0
	global_store_b64 v[0:1], v[2:3], off
.LBB21_2208:
	s_and_not1_b32 vcc_lo, exec_lo, s0
	s_cbranch_vccnz .LBB21_2210
; %bb.2209:
	s_waitcnt vmcnt(0)
	global_store_b32 v[0:1], v10, off
.LBB21_2210:
	s_mov_b32 s0, 0
.LBB21_2211:
	s_delay_alu instid0(SALU_CYCLE_1)
	s_and_not1_b32 vcc_lo, exec_lo, s0
	s_cbranch_vccnz .LBB21_2213
; %bb.2212:
	s_waitcnt vmcnt(0)
	v_cvt_f16_f32_e32 v2, v10
	global_store_b16 v[0:1], v2, off
.LBB21_2213:
	s_mov_b32 s0, 0
.LBB21_2214:
	s_delay_alu instid0(SALU_CYCLE_1)
	s_and_not1_b32 vcc_lo, exec_lo, s0
	s_cbranch_vccnz .LBB21_2230
; %bb.2215:
	v_cmp_gt_i16_e32 vcc_lo, 2, v13
	s_mov_b32 s0, -1
	s_cbranch_vccnz .LBB21_2225
; %bb.2216:
	v_cmp_gt_i16_e32 vcc_lo, 3, v13
	s_cbranch_vccnz .LBB21_2222
; %bb.2217:
	v_cmp_lt_i16_e32 vcc_lo, 3, v13
	s_cbranch_vccz .LBB21_2219
; %bb.2218:
	s_waitcnt vmcnt(0)
	v_trunc_f32_e32 v2, v10
	s_mov_b32 s0, 0
	s_delay_alu instid0(VALU_DEP_1) | instskip(SKIP_1) | instid1(VALU_DEP_2)
	v_mul_f32_e64 v3, 0x2f800000, |v2|
	v_ashrrev_i32_e32 v5, 31, v2
	v_floor_f32_e32 v3, v3
	s_delay_alu instid0(VALU_DEP_1) | instskip(SKIP_1) | instid1(VALU_DEP_2)
	v_fma_f32 v4, 0xcf800000, v3, |v2|
	v_cvt_u32_f32_e32 v3, v3
	v_cvt_u32_f32_e32 v2, v4
	s_delay_alu instid0(VALU_DEP_2) | instskip(NEXT) | instid1(VALU_DEP_2)
	v_xor_b32_e32 v3, v3, v5
	v_xor_b32_e32 v2, v2, v5
	s_delay_alu instid0(VALU_DEP_1) | instskip(NEXT) | instid1(VALU_DEP_3)
	v_sub_co_u32 v2, vcc_lo, v2, v5
	v_sub_co_ci_u32_e32 v3, vcc_lo, v3, v5, vcc_lo
	global_store_b64 v[0:1], v[2:3], off
.LBB21_2219:
	s_and_not1_b32 vcc_lo, exec_lo, s0
	s_cbranch_vccnz .LBB21_2221
; %bb.2220:
	s_waitcnt vmcnt(0)
	v_cvt_i32_f32_e32 v2, v10
	global_store_b32 v[0:1], v2, off
.LBB21_2221:
	s_mov_b32 s0, 0
.LBB21_2222:
	s_delay_alu instid0(SALU_CYCLE_1)
	s_and_not1_b32 vcc_lo, exec_lo, s0
	s_cbranch_vccnz .LBB21_2224
; %bb.2223:
	s_waitcnt vmcnt(0)
	v_cvt_i32_f32_e32 v2, v10
	global_store_b16 v[0:1], v2, off
.LBB21_2224:
	s_mov_b32 s0, 0
.LBB21_2225:
	s_delay_alu instid0(SALU_CYCLE_1)
	s_and_not1_b32 vcc_lo, exec_lo, s0
	s_cbranch_vccnz .LBB21_2230
; %bb.2226:
	v_cmp_lt_i16_e32 vcc_lo, 0, v13
	s_mov_b32 s0, -1
	s_cbranch_vccz .LBB21_2228
; %bb.2227:
	s_waitcnt vmcnt(0)
	v_cvt_i32_f32_e32 v2, v10
	s_mov_b32 s0, 0
	global_store_b8 v[0:1], v2, off
.LBB21_2228:
	s_and_not1_b32 vcc_lo, exec_lo, s0
	s_cbranch_vccnz .LBB21_2230
; %bb.2229:
	s_waitcnt vmcnt(0)
	v_trunc_f32_e32 v2, v10
	s_delay_alu instid0(VALU_DEP_1) | instskip(NEXT) | instid1(VALU_DEP_1)
	v_mul_f32_e64 v3, 0x2f800000, |v2|
	v_floor_f32_e32 v3, v3
	s_delay_alu instid0(VALU_DEP_1) | instskip(SKIP_1) | instid1(VALU_DEP_2)
	v_fma_f32 v3, 0xcf800000, v3, |v2|
	v_ashrrev_i32_e32 v2, 31, v2
	v_cvt_u32_f32_e32 v3, v3
	s_delay_alu instid0(VALU_DEP_1) | instskip(NEXT) | instid1(VALU_DEP_1)
	v_xor_b32_e32 v3, v3, v2
	v_sub_nc_u32_e32 v2, v3, v2
	global_store_b8 v[0:1], v2, off
	s_nop 0
	s_sendmsg sendmsg(MSG_DEALLOC_VGPRS)
	s_endpgm
.LBB21_2230:
	s_nop 0
	s_sendmsg sendmsg(MSG_DEALLOC_VGPRS)
	s_endpgm
.LBB21_2231:
	s_mov_b32 s0, 0
	s_mov_b32 s1, 0
                                        ; implicit-def: $vgpr0_vgpr1
                                        ; implicit-def: $vgpr13
	s_branch .LBB21_2187
.LBB21_2232:
	s_cbranch_execnz .LBB21_2236
; %bb.2233:
	s_or_b32 s2, s2, exec_lo
                                        ; implicit-def: $vgpr5
	s_cbranch_execz .LBB21_1692
	s_branch .LBB21_1693
.LBB21_2234:
	s_or_saveexec_b32 s7, s7
                                        ; implicit-def: $sgpr10
	s_delay_alu instid0(SALU_CYCLE_1)
	s_xor_b32 exec_lo, exec_lo, s7
	s_cbranch_execz .LBB21_1784
.LBB21_2235:
	v_add_f32_e64 v3, 0x46000000, |v4|
	s_and_not1_b32 s6, s6, exec_lo
	s_mov_b32 s10, 0
	s_delay_alu instid0(VALU_DEP_1) | instskip(NEXT) | instid1(VALU_DEP_1)
	v_and_b32_e32 v3, 0xff, v3
	v_cmp_ne_u32_e32 vcc_lo, 0, v3
	s_and_b32 s11, vcc_lo, exec_lo
	s_delay_alu instid0(SALU_CYCLE_1)
	s_or_b32 s6, s6, s11
	s_or_b32 exec_lo, exec_lo, s7
	v_mov_b32_e32 v5, s10
	s_and_saveexec_b32 s7, s6
	s_cbranch_execnz .LBB21_1785
	s_branch .LBB21_1786
.LBB21_2236:
	s_trap 2
	s_sendmsg_rtn_b32 s0, sendmsg(MSG_RTN_GET_DOORBELL)
	s_mov_b32 ttmp2, m0
	s_waitcnt lgkmcnt(0)
	s_and_b32 s0, s0, 0x3ff
	s_delay_alu instid0(SALU_CYCLE_1) | instskip(NEXT) | instid1(SALU_CYCLE_1)
	s_bitset1_b32 s0, 10
	s_mov_b32 m0, s0
	s_sendmsg sendmsg(MSG_INTERRUPT)
	s_mov_b32 m0, ttmp2
.LBB21_2237:                            ; =>This Inner Loop Header: Depth=1
	s_sethalt 5
	s_branch .LBB21_2237
.LBB21_2238:
	s_cbranch_execnz .LBB21_2244
; %bb.2239:
	s_or_b32 s2, s2, exec_lo
	s_cbranch_execz .LBB21_1832
	s_branch .LBB21_1833
.LBB21_2240:
	s_or_saveexec_b32 s6, s6
                                        ; implicit-def: $sgpr7
	s_delay_alu instid0(SALU_CYCLE_1)
	s_xor_b32 exec_lo, exec_lo, s6
	s_cbranch_execz .LBB21_1797
.LBB21_2241:
	v_add_f32_e64 v3, 0x42800000, |v4|
	s_and_not1_b32 s3, s3, exec_lo
	s_mov_b32 s7, 0
	s_delay_alu instid0(VALU_DEP_1) | instskip(NEXT) | instid1(VALU_DEP_1)
	v_and_b32_e32 v3, 0xff, v3
	v_cmp_ne_u32_e32 vcc_lo, 0, v3
	s_and_b32 s10, vcc_lo, exec_lo
	s_delay_alu instid0(SALU_CYCLE_1)
	s_or_b32 s3, s3, s10
	s_or_b32 exec_lo, exec_lo, s6
	v_mov_b32_e32 v5, s7
	s_and_saveexec_b32 s6, s3
	s_cbranch_execnz .LBB21_1798
	s_branch .LBB21_1799
.LBB21_2242:
	s_or_saveexec_b32 s7, s7
                                        ; implicit-def: $sgpr10
	s_delay_alu instid0(SALU_CYCLE_1)
	s_xor_b32 exec_lo, exec_lo, s7
	s_cbranch_execz .LBB21_1902
.LBB21_2243:
	v_add_f32_e64 v4, 0x46000000, |v6|
	s_and_not1_b32 s6, s6, exec_lo
	s_mov_b32 s10, 0
	s_delay_alu instid0(VALU_DEP_1) | instskip(NEXT) | instid1(VALU_DEP_1)
	v_and_b32_e32 v4, 0xff, v4
	v_cmp_ne_u32_e32 vcc_lo, 0, v4
	s_and_b32 s11, vcc_lo, exec_lo
	s_delay_alu instid0(SALU_CYCLE_1)
	s_or_b32 s6, s6, s11
	s_or_b32 exec_lo, exec_lo, s7
	v_mov_b32_e32 v5, s10
	s_and_saveexec_b32 s7, s6
	s_cbranch_execnz .LBB21_1903
	s_branch .LBB21_1904
.LBB21_2244:
	s_trap 2
	s_sendmsg_rtn_b32 s0, sendmsg(MSG_RTN_GET_DOORBELL)
	s_mov_b32 ttmp2, m0
	s_waitcnt lgkmcnt(0)
	s_and_b32 s0, s0, 0x3ff
	s_delay_alu instid0(SALU_CYCLE_1) | instskip(NEXT) | instid1(SALU_CYCLE_1)
	s_bitset1_b32 s0, 10
	s_mov_b32 m0, s0
	s_sendmsg sendmsg(MSG_INTERRUPT)
	s_mov_b32 m0, ttmp2
.LBB21_2245:                            ; =>This Inner Loop Header: Depth=1
	s_sethalt 5
	s_branch .LBB21_2245
.LBB21_2246:
	s_cbranch_execnz .LBB21_2252
; %bb.2247:
	s_or_b32 s2, s2, exec_lo
	s_cbranch_execz .LBB21_1950
	s_branch .LBB21_1951
.LBB21_2248:
	s_or_saveexec_b32 s6, s6
                                        ; implicit-def: $sgpr7
	s_delay_alu instid0(SALU_CYCLE_1)
	s_xor_b32 exec_lo, exec_lo, s6
	s_cbranch_execz .LBB21_1915
.LBB21_2249:
	v_add_f32_e64 v4, 0x42800000, |v6|
	s_and_not1_b32 s3, s3, exec_lo
	s_mov_b32 s7, 0
	s_delay_alu instid0(VALU_DEP_1) | instskip(NEXT) | instid1(VALU_DEP_1)
	v_and_b32_e32 v4, 0xff, v4
	v_cmp_ne_u32_e32 vcc_lo, 0, v4
	s_and_b32 s10, vcc_lo, exec_lo
	s_delay_alu instid0(SALU_CYCLE_1)
	s_or_b32 s3, s3, s10
	s_or_b32 exec_lo, exec_lo, s6
	v_mov_b32_e32 v5, s7
	s_and_saveexec_b32 s6, s3
	s_cbranch_execnz .LBB21_1916
	s_branch .LBB21_1917
.LBB21_2250:
	s_or_saveexec_b32 s7, s7
                                        ; implicit-def: $sgpr10
	s_delay_alu instid0(SALU_CYCLE_1)
	s_xor_b32 exec_lo, exec_lo, s7
	s_cbranch_execz .LBB21_2020
.LBB21_2251:
	v_add_f32_e64 v3, 0x46000000, |v8|
	s_and_not1_b32 s6, s6, exec_lo
	s_mov_b32 s10, 0
	s_delay_alu instid0(VALU_DEP_1) | instskip(NEXT) | instid1(VALU_DEP_1)
	v_and_b32_e32 v3, 0xff, v3
	v_cmp_ne_u32_e32 vcc_lo, 0, v3
	s_and_b32 s11, vcc_lo, exec_lo
	s_delay_alu instid0(SALU_CYCLE_1)
	s_or_b32 s6, s6, s11
	s_or_b32 exec_lo, exec_lo, s7
	v_mov_b32_e32 v4, s10
	s_and_saveexec_b32 s7, s6
	s_cbranch_execnz .LBB21_2021
	s_branch .LBB21_2022
.LBB21_2252:
	s_trap 2
	s_sendmsg_rtn_b32 s0, sendmsg(MSG_RTN_GET_DOORBELL)
	s_mov_b32 ttmp2, m0
	s_waitcnt lgkmcnt(0)
	s_and_b32 s0, s0, 0x3ff
	s_delay_alu instid0(SALU_CYCLE_1) | instskip(NEXT) | instid1(SALU_CYCLE_1)
	s_bitset1_b32 s0, 10
	s_mov_b32 m0, s0
	s_sendmsg sendmsg(MSG_INTERRUPT)
	s_mov_b32 m0, ttmp2
.LBB21_2253:                            ; =>This Inner Loop Header: Depth=1
	s_sethalt 5
	s_branch .LBB21_2253
.LBB21_2254:
	s_cbranch_execnz .LBB21_2260
; %bb.2255:
	s_or_b32 s2, s2, exec_lo
	s_cbranch_execz .LBB21_2068
	s_branch .LBB21_2069
.LBB21_2256:
	s_or_saveexec_b32 s6, s6
                                        ; implicit-def: $sgpr7
	s_delay_alu instid0(SALU_CYCLE_1)
	s_xor_b32 exec_lo, exec_lo, s6
	s_cbranch_execz .LBB21_2033
.LBB21_2257:
	v_add_f32_e64 v3, 0x42800000, |v8|
	s_and_not1_b32 s3, s3, exec_lo
	s_mov_b32 s7, 0
	s_delay_alu instid0(VALU_DEP_1) | instskip(NEXT) | instid1(VALU_DEP_1)
	v_and_b32_e32 v3, 0xff, v3
	v_cmp_ne_u32_e32 vcc_lo, 0, v3
	s_and_b32 s10, vcc_lo, exec_lo
	s_delay_alu instid0(SALU_CYCLE_1)
	s_or_b32 s3, s3, s10
	s_or_b32 exec_lo, exec_lo, s6
	v_mov_b32_e32 v4, s7
	s_and_saveexec_b32 s6, s3
	s_cbranch_execnz .LBB21_2034
	s_branch .LBB21_2035
.LBB21_2258:
	s_or_saveexec_b32 s5, s5
                                        ; implicit-def: $sgpr6
	s_delay_alu instid0(SALU_CYCLE_1)
	s_xor_b32 exec_lo, exec_lo, s5
	s_cbranch_execz .LBB21_2139
.LBB21_2259:
	v_add_f32_e64 v2, 0x46000000, |v10|
	s_and_not1_b32 s4, s4, exec_lo
	s_mov_b32 s6, 0
	s_delay_alu instid0(VALU_DEP_1) | instskip(NEXT) | instid1(VALU_DEP_1)
	v_and_b32_e32 v2, 0xff, v2
	v_cmp_ne_u32_e32 vcc_lo, 0, v2
	s_and_b32 s7, vcc_lo, exec_lo
	s_delay_alu instid0(SALU_CYCLE_1)
	s_or_b32 s4, s4, s7
	s_or_b32 exec_lo, exec_lo, s5
	v_mov_b32_e32 v3, s6
	s_and_saveexec_b32 s5, s4
	s_cbranch_execnz .LBB21_2140
	s_branch .LBB21_2141
.LBB21_2260:
	s_trap 2
	s_sendmsg_rtn_b32 s0, sendmsg(MSG_RTN_GET_DOORBELL)
	s_mov_b32 ttmp2, m0
	s_waitcnt lgkmcnt(0)
	s_and_b32 s0, s0, 0x3ff
	s_delay_alu instid0(SALU_CYCLE_1) | instskip(NEXT) | instid1(SALU_CYCLE_1)
	s_bitset1_b32 s0, 10
	s_mov_b32 m0, s0
	s_sendmsg sendmsg(MSG_INTERRUPT)
	s_mov_b32 m0, ttmp2
.LBB21_2261:                            ; =>This Inner Loop Header: Depth=1
	s_sethalt 5
	s_branch .LBB21_2261
.LBB21_2262:
	s_cbranch_execnz .LBB21_2266
; %bb.2263:
	s_mov_b32 s1, 0
	s_or_b32 s2, s2, exec_lo
	s_branch .LBB21_2185
.LBB21_2264:
	s_or_saveexec_b32 s4, s4
                                        ; implicit-def: $sgpr5
	s_delay_alu instid0(SALU_CYCLE_1)
	s_xor_b32 exec_lo, exec_lo, s4
	s_cbranch_execz .LBB21_2151
.LBB21_2265:
	v_add_f32_e64 v2, 0x42800000, |v10|
	s_and_not1_b32 s3, s3, exec_lo
	s_mov_b32 s5, 0
	s_delay_alu instid0(VALU_DEP_1) | instskip(NEXT) | instid1(VALU_DEP_1)
	v_and_b32_e32 v2, 0xff, v2
	v_cmp_ne_u32_e32 vcc_lo, 0, v2
	s_and_b32 s6, vcc_lo, exec_lo
	s_delay_alu instid0(SALU_CYCLE_1)
	s_or_b32 s3, s3, s6
	s_or_b32 exec_lo, exec_lo, s4
	v_mov_b32_e32 v3, s5
	s_and_saveexec_b32 s4, s3
	s_cbranch_execnz .LBB21_2152
	s_branch .LBB21_2153
.LBB21_2266:
	s_trap 2
	s_sendmsg_rtn_b32 s0, sendmsg(MSG_RTN_GET_DOORBELL)
	s_mov_b32 ttmp2, m0
	s_waitcnt lgkmcnt(0)
	s_and_b32 s0, s0, 0x3ff
	s_delay_alu instid0(SALU_CYCLE_1) | instskip(NEXT) | instid1(SALU_CYCLE_1)
	s_bitset1_b32 s0, 10
	s_mov_b32 m0, s0
	s_sendmsg sendmsg(MSG_INTERRUPT)
	s_mov_b32 m0, ttmp2
.LBB21_2267:                            ; =>This Inner Loop Header: Depth=1
	s_sethalt 5
	s_branch .LBB21_2267
	.section	.rodata,"a",@progbits
	.p2align	6, 0x0
	.amdhsa_kernel _ZN2at6native32elementwise_kernel_manual_unrollILi128ELi4EZNS0_15gpu_kernel_implIZZZNS0_12_GLOBAL__N_137scaled_modified_bessel_k1_kernel_cudaERNS_18TensorIteratorBaseEENKUlvE_clEvENKUlvE0_clEvEUlfE_EEvS5_RKT_EUlibE0_EEviT1_
		.amdhsa_group_segment_fixed_size 0
		.amdhsa_private_segment_fixed_size 0
		.amdhsa_kernarg_size 360
		.amdhsa_user_sgpr_count 15
		.amdhsa_user_sgpr_dispatch_ptr 0
		.amdhsa_user_sgpr_queue_ptr 0
		.amdhsa_user_sgpr_kernarg_segment_ptr 1
		.amdhsa_user_sgpr_dispatch_id 0
		.amdhsa_user_sgpr_private_segment_size 0
		.amdhsa_wavefront_size32 1
		.amdhsa_uses_dynamic_stack 0
		.amdhsa_enable_private_segment 0
		.amdhsa_system_sgpr_workgroup_id_x 1
		.amdhsa_system_sgpr_workgroup_id_y 0
		.amdhsa_system_sgpr_workgroup_id_z 0
		.amdhsa_system_sgpr_workgroup_info 0
		.amdhsa_system_vgpr_workitem_id 0
		.amdhsa_next_free_vgpr 21
		.amdhsa_next_free_sgpr 68
		.amdhsa_reserve_vcc 1
		.amdhsa_float_round_mode_32 0
		.amdhsa_float_round_mode_16_64 0
		.amdhsa_float_denorm_mode_32 3
		.amdhsa_float_denorm_mode_16_64 3
		.amdhsa_dx10_clamp 1
		.amdhsa_ieee_mode 1
		.amdhsa_fp16_overflow 0
		.amdhsa_workgroup_processor_mode 1
		.amdhsa_memory_ordered 1
		.amdhsa_forward_progress 0
		.amdhsa_shared_vgpr_count 0
		.amdhsa_exception_fp_ieee_invalid_op 0
		.amdhsa_exception_fp_denorm_src 0
		.amdhsa_exception_fp_ieee_div_zero 0
		.amdhsa_exception_fp_ieee_overflow 0
		.amdhsa_exception_fp_ieee_underflow 0
		.amdhsa_exception_fp_ieee_inexact 0
		.amdhsa_exception_int_div_zero 0
	.end_amdhsa_kernel
	.section	.text._ZN2at6native32elementwise_kernel_manual_unrollILi128ELi4EZNS0_15gpu_kernel_implIZZZNS0_12_GLOBAL__N_137scaled_modified_bessel_k1_kernel_cudaERNS_18TensorIteratorBaseEENKUlvE_clEvENKUlvE0_clEvEUlfE_EEvS5_RKT_EUlibE0_EEviT1_,"axG",@progbits,_ZN2at6native32elementwise_kernel_manual_unrollILi128ELi4EZNS0_15gpu_kernel_implIZZZNS0_12_GLOBAL__N_137scaled_modified_bessel_k1_kernel_cudaERNS_18TensorIteratorBaseEENKUlvE_clEvENKUlvE0_clEvEUlfE_EEvS5_RKT_EUlibE0_EEviT1_,comdat
.Lfunc_end21:
	.size	_ZN2at6native32elementwise_kernel_manual_unrollILi128ELi4EZNS0_15gpu_kernel_implIZZZNS0_12_GLOBAL__N_137scaled_modified_bessel_k1_kernel_cudaERNS_18TensorIteratorBaseEENKUlvE_clEvENKUlvE0_clEvEUlfE_EEvS5_RKT_EUlibE0_EEviT1_, .Lfunc_end21-_ZN2at6native32elementwise_kernel_manual_unrollILi128ELi4EZNS0_15gpu_kernel_implIZZZNS0_12_GLOBAL__N_137scaled_modified_bessel_k1_kernel_cudaERNS_18TensorIteratorBaseEENKUlvE_clEvENKUlvE0_clEvEUlfE_EEvS5_RKT_EUlibE0_EEviT1_
                                        ; -- End function
	.section	.AMDGPU.csdata,"",@progbits
; Kernel info:
; codeLenInByte = 65320
; NumSgprs: 70
; NumVgprs: 21
; ScratchSize: 0
; MemoryBound: 1
; FloatMode: 240
; IeeeMode: 1
; LDSByteSize: 0 bytes/workgroup (compile time only)
; SGPRBlocks: 8
; VGPRBlocks: 2
; NumSGPRsForWavesPerEU: 70
; NumVGPRsForWavesPerEU: 21
; Occupancy: 16
; WaveLimiterHint : 1
; COMPUTE_PGM_RSRC2:SCRATCH_EN: 0
; COMPUTE_PGM_RSRC2:USER_SGPR: 15
; COMPUTE_PGM_RSRC2:TRAP_HANDLER: 0
; COMPUTE_PGM_RSRC2:TGID_X_EN: 1
; COMPUTE_PGM_RSRC2:TGID_Y_EN: 0
; COMPUTE_PGM_RSRC2:TGID_Z_EN: 0
; COMPUTE_PGM_RSRC2:TIDIG_COMP_CNT: 0
	.text
	.p2alignl 7, 3214868480
	.fill 96, 4, 3214868480
	.type	__hip_cuid_3eb4c61c1ebc282f,@object ; @__hip_cuid_3eb4c61c1ebc282f
	.section	.bss,"aw",@nobits
	.globl	__hip_cuid_3eb4c61c1ebc282f
__hip_cuid_3eb4c61c1ebc282f:
	.byte	0                               ; 0x0
	.size	__hip_cuid_3eb4c61c1ebc282f, 1

	.ident	"AMD clang version 19.0.0git (https://github.com/RadeonOpenCompute/llvm-project roc-6.4.0 25133 c7fe45cf4b819c5991fe208aaa96edf142730f1d)"
	.section	".note.GNU-stack","",@progbits
	.addrsig
	.addrsig_sym __hip_cuid_3eb4c61c1ebc282f
	.amdgpu_metadata
---
amdhsa.kernels:
  - .args:
      - .offset:         0
        .size:           4
        .value_kind:     by_value
      - .offset:         4
        .size:           1
        .value_kind:     by_value
      - .offset:         8
        .size:           16
        .value_kind:     by_value
    .group_segment_fixed_size: 0
    .kernarg_segment_align: 8
    .kernarg_segment_size: 24
    .language:       OpenCL C
    .language_version:
      - 2
      - 0
    .max_flat_workgroup_size: 256
    .name:           _ZN2at6native29vectorized_elementwise_kernelILi16EZZZNS0_12_GLOBAL__N_137scaled_modified_bessel_k1_kernel_cudaERNS_18TensorIteratorBaseEENKUlvE_clEvENKUlvE_clEvEUldE_St5arrayIPcLm2EEEEviT0_T1_
    .private_segment_fixed_size: 0
    .sgpr_count:     35
    .sgpr_spill_count: 0
    .symbol:         _ZN2at6native29vectorized_elementwise_kernelILi16EZZZNS0_12_GLOBAL__N_137scaled_modified_bessel_k1_kernel_cudaERNS_18TensorIteratorBaseEENKUlvE_clEvENKUlvE_clEvEUldE_St5arrayIPcLm2EEEEviT0_T1_.kd
    .uniform_work_group_size: 1
    .uses_dynamic_stack: false
    .vgpr_count:     54
    .vgpr_spill_count: 0
    .wavefront_size: 32
    .workgroup_processor_mode: 1
  - .args:
      - .offset:         0
        .size:           4
        .value_kind:     by_value
      - .offset:         4
        .size:           1
        .value_kind:     by_value
      - .offset:         8
        .size:           16
        .value_kind:     by_value
    .group_segment_fixed_size: 0
    .kernarg_segment_align: 8
    .kernarg_segment_size: 24
    .language:       OpenCL C
    .language_version:
      - 2
      - 0
    .max_flat_workgroup_size: 256
    .name:           _ZN2at6native29vectorized_elementwise_kernelILi8EZZZNS0_12_GLOBAL__N_137scaled_modified_bessel_k1_kernel_cudaERNS_18TensorIteratorBaseEENKUlvE_clEvENKUlvE_clEvEUldE_St5arrayIPcLm2EEEEviT0_T1_
    .private_segment_fixed_size: 0
    .sgpr_count:     35
    .sgpr_spill_count: 0
    .symbol:         _ZN2at6native29vectorized_elementwise_kernelILi8EZZZNS0_12_GLOBAL__N_137scaled_modified_bessel_k1_kernel_cudaERNS_18TensorIteratorBaseEENKUlvE_clEvENKUlvE_clEvEUldE_St5arrayIPcLm2EEEEviT0_T1_.kd
    .uniform_work_group_size: 1
    .uses_dynamic_stack: false
    .vgpr_count:     54
    .vgpr_spill_count: 0
    .wavefront_size: 32
    .workgroup_processor_mode: 1
  - .args:
      - .offset:         0
        .size:           4
        .value_kind:     by_value
      - .offset:         4
        .size:           1
        .value_kind:     by_value
      - .offset:         8
        .size:           16
        .value_kind:     by_value
    .group_segment_fixed_size: 0
    .kernarg_segment_align: 8
    .kernarg_segment_size: 24
    .language:       OpenCL C
    .language_version:
      - 2
      - 0
    .max_flat_workgroup_size: 256
    .name:           _ZN2at6native29vectorized_elementwise_kernelILi4EZZZNS0_12_GLOBAL__N_137scaled_modified_bessel_k1_kernel_cudaERNS_18TensorIteratorBaseEENKUlvE_clEvENKUlvE_clEvEUldE_St5arrayIPcLm2EEEEviT0_T1_
    .private_segment_fixed_size: 0
    .sgpr_count:     35
    .sgpr_spill_count: 0
    .symbol:         _ZN2at6native29vectorized_elementwise_kernelILi4EZZZNS0_12_GLOBAL__N_137scaled_modified_bessel_k1_kernel_cudaERNS_18TensorIteratorBaseEENKUlvE_clEvENKUlvE_clEvEUldE_St5arrayIPcLm2EEEEviT0_T1_.kd
    .uniform_work_group_size: 1
    .uses_dynamic_stack: false
    .vgpr_count:     54
    .vgpr_spill_count: 0
    .wavefront_size: 32
    .workgroup_processor_mode: 1
  - .args:
      - .offset:         0
        .size:           4
        .value_kind:     by_value
      - .offset:         4
        .size:           1
        .value_kind:     by_value
      - .offset:         8
        .size:           16
        .value_kind:     by_value
    .group_segment_fixed_size: 0
    .kernarg_segment_align: 8
    .kernarg_segment_size: 24
    .language:       OpenCL C
    .language_version:
      - 2
      - 0
    .max_flat_workgroup_size: 256
    .name:           _ZN2at6native29vectorized_elementwise_kernelILi2EZZZNS0_12_GLOBAL__N_137scaled_modified_bessel_k1_kernel_cudaERNS_18TensorIteratorBaseEENKUlvE_clEvENKUlvE_clEvEUldE_St5arrayIPcLm2EEEEviT0_T1_
    .private_segment_fixed_size: 0
    .sgpr_count:     35
    .sgpr_spill_count: 0
    .symbol:         _ZN2at6native29vectorized_elementwise_kernelILi2EZZZNS0_12_GLOBAL__N_137scaled_modified_bessel_k1_kernel_cudaERNS_18TensorIteratorBaseEENKUlvE_clEvENKUlvE_clEvEUldE_St5arrayIPcLm2EEEEviT0_T1_.kd
    .uniform_work_group_size: 1
    .uses_dynamic_stack: false
    .vgpr_count:     54
    .vgpr_spill_count: 0
    .wavefront_size: 32
    .workgroup_processor_mode: 1
  - .args:
      - .offset:         0
        .size:           4
        .value_kind:     by_value
      - .offset:         4
        .size:           1
        .value_kind:     by_value
      - .offset:         8
        .size:           16
        .value_kind:     by_value
      - .offset:         24
        .size:           1
        .value_kind:     by_value
      - .offset:         25
        .size:           1
        .value_kind:     by_value
      - .offset:         26
        .size:           1
        .value_kind:     by_value
      - .offset:         27
        .size:           1
        .value_kind:     by_value
    .group_segment_fixed_size: 0
    .kernarg_segment_align: 8
    .kernarg_segment_size: 28
    .language:       OpenCL C
    .language_version:
      - 2
      - 0
    .max_flat_workgroup_size: 256
    .name:           _ZN2at6native27unrolled_elementwise_kernelIZZZNS0_12_GLOBAL__N_137scaled_modified_bessel_k1_kernel_cudaERNS_18TensorIteratorBaseEENKUlvE_clEvENKUlvE_clEvEUldE_St5arrayIPcLm2EELi4E23TrivialOffsetCalculatorILi1EjESC_NS0_6memory15LoadWithoutCastENSD_16StoreWithoutCastEEEviT_T0_T2_T3_T4_T5_
    .private_segment_fixed_size: 0
    .sgpr_count:     35
    .sgpr_spill_count: 0
    .symbol:         _ZN2at6native27unrolled_elementwise_kernelIZZZNS0_12_GLOBAL__N_137scaled_modified_bessel_k1_kernel_cudaERNS_18TensorIteratorBaseEENKUlvE_clEvENKUlvE_clEvEUldE_St5arrayIPcLm2EELi4E23TrivialOffsetCalculatorILi1EjESC_NS0_6memory15LoadWithoutCastENSD_16StoreWithoutCastEEEviT_T0_T2_T3_T4_T5_.kd
    .uniform_work_group_size: 1
    .uses_dynamic_stack: false
    .vgpr_count:     54
    .vgpr_spill_count: 0
    .wavefront_size: 32
    .workgroup_processor_mode: 1
  - .args:
      - .offset:         0
        .size:           4
        .value_kind:     by_value
      - .offset:         8
        .size:           352
        .value_kind:     by_value
    .group_segment_fixed_size: 0
    .kernarg_segment_align: 8
    .kernarg_segment_size: 360
    .language:       OpenCL C
    .language_version:
      - 2
      - 0
    .max_flat_workgroup_size: 128
    .name:           _ZN2at6native32elementwise_kernel_manual_unrollILi128ELi4EZNS0_22gpu_kernel_impl_nocastIZZZNS0_12_GLOBAL__N_137scaled_modified_bessel_k1_kernel_cudaERNS_18TensorIteratorBaseEENKUlvE_clEvENKUlvE_clEvEUldE_EEvS5_RKT_EUlibE_EEviT1_
    .private_segment_fixed_size: 0
    .sgpr_count:     58
    .sgpr_spill_count: 0
    .symbol:         _ZN2at6native32elementwise_kernel_manual_unrollILi128ELi4EZNS0_22gpu_kernel_impl_nocastIZZZNS0_12_GLOBAL__N_137scaled_modified_bessel_k1_kernel_cudaERNS_18TensorIteratorBaseEENKUlvE_clEvENKUlvE_clEvEUldE_EEvS5_RKT_EUlibE_EEviT1_.kd
    .uniform_work_group_size: 1
    .uses_dynamic_stack: false
    .vgpr_count:     41
    .vgpr_spill_count: 0
    .wavefront_size: 32
    .workgroup_processor_mode: 1
  - .args:
      - .offset:         0
        .size:           4
        .value_kind:     by_value
      - .offset:         8
        .size:           32
        .value_kind:     by_value
    .group_segment_fixed_size: 0
    .kernarg_segment_align: 8
    .kernarg_segment_size: 40
    .language:       OpenCL C
    .language_version:
      - 2
      - 0
    .max_flat_workgroup_size: 128
    .name:           _ZN2at6native32elementwise_kernel_manual_unrollILi128ELi4EZNS0_15gpu_kernel_implIZZZNS0_12_GLOBAL__N_137scaled_modified_bessel_k1_kernel_cudaERNS_18TensorIteratorBaseEENKUlvE_clEvENKUlvE_clEvEUldE_EEvS5_RKT_EUlibE_EEviT1_
    .private_segment_fixed_size: 0
    .sgpr_count:     35
    .sgpr_spill_count: 0
    .symbol:         _ZN2at6native32elementwise_kernel_manual_unrollILi128ELi4EZNS0_15gpu_kernel_implIZZZNS0_12_GLOBAL__N_137scaled_modified_bessel_k1_kernel_cudaERNS_18TensorIteratorBaseEENKUlvE_clEvENKUlvE_clEvEUldE_EEvS5_RKT_EUlibE_EEviT1_.kd
    .uniform_work_group_size: 1
    .uses_dynamic_stack: false
    .vgpr_count:     40
    .vgpr_spill_count: 0
    .wavefront_size: 32
    .workgroup_processor_mode: 1
  - .args:
      - .offset:         0
        .size:           4
        .value_kind:     by_value
      - .offset:         8
        .size:           352
        .value_kind:     by_value
    .group_segment_fixed_size: 0
    .kernarg_segment_align: 8
    .kernarg_segment_size: 360
    .language:       OpenCL C
    .language_version:
      - 2
      - 0
    .max_flat_workgroup_size: 128
    .name:           _ZN2at6native32elementwise_kernel_manual_unrollILi128ELi4EZNS0_15gpu_kernel_implIZZZNS0_12_GLOBAL__N_137scaled_modified_bessel_k1_kernel_cudaERNS_18TensorIteratorBaseEENKUlvE_clEvENKUlvE_clEvEUldE_EEvS5_RKT_EUlibE0_EEviT1_
    .private_segment_fixed_size: 0
    .sgpr_count:     70
    .sgpr_spill_count: 0
    .symbol:         _ZN2at6native32elementwise_kernel_manual_unrollILi128ELi4EZNS0_15gpu_kernel_implIZZZNS0_12_GLOBAL__N_137scaled_modified_bessel_k1_kernel_cudaERNS_18TensorIteratorBaseEENKUlvE_clEvENKUlvE_clEvEUldE_EEvS5_RKT_EUlibE0_EEviT1_.kd
    .uniform_work_group_size: 1
    .uses_dynamic_stack: false
    .vgpr_count:     42
    .vgpr_spill_count: 0
    .wavefront_size: 32
    .workgroup_processor_mode: 1
  - .args:
      - .offset:         0
        .size:           4
        .value_kind:     by_value
      - .offset:         4
        .size:           1
        .value_kind:     by_value
      - .offset:         8
        .size:           16
        .value_kind:     by_value
    .group_segment_fixed_size: 0
    .kernarg_segment_align: 8
    .kernarg_segment_size: 24
    .language:       OpenCL C
    .language_version:
      - 2
      - 0
    .max_flat_workgroup_size: 256
    .name:           _ZN2at6native29vectorized_elementwise_kernelILi16EZZZNS0_12_GLOBAL__N_137scaled_modified_bessel_k1_kernel_cudaERNS_18TensorIteratorBaseEENKUlvE_clEvENKUlvE0_clEvEUlfE_St5arrayIPcLm2EEEEviT0_T1_
    .private_segment_fixed_size: 0
    .sgpr_count:     35
    .sgpr_spill_count: 0
    .symbol:         _ZN2at6native29vectorized_elementwise_kernelILi16EZZZNS0_12_GLOBAL__N_137scaled_modified_bessel_k1_kernel_cudaERNS_18TensorIteratorBaseEENKUlvE_clEvENKUlvE0_clEvEUlfE_St5arrayIPcLm2EEEEviT0_T1_.kd
    .uniform_work_group_size: 1
    .uses_dynamic_stack: false
    .vgpr_count:     32
    .vgpr_spill_count: 0
    .wavefront_size: 32
    .workgroup_processor_mode: 1
  - .args:
      - .offset:         0
        .size:           4
        .value_kind:     by_value
      - .offset:         4
        .size:           1
        .value_kind:     by_value
      - .offset:         8
        .size:           16
        .value_kind:     by_value
    .group_segment_fixed_size: 0
    .kernarg_segment_align: 8
    .kernarg_segment_size: 24
    .language:       OpenCL C
    .language_version:
      - 2
      - 0
    .max_flat_workgroup_size: 256
    .name:           _ZN2at6native29vectorized_elementwise_kernelILi8EZZZNS0_12_GLOBAL__N_137scaled_modified_bessel_k1_kernel_cudaERNS_18TensorIteratorBaseEENKUlvE_clEvENKUlvE0_clEvEUlfE_St5arrayIPcLm2EEEEviT0_T1_
    .private_segment_fixed_size: 0
    .sgpr_count:     35
    .sgpr_spill_count: 0
    .symbol:         _ZN2at6native29vectorized_elementwise_kernelILi8EZZZNS0_12_GLOBAL__N_137scaled_modified_bessel_k1_kernel_cudaERNS_18TensorIteratorBaseEENKUlvE_clEvENKUlvE0_clEvEUlfE_St5arrayIPcLm2EEEEviT0_T1_.kd
    .uniform_work_group_size: 1
    .uses_dynamic_stack: false
    .vgpr_count:     32
    .vgpr_spill_count: 0
    .wavefront_size: 32
    .workgroup_processor_mode: 1
  - .args:
      - .offset:         0
        .size:           4
        .value_kind:     by_value
      - .offset:         4
        .size:           1
        .value_kind:     by_value
      - .offset:         8
        .size:           16
        .value_kind:     by_value
    .group_segment_fixed_size: 0
    .kernarg_segment_align: 8
    .kernarg_segment_size: 24
    .language:       OpenCL C
    .language_version:
      - 2
      - 0
    .max_flat_workgroup_size: 256
    .name:           _ZN2at6native29vectorized_elementwise_kernelILi4EZZZNS0_12_GLOBAL__N_137scaled_modified_bessel_k1_kernel_cudaERNS_18TensorIteratorBaseEENKUlvE_clEvENKUlvE0_clEvEUlfE_St5arrayIPcLm2EEEEviT0_T1_
    .private_segment_fixed_size: 0
    .sgpr_count:     35
    .sgpr_spill_count: 0
    .symbol:         _ZN2at6native29vectorized_elementwise_kernelILi4EZZZNS0_12_GLOBAL__N_137scaled_modified_bessel_k1_kernel_cudaERNS_18TensorIteratorBaseEENKUlvE_clEvENKUlvE0_clEvEUlfE_St5arrayIPcLm2EEEEviT0_T1_.kd
    .uniform_work_group_size: 1
    .uses_dynamic_stack: false
    .vgpr_count:     32
    .vgpr_spill_count: 0
    .wavefront_size: 32
    .workgroup_processor_mode: 1
  - .args:
      - .offset:         0
        .size:           4
        .value_kind:     by_value
      - .offset:         4
        .size:           1
        .value_kind:     by_value
      - .offset:         8
        .size:           16
        .value_kind:     by_value
    .group_segment_fixed_size: 0
    .kernarg_segment_align: 8
    .kernarg_segment_size: 24
    .language:       OpenCL C
    .language_version:
      - 2
      - 0
    .max_flat_workgroup_size: 256
    .name:           _ZN2at6native29vectorized_elementwise_kernelILi2EZZZNS0_12_GLOBAL__N_137scaled_modified_bessel_k1_kernel_cudaERNS_18TensorIteratorBaseEENKUlvE_clEvENKUlvE0_clEvEUlfE_St5arrayIPcLm2EEEEviT0_T1_
    .private_segment_fixed_size: 0
    .sgpr_count:     35
    .sgpr_spill_count: 0
    .symbol:         _ZN2at6native29vectorized_elementwise_kernelILi2EZZZNS0_12_GLOBAL__N_137scaled_modified_bessel_k1_kernel_cudaERNS_18TensorIteratorBaseEENKUlvE_clEvENKUlvE0_clEvEUlfE_St5arrayIPcLm2EEEEviT0_T1_.kd
    .uniform_work_group_size: 1
    .uses_dynamic_stack: false
    .vgpr_count:     32
    .vgpr_spill_count: 0
    .wavefront_size: 32
    .workgroup_processor_mode: 1
  - .args:
      - .offset:         0
        .size:           4
        .value_kind:     by_value
      - .offset:         4
        .size:           1
        .value_kind:     by_value
      - .offset:         8
        .size:           16
        .value_kind:     by_value
      - .offset:         24
        .size:           1
        .value_kind:     by_value
      - .offset:         25
        .size:           1
        .value_kind:     by_value
      - .offset:         26
        .size:           1
        .value_kind:     by_value
      - .offset:         27
        .size:           1
        .value_kind:     by_value
    .group_segment_fixed_size: 0
    .kernarg_segment_align: 8
    .kernarg_segment_size: 28
    .language:       OpenCL C
    .language_version:
      - 2
      - 0
    .max_flat_workgroup_size: 256
    .name:           _ZN2at6native27unrolled_elementwise_kernelIZZZNS0_12_GLOBAL__N_137scaled_modified_bessel_k1_kernel_cudaERNS_18TensorIteratorBaseEENKUlvE_clEvENKUlvE0_clEvEUlfE_St5arrayIPcLm2EELi4E23TrivialOffsetCalculatorILi1EjESC_NS0_6memory15LoadWithoutCastENSD_16StoreWithoutCastEEEviT_T0_T2_T3_T4_T5_
    .private_segment_fixed_size: 0
    .sgpr_count:     35
    .sgpr_spill_count: 0
    .symbol:         _ZN2at6native27unrolled_elementwise_kernelIZZZNS0_12_GLOBAL__N_137scaled_modified_bessel_k1_kernel_cudaERNS_18TensorIteratorBaseEENKUlvE_clEvENKUlvE0_clEvEUlfE_St5arrayIPcLm2EELi4E23TrivialOffsetCalculatorILi1EjESC_NS0_6memory15LoadWithoutCastENSD_16StoreWithoutCastEEEviT_T0_T2_T3_T4_T5_.kd
    .uniform_work_group_size: 1
    .uses_dynamic_stack: false
    .vgpr_count:     32
    .vgpr_spill_count: 0
    .wavefront_size: 32
    .workgroup_processor_mode: 1
  - .args:
      - .offset:         0
        .size:           4
        .value_kind:     by_value
      - .offset:         8
        .size:           352
        .value_kind:     by_value
    .group_segment_fixed_size: 0
    .kernarg_segment_align: 8
    .kernarg_segment_size: 360
    .language:       OpenCL C
    .language_version:
      - 2
      - 0
    .max_flat_workgroup_size: 128
    .name:           _ZN2at6native32elementwise_kernel_manual_unrollILi128ELi4EZNS0_22gpu_kernel_impl_nocastIZZZNS0_12_GLOBAL__N_137scaled_modified_bessel_k1_kernel_cudaERNS_18TensorIteratorBaseEENKUlvE_clEvENKUlvE0_clEvEUlfE_EEvS5_RKT_EUlibE_EEviT1_
    .private_segment_fixed_size: 0
    .sgpr_count:     58
    .sgpr_spill_count: 0
    .symbol:         _ZN2at6native32elementwise_kernel_manual_unrollILi128ELi4EZNS0_22gpu_kernel_impl_nocastIZZZNS0_12_GLOBAL__N_137scaled_modified_bessel_k1_kernel_cudaERNS_18TensorIteratorBaseEENKUlvE_clEvENKUlvE0_clEvEUlfE_EEvS5_RKT_EUlibE_EEviT1_.kd
    .uniform_work_group_size: 1
    .uses_dynamic_stack: false
    .vgpr_count:     21
    .vgpr_spill_count: 0
    .wavefront_size: 32
    .workgroup_processor_mode: 1
  - .args:
      - .offset:         0
        .size:           4
        .value_kind:     by_value
      - .offset:         8
        .size:           32
        .value_kind:     by_value
    .group_segment_fixed_size: 0
    .kernarg_segment_align: 8
    .kernarg_segment_size: 40
    .language:       OpenCL C
    .language_version:
      - 2
      - 0
    .max_flat_workgroup_size: 128
    .name:           _ZN2at6native32elementwise_kernel_manual_unrollILi128ELi4EZNS0_15gpu_kernel_implIZZZNS0_12_GLOBAL__N_137scaled_modified_bessel_k1_kernel_cudaERNS_18TensorIteratorBaseEENKUlvE_clEvENKUlvE0_clEvEUlfE_EEvS5_RKT_EUlibE_EEviT1_
    .private_segment_fixed_size: 0
    .sgpr_count:     26
    .sgpr_spill_count: 0
    .symbol:         _ZN2at6native32elementwise_kernel_manual_unrollILi128ELi4EZNS0_15gpu_kernel_implIZZZNS0_12_GLOBAL__N_137scaled_modified_bessel_k1_kernel_cudaERNS_18TensorIteratorBaseEENKUlvE_clEvENKUlvE0_clEvEUlfE_EEvS5_RKT_EUlibE_EEviT1_.kd
    .uniform_work_group_size: 1
    .uses_dynamic_stack: false
    .vgpr_count:     19
    .vgpr_spill_count: 0
    .wavefront_size: 32
    .workgroup_processor_mode: 1
  - .args:
      - .offset:         0
        .size:           4
        .value_kind:     by_value
      - .offset:         8
        .size:           352
        .value_kind:     by_value
    .group_segment_fixed_size: 0
    .kernarg_segment_align: 8
    .kernarg_segment_size: 360
    .language:       OpenCL C
    .language_version:
      - 2
      - 0
    .max_flat_workgroup_size: 128
    .name:           _ZN2at6native32elementwise_kernel_manual_unrollILi128ELi4EZNS0_15gpu_kernel_implIZZZNS0_12_GLOBAL__N_137scaled_modified_bessel_k1_kernel_cudaERNS_18TensorIteratorBaseEENKUlvE_clEvENKUlvE0_clEvEUlfE_EEvS5_RKT_EUlibE0_EEviT1_
    .private_segment_fixed_size: 0
    .sgpr_count:     70
    .sgpr_spill_count: 0
    .symbol:         _ZN2at6native32elementwise_kernel_manual_unrollILi128ELi4EZNS0_15gpu_kernel_implIZZZNS0_12_GLOBAL__N_137scaled_modified_bessel_k1_kernel_cudaERNS_18TensorIteratorBaseEENKUlvE_clEvENKUlvE0_clEvEUlfE_EEvS5_RKT_EUlibE0_EEviT1_.kd
    .uniform_work_group_size: 1
    .uses_dynamic_stack: false
    .vgpr_count:     21
    .vgpr_spill_count: 0
    .wavefront_size: 32
    .workgroup_processor_mode: 1
amdhsa.target:   amdgcn-amd-amdhsa--gfx1100
amdhsa.version:
  - 1
  - 2
...

	.end_amdgpu_metadata
